;; amdgpu-corpus repo=ROCm/rocSPARSE kind=compiled arch=gfx1250 opt=O3
	.amdgcn_target "amdgcn-amd-amdhsa--gfx1250"
	.amdhsa_code_object_version 6
	.section	.text._ZN9rocsparseL21csrmvn_general_kernelILj256ELj2EiiffffEEvbT2_NS_24const_host_device_scalarIT6_EEPKT1_S7_PKS1_PKT3_PKT4_S4_PT5_21rocsparse_index_base_b,"axG",@progbits,_ZN9rocsparseL21csrmvn_general_kernelILj256ELj2EiiffffEEvbT2_NS_24const_host_device_scalarIT6_EEPKT1_S7_PKS1_PKT3_PKT4_S4_PT5_21rocsparse_index_base_b,comdat
	.globl	_ZN9rocsparseL21csrmvn_general_kernelILj256ELj2EiiffffEEvbT2_NS_24const_host_device_scalarIT6_EEPKT1_S7_PKS1_PKT3_PKT4_S4_PT5_21rocsparse_index_base_b ; -- Begin function _ZN9rocsparseL21csrmvn_general_kernelILj256ELj2EiiffffEEvbT2_NS_24const_host_device_scalarIT6_EEPKT1_S7_PKS1_PKT3_PKT4_S4_PT5_21rocsparse_index_base_b
	.p2align	8
	.type	_ZN9rocsparseL21csrmvn_general_kernelILj256ELj2EiiffffEEvbT2_NS_24const_host_device_scalarIT6_EEPKT1_S7_PKS1_PKT3_PKT4_S4_PT5_21rocsparse_index_base_b,@function
_ZN9rocsparseL21csrmvn_general_kernelILj256ELj2EiiffffEEvbT2_NS_24const_host_device_scalarIT6_EEPKT1_S7_PKS1_PKT3_PKT4_S4_PT5_21rocsparse_index_base_b: ; @_ZN9rocsparseL21csrmvn_general_kernelILj256ELj2EiiffffEEvbT2_NS_24const_host_device_scalarIT6_EEPKT1_S7_PKS1_PKT3_PKT4_S4_PT5_21rocsparse_index_base_b
; %bb.0:
	s_clause 0x2
	s_load_b64 s[2:3], s[0:1], 0x48
	s_load_b128 s[12:15], s[0:1], 0x8
	s_load_b64 s[16:17], s[0:1], 0x38
	s_wait_kmcnt 0x0
	s_bitcmp1_b32 s3, 0
	s_cselect_b32 s3, -1, 0
	s_delay_alu instid0(SALU_CYCLE_1)
	s_and_b32 vcc_lo, exec_lo, s3
	s_xor_b32 s3, s3, -1
	s_cbranch_vccnz .LBB0_2
; %bb.1:
	s_load_b32 s12, s[12:13], 0x0
.LBB0_2:
	s_and_not1_b32 vcc_lo, exec_lo, s3
	s_cbranch_vccnz .LBB0_4
; %bb.3:
	s_load_b32 s16, s[16:17], 0x0
.LBB0_4:
	s_wait_kmcnt 0x0
	s_cmp_neq_f32 s12, 0
	s_cselect_b32 s3, -1, 0
	s_cmp_neq_f32 s16, 1.0
	s_cselect_b32 s4, -1, 0
	s_delay_alu instid0(SALU_CYCLE_1) | instskip(NEXT) | instid1(SALU_CYCLE_1)
	s_or_b32 s3, s3, s4
	s_and_not1_b32 vcc_lo, exec_lo, s3
	s_cbranch_vccnz .LBB0_16
; %bb.5:
	s_bfe_u32 s3, ttmp6, 0x4000c
	s_load_b32 s13, s[0:1], 0x4
	s_add_co_i32 s3, s3, 1
	s_and_b32 s4, ttmp6, 15
	s_mul_i32 s3, ttmp9, s3
	s_getreg_b32 s5, hwreg(HW_REG_IB_STS2, 6, 4)
	s_add_co_i32 s4, s4, s3
	s_cmp_eq_u32 s5, 0
	s_cselect_b32 s3, ttmp9, s4
	s_delay_alu instid0(SALU_CYCLE_1) | instskip(SKIP_1) | instid1(VALU_DEP_1)
	v_lshl_or_b32 v1, s3, 8, v0
	s_mov_b32 s3, exec_lo
	v_lshrrev_b32_e32 v2, 1, v1
	s_wait_kmcnt 0x0
	s_delay_alu instid0(VALU_DEP_1)
	v_cmpx_gt_i32_e64 s13, v2
	s_cbranch_execz .LBB0_16
; %bb.6:
	s_clause 0x1
	s_load_b32 s17, s[0:1], 0x50
	s_load_b256 s[4:11], s[0:1], 0x18
	v_mbcnt_lo_u32_b32 v1, -1, 0
	s_load_b64 s[18:19], s[0:1], 0x40
	s_ashr_i32 s3, s2, 31
	s_delay_alu instid0(SALU_CYCLE_1) | instskip(NEXT) | instid1(VALU_DEP_1)
	s_lshl_b64 s[20:21], s[2:3], 2
	v_xor_b32_e32 v3, 1, v1
	s_delay_alu instid0(VALU_DEP_1) | instskip(SKIP_1) | instid1(VALU_DEP_1)
	v_cmp_gt_i32_e32 vcc_lo, 32, v3
	v_dual_cndmask_b32 v1, v1, v3, vcc_lo :: v_dual_bitop2_b32 v0, 1, v0 bitop3:0x40
	v_subrev_nc_u32_e32 v4, s2, v0
	s_wait_xcnt 0x0
	v_cmp_eq_u32_e64 s0, 1, v0
	s_wait_kmcnt 0x0
	s_lshl_b32 s1, s17, 7
	s_cmp_neq_f32 s16, 0
	v_lshlrev_b32_e32 v5, 2, v1
	s_sub_nc_u64 s[10:11], s[10:11], s[20:21]
	s_mov_b32 s17, 0
	s_cselect_b32 s3, -1, 0
	s_branch .LBB0_9
.LBB0_7:                                ;   in Loop: Header=BB0_9 Depth=1
	global_store_b32 v[0:1], v6, off
.LBB0_8:                                ;   in Loop: Header=BB0_9 Depth=1
	s_wait_xcnt 0x0
	s_or_b32 exec_lo, exec_lo, s20
	v_add_nc_u32_e32 v2, s1, v2
	s_delay_alu instid0(VALU_DEP_1) | instskip(SKIP_1) | instid1(SALU_CYCLE_1)
	v_cmp_le_i32_e32 vcc_lo, s13, v2
	s_or_b32 s17, vcc_lo, s17
	s_and_not1_b32 exec_lo, exec_lo, s17
	s_cbranch_execz .LBB0_16
.LBB0_9:                                ; =>This Loop Header: Depth=1
                                        ;     Child Loop BB0_11 Depth 2
	s_clause 0x1
	global_load_b32 v0, v2, s[4:5] scale_offset
	global_load_b32 v3, v2, s[14:15] scale_offset
	s_mov_b32 s20, exec_lo
	s_wait_loadcnt_dscnt 0x100
	v_subrev_nc_u32_e32 v1, s2, v0
	s_wait_loadcnt 0x0
	v_dual_mov_b32 v0, 0 :: v_dual_add_nc_u32 v3, v3, v4
	s_wait_xcnt 0x0
	s_delay_alu instid0(VALU_DEP_1)
	v_cmpx_lt_i32_e64 v3, v1
	s_cbranch_execz .LBB0_13
; %bb.10:                               ;   in Loop: Header=BB0_9 Depth=1
	v_mov_b32_e32 v0, 0
	s_mov_b32 s21, 0
.LBB0_11:                               ;   Parent Loop BB0_9 Depth=1
                                        ; =>  This Inner Loop Header: Depth=2
	s_clause 0x1
	global_load_b32 v6, v3, s[6:7] scale_offset
	global_load_b32 v7, v3, s[8:9] scale_offset
	s_wait_loadcnt 0x1
	global_load_b32 v6, v6, s[10:11] scale_offset
	s_wait_loadcnt 0x1
	v_mul_f32_e32 v7, s12, v7
	s_wait_loadcnt 0x0
	s_wait_xcnt 0x1
	s_delay_alu instid0(VALU_DEP_1) | instskip(NEXT) | instid1(VALU_DEP_1)
	v_dual_fmac_f32 v0, v7, v6 :: v_dual_add_nc_u32 v3, 2, v3
	v_cmp_ge_i32_e32 vcc_lo, v3, v1
	s_or_b32 s21, vcc_lo, s21
	s_wait_xcnt 0x0
	s_and_not1_b32 exec_lo, exec_lo, s21
	s_cbranch_execnz .LBB0_11
; %bb.12:                               ;   in Loop: Header=BB0_9 Depth=1
	s_or_b32 exec_lo, exec_lo, s21
.LBB0_13:                               ;   in Loop: Header=BB0_9 Depth=1
	s_delay_alu instid0(SALU_CYCLE_1)
	s_or_b32 exec_lo, exec_lo, s20
	ds_bpermute_b32 v1, v5, v0
	v_ashrrev_i32_e32 v3, 31, v2
	s_and_saveexec_b32 s20, s0
	s_cbranch_execz .LBB0_8
; %bb.14:                               ;   in Loop: Header=BB0_9 Depth=1
	s_wait_dscnt 0x0
	v_add_f32_e32 v6, v0, v1
	v_lshl_add_u64 v[0:1], v[2:3], 2, s[18:19]
	s_and_not1_b32 vcc_lo, exec_lo, s3
	s_cbranch_vccnz .LBB0_7
; %bb.15:                               ;   in Loop: Header=BB0_9 Depth=1
	global_load_b32 v3, v[0:1], off
	s_wait_loadcnt 0x0
	v_fmac_f32_e32 v6, s16, v3
	s_branch .LBB0_7
.LBB0_16:
	s_endpgm
	.section	.rodata,"a",@progbits
	.p2align	6, 0x0
	.amdhsa_kernel _ZN9rocsparseL21csrmvn_general_kernelILj256ELj2EiiffffEEvbT2_NS_24const_host_device_scalarIT6_EEPKT1_S7_PKS1_PKT3_PKT4_S4_PT5_21rocsparse_index_base_b
		.amdhsa_group_segment_fixed_size 0
		.amdhsa_private_segment_fixed_size 0
		.amdhsa_kernarg_size 336
		.amdhsa_user_sgpr_count 2
		.amdhsa_user_sgpr_dispatch_ptr 0
		.amdhsa_user_sgpr_queue_ptr 0
		.amdhsa_user_sgpr_kernarg_segment_ptr 1
		.amdhsa_user_sgpr_dispatch_id 0
		.amdhsa_user_sgpr_kernarg_preload_length 0
		.amdhsa_user_sgpr_kernarg_preload_offset 0
		.amdhsa_user_sgpr_private_segment_size 0
		.amdhsa_wavefront_size32 1
		.amdhsa_uses_dynamic_stack 0
		.amdhsa_enable_private_segment 0
		.amdhsa_system_sgpr_workgroup_id_x 1
		.amdhsa_system_sgpr_workgroup_id_y 0
		.amdhsa_system_sgpr_workgroup_id_z 0
		.amdhsa_system_sgpr_workgroup_info 0
		.amdhsa_system_vgpr_workitem_id 0
		.amdhsa_next_free_vgpr 8
		.amdhsa_next_free_sgpr 22
		.amdhsa_named_barrier_count 0
		.amdhsa_reserve_vcc 1
		.amdhsa_float_round_mode_32 0
		.amdhsa_float_round_mode_16_64 0
		.amdhsa_float_denorm_mode_32 3
		.amdhsa_float_denorm_mode_16_64 3
		.amdhsa_fp16_overflow 0
		.amdhsa_memory_ordered 1
		.amdhsa_forward_progress 1
		.amdhsa_inst_pref_size 5
		.amdhsa_round_robin_scheduling 0
		.amdhsa_exception_fp_ieee_invalid_op 0
		.amdhsa_exception_fp_denorm_src 0
		.amdhsa_exception_fp_ieee_div_zero 0
		.amdhsa_exception_fp_ieee_overflow 0
		.amdhsa_exception_fp_ieee_underflow 0
		.amdhsa_exception_fp_ieee_inexact 0
		.amdhsa_exception_int_div_zero 0
	.end_amdhsa_kernel
	.section	.text._ZN9rocsparseL21csrmvn_general_kernelILj256ELj2EiiffffEEvbT2_NS_24const_host_device_scalarIT6_EEPKT1_S7_PKS1_PKT3_PKT4_S4_PT5_21rocsparse_index_base_b,"axG",@progbits,_ZN9rocsparseL21csrmvn_general_kernelILj256ELj2EiiffffEEvbT2_NS_24const_host_device_scalarIT6_EEPKT1_S7_PKS1_PKT3_PKT4_S4_PT5_21rocsparse_index_base_b,comdat
.Lfunc_end0:
	.size	_ZN9rocsparseL21csrmvn_general_kernelILj256ELj2EiiffffEEvbT2_NS_24const_host_device_scalarIT6_EEPKT1_S7_PKS1_PKT3_PKT4_S4_PT5_21rocsparse_index_base_b, .Lfunc_end0-_ZN9rocsparseL21csrmvn_general_kernelILj256ELj2EiiffffEEvbT2_NS_24const_host_device_scalarIT6_EEPKT1_S7_PKS1_PKT3_PKT4_S4_PT5_21rocsparse_index_base_b
                                        ; -- End function
	.set _ZN9rocsparseL21csrmvn_general_kernelILj256ELj2EiiffffEEvbT2_NS_24const_host_device_scalarIT6_EEPKT1_S7_PKS1_PKT3_PKT4_S4_PT5_21rocsparse_index_base_b.num_vgpr, 8
	.set _ZN9rocsparseL21csrmvn_general_kernelILj256ELj2EiiffffEEvbT2_NS_24const_host_device_scalarIT6_EEPKT1_S7_PKS1_PKT3_PKT4_S4_PT5_21rocsparse_index_base_b.num_agpr, 0
	.set _ZN9rocsparseL21csrmvn_general_kernelILj256ELj2EiiffffEEvbT2_NS_24const_host_device_scalarIT6_EEPKT1_S7_PKS1_PKT3_PKT4_S4_PT5_21rocsparse_index_base_b.numbered_sgpr, 22
	.set _ZN9rocsparseL21csrmvn_general_kernelILj256ELj2EiiffffEEvbT2_NS_24const_host_device_scalarIT6_EEPKT1_S7_PKS1_PKT3_PKT4_S4_PT5_21rocsparse_index_base_b.num_named_barrier, 0
	.set _ZN9rocsparseL21csrmvn_general_kernelILj256ELj2EiiffffEEvbT2_NS_24const_host_device_scalarIT6_EEPKT1_S7_PKS1_PKT3_PKT4_S4_PT5_21rocsparse_index_base_b.private_seg_size, 0
	.set _ZN9rocsparseL21csrmvn_general_kernelILj256ELj2EiiffffEEvbT2_NS_24const_host_device_scalarIT6_EEPKT1_S7_PKS1_PKT3_PKT4_S4_PT5_21rocsparse_index_base_b.uses_vcc, 1
	.set _ZN9rocsparseL21csrmvn_general_kernelILj256ELj2EiiffffEEvbT2_NS_24const_host_device_scalarIT6_EEPKT1_S7_PKS1_PKT3_PKT4_S4_PT5_21rocsparse_index_base_b.uses_flat_scratch, 0
	.set _ZN9rocsparseL21csrmvn_general_kernelILj256ELj2EiiffffEEvbT2_NS_24const_host_device_scalarIT6_EEPKT1_S7_PKS1_PKT3_PKT4_S4_PT5_21rocsparse_index_base_b.has_dyn_sized_stack, 0
	.set _ZN9rocsparseL21csrmvn_general_kernelILj256ELj2EiiffffEEvbT2_NS_24const_host_device_scalarIT6_EEPKT1_S7_PKS1_PKT3_PKT4_S4_PT5_21rocsparse_index_base_b.has_recursion, 0
	.set _ZN9rocsparseL21csrmvn_general_kernelILj256ELj2EiiffffEEvbT2_NS_24const_host_device_scalarIT6_EEPKT1_S7_PKS1_PKT3_PKT4_S4_PT5_21rocsparse_index_base_b.has_indirect_call, 0
	.section	.AMDGPU.csdata,"",@progbits
; Kernel info:
; codeLenInByte = 620
; TotalNumSgprs: 24
; NumVgprs: 8
; ScratchSize: 0
; MemoryBound: 0
; FloatMode: 240
; IeeeMode: 1
; LDSByteSize: 0 bytes/workgroup (compile time only)
; SGPRBlocks: 0
; VGPRBlocks: 0
; NumSGPRsForWavesPerEU: 24
; NumVGPRsForWavesPerEU: 8
; NamedBarCnt: 0
; Occupancy: 16
; WaveLimiterHint : 1
; COMPUTE_PGM_RSRC2:SCRATCH_EN: 0
; COMPUTE_PGM_RSRC2:USER_SGPR: 2
; COMPUTE_PGM_RSRC2:TRAP_HANDLER: 0
; COMPUTE_PGM_RSRC2:TGID_X_EN: 1
; COMPUTE_PGM_RSRC2:TGID_Y_EN: 0
; COMPUTE_PGM_RSRC2:TGID_Z_EN: 0
; COMPUTE_PGM_RSRC2:TIDIG_COMP_CNT: 0
	.section	.text._ZN9rocsparseL21csrmvn_general_kernelILj256ELj4EiiffffEEvbT2_NS_24const_host_device_scalarIT6_EEPKT1_S7_PKS1_PKT3_PKT4_S4_PT5_21rocsparse_index_base_b,"axG",@progbits,_ZN9rocsparseL21csrmvn_general_kernelILj256ELj4EiiffffEEvbT2_NS_24const_host_device_scalarIT6_EEPKT1_S7_PKS1_PKT3_PKT4_S4_PT5_21rocsparse_index_base_b,comdat
	.globl	_ZN9rocsparseL21csrmvn_general_kernelILj256ELj4EiiffffEEvbT2_NS_24const_host_device_scalarIT6_EEPKT1_S7_PKS1_PKT3_PKT4_S4_PT5_21rocsparse_index_base_b ; -- Begin function _ZN9rocsparseL21csrmvn_general_kernelILj256ELj4EiiffffEEvbT2_NS_24const_host_device_scalarIT6_EEPKT1_S7_PKS1_PKT3_PKT4_S4_PT5_21rocsparse_index_base_b
	.p2align	8
	.type	_ZN9rocsparseL21csrmvn_general_kernelILj256ELj4EiiffffEEvbT2_NS_24const_host_device_scalarIT6_EEPKT1_S7_PKS1_PKT3_PKT4_S4_PT5_21rocsparse_index_base_b,@function
_ZN9rocsparseL21csrmvn_general_kernelILj256ELj4EiiffffEEvbT2_NS_24const_host_device_scalarIT6_EEPKT1_S7_PKS1_PKT3_PKT4_S4_PT5_21rocsparse_index_base_b: ; @_ZN9rocsparseL21csrmvn_general_kernelILj256ELj4EiiffffEEvbT2_NS_24const_host_device_scalarIT6_EEPKT1_S7_PKS1_PKT3_PKT4_S4_PT5_21rocsparse_index_base_b
; %bb.0:
	s_clause 0x2
	s_load_b64 s[2:3], s[0:1], 0x48
	s_load_b128 s[12:15], s[0:1], 0x8
	s_load_b64 s[16:17], s[0:1], 0x38
	s_wait_kmcnt 0x0
	s_bitcmp1_b32 s3, 0
	s_cselect_b32 s3, -1, 0
	s_delay_alu instid0(SALU_CYCLE_1)
	s_and_b32 vcc_lo, exec_lo, s3
	s_xor_b32 s3, s3, -1
	s_cbranch_vccnz .LBB1_2
; %bb.1:
	s_load_b32 s12, s[12:13], 0x0
.LBB1_2:
	s_and_not1_b32 vcc_lo, exec_lo, s3
	s_cbranch_vccnz .LBB1_4
; %bb.3:
	s_load_b32 s16, s[16:17], 0x0
.LBB1_4:
	s_wait_kmcnt 0x0
	s_cmp_neq_f32 s12, 0
	s_cselect_b32 s3, -1, 0
	s_cmp_neq_f32 s16, 1.0
	s_cselect_b32 s4, -1, 0
	s_delay_alu instid0(SALU_CYCLE_1) | instskip(NEXT) | instid1(SALU_CYCLE_1)
	s_or_b32 s3, s3, s4
	s_and_not1_b32 vcc_lo, exec_lo, s3
	s_cbranch_vccnz .LBB1_16
; %bb.5:
	s_bfe_u32 s3, ttmp6, 0x4000c
	s_load_b32 s13, s[0:1], 0x4
	s_add_co_i32 s3, s3, 1
	s_and_b32 s4, ttmp6, 15
	s_mul_i32 s3, ttmp9, s3
	s_getreg_b32 s5, hwreg(HW_REG_IB_STS2, 6, 4)
	s_add_co_i32 s4, s4, s3
	s_cmp_eq_u32 s5, 0
	s_cselect_b32 s3, ttmp9, s4
	s_delay_alu instid0(SALU_CYCLE_1) | instskip(SKIP_1) | instid1(VALU_DEP_1)
	v_lshl_or_b32 v1, s3, 8, v0
	s_mov_b32 s3, exec_lo
	v_lshrrev_b32_e32 v2, 2, v1
	s_wait_kmcnt 0x0
	s_delay_alu instid0(VALU_DEP_1)
	v_cmpx_gt_i32_e64 s13, v2
	s_cbranch_execz .LBB1_16
; %bb.6:
	v_mbcnt_lo_u32_b32 v1, -1, 0
	s_clause 0x2
	s_load_b32 s17, s[0:1], 0x50
	s_load_b256 s[4:11], s[0:1], 0x18
	s_load_b64 s[18:19], s[0:1], 0x40
	s_ashr_i32 s3, s2, 31
	s_delay_alu instid0(SALU_CYCLE_1) | instskip(SKIP_2) | instid1(VALU_DEP_2)
	s_lshl_b64 s[20:21], s[2:3], 2
	v_xor_b32_e32 v3, 2, v1
	v_xor_b32_e32 v5, 1, v1
	v_cmp_gt_i32_e32 vcc_lo, 32, v3
	v_dual_cndmask_b32 v3, v1, v3, vcc_lo :: v_dual_bitop2_b32 v0, 3, v0 bitop3:0x40
	s_delay_alu instid0(VALU_DEP_3) | instskip(NEXT) | instid1(VALU_DEP_2)
	v_cmp_gt_i32_e32 vcc_lo, 32, v5
	v_subrev_nc_u32_e32 v4, s2, v0
	s_wait_xcnt 0x0
	v_cmp_eq_u32_e64 s0, 3, v0
	s_wait_kmcnt 0x0
	s_lshl_b32 s1, s17, 6
	v_dual_cndmask_b32 v1, v1, v5, vcc_lo :: v_dual_lshlrev_b32 v5, 2, v3
	s_cmp_neq_f32 s16, 0
	s_sub_nc_u64 s[10:11], s[10:11], s[20:21]
	s_mov_b32 s17, 0
	s_delay_alu instid0(VALU_DEP_1)
	v_lshlrev_b32_e32 v6, 2, v1
	s_cselect_b32 s3, -1, 0
	s_branch .LBB1_9
.LBB1_7:                                ;   in Loop: Header=BB1_9 Depth=1
	global_store_b32 v[0:1], v7, off
.LBB1_8:                                ;   in Loop: Header=BB1_9 Depth=1
	s_wait_xcnt 0x0
	s_or_b32 exec_lo, exec_lo, s20
	v_add_nc_u32_e32 v2, s1, v2
	s_delay_alu instid0(VALU_DEP_1) | instskip(SKIP_1) | instid1(SALU_CYCLE_1)
	v_cmp_le_i32_e32 vcc_lo, s13, v2
	s_or_b32 s17, vcc_lo, s17
	s_and_not1_b32 exec_lo, exec_lo, s17
	s_cbranch_execz .LBB1_16
.LBB1_9:                                ; =>This Loop Header: Depth=1
                                        ;     Child Loop BB1_11 Depth 2
	s_clause 0x1
	global_load_b32 v0, v2, s[4:5] scale_offset
	global_load_b32 v3, v2, s[14:15] scale_offset
	s_mov_b32 s20, exec_lo
	s_wait_loadcnt_dscnt 0x100
	v_subrev_nc_u32_e32 v1, s2, v0
	s_wait_loadcnt 0x0
	v_dual_mov_b32 v0, 0 :: v_dual_add_nc_u32 v3, v3, v4
	s_wait_xcnt 0x0
	s_delay_alu instid0(VALU_DEP_1)
	v_cmpx_lt_i32_e64 v3, v1
	s_cbranch_execz .LBB1_13
; %bb.10:                               ;   in Loop: Header=BB1_9 Depth=1
	v_mov_b32_e32 v0, 0
	s_mov_b32 s21, 0
.LBB1_11:                               ;   Parent Loop BB1_9 Depth=1
                                        ; =>  This Inner Loop Header: Depth=2
	s_clause 0x1
	global_load_b32 v7, v3, s[6:7] scale_offset
	global_load_b32 v8, v3, s[8:9] scale_offset
	s_wait_xcnt 0x0
	v_add_nc_u32_e32 v3, 4, v3
	s_wait_loadcnt 0x1
	global_load_b32 v7, v7, s[10:11] scale_offset
	s_wait_loadcnt 0x1
	v_mul_f32_e32 v8, s12, v8
	v_cmp_ge_i32_e32 vcc_lo, v3, v1
	s_or_b32 s21, vcc_lo, s21
	s_wait_loadcnt 0x0
	s_delay_alu instid0(VALU_DEP_2)
	v_fmac_f32_e32 v0, v8, v7
	s_wait_xcnt 0x0
	s_and_not1_b32 exec_lo, exec_lo, s21
	s_cbranch_execnz .LBB1_11
; %bb.12:                               ;   in Loop: Header=BB1_9 Depth=1
	s_or_b32 exec_lo, exec_lo, s21
.LBB1_13:                               ;   in Loop: Header=BB1_9 Depth=1
	s_delay_alu instid0(SALU_CYCLE_1)
	s_or_b32 exec_lo, exec_lo, s20
	ds_bpermute_b32 v1, v5, v0
	s_wait_dscnt 0x0
	v_dual_add_f32 v0, v0, v1 :: v_dual_ashrrev_i32 v3, 31, v2
	ds_bpermute_b32 v1, v6, v0
	s_and_saveexec_b32 s20, s0
	s_cbranch_execz .LBB1_8
; %bb.14:                               ;   in Loop: Header=BB1_9 Depth=1
	s_wait_dscnt 0x0
	v_add_f32_e32 v7, v0, v1
	v_lshl_add_u64 v[0:1], v[2:3], 2, s[18:19]
	s_and_not1_b32 vcc_lo, exec_lo, s3
	s_cbranch_vccnz .LBB1_7
; %bb.15:                               ;   in Loop: Header=BB1_9 Depth=1
	global_load_b32 v3, v[0:1], off
	s_wait_loadcnt 0x0
	v_fmac_f32_e32 v7, s16, v3
	s_branch .LBB1_7
.LBB1_16:
	s_endpgm
	.section	.rodata,"a",@progbits
	.p2align	6, 0x0
	.amdhsa_kernel _ZN9rocsparseL21csrmvn_general_kernelILj256ELj4EiiffffEEvbT2_NS_24const_host_device_scalarIT6_EEPKT1_S7_PKS1_PKT3_PKT4_S4_PT5_21rocsparse_index_base_b
		.amdhsa_group_segment_fixed_size 0
		.amdhsa_private_segment_fixed_size 0
		.amdhsa_kernarg_size 336
		.amdhsa_user_sgpr_count 2
		.amdhsa_user_sgpr_dispatch_ptr 0
		.amdhsa_user_sgpr_queue_ptr 0
		.amdhsa_user_sgpr_kernarg_segment_ptr 1
		.amdhsa_user_sgpr_dispatch_id 0
		.amdhsa_user_sgpr_kernarg_preload_length 0
		.amdhsa_user_sgpr_kernarg_preload_offset 0
		.amdhsa_user_sgpr_private_segment_size 0
		.amdhsa_wavefront_size32 1
		.amdhsa_uses_dynamic_stack 0
		.amdhsa_enable_private_segment 0
		.amdhsa_system_sgpr_workgroup_id_x 1
		.amdhsa_system_sgpr_workgroup_id_y 0
		.amdhsa_system_sgpr_workgroup_id_z 0
		.amdhsa_system_sgpr_workgroup_info 0
		.amdhsa_system_vgpr_workitem_id 0
		.amdhsa_next_free_vgpr 9
		.amdhsa_next_free_sgpr 22
		.amdhsa_named_barrier_count 0
		.amdhsa_reserve_vcc 1
		.amdhsa_float_round_mode_32 0
		.amdhsa_float_round_mode_16_64 0
		.amdhsa_float_denorm_mode_32 3
		.amdhsa_float_denorm_mode_16_64 3
		.amdhsa_fp16_overflow 0
		.amdhsa_memory_ordered 1
		.amdhsa_forward_progress 1
		.amdhsa_inst_pref_size 6
		.amdhsa_round_robin_scheduling 0
		.amdhsa_exception_fp_ieee_invalid_op 0
		.amdhsa_exception_fp_denorm_src 0
		.amdhsa_exception_fp_ieee_div_zero 0
		.amdhsa_exception_fp_ieee_overflow 0
		.amdhsa_exception_fp_ieee_underflow 0
		.amdhsa_exception_fp_ieee_inexact 0
		.amdhsa_exception_int_div_zero 0
	.end_amdhsa_kernel
	.section	.text._ZN9rocsparseL21csrmvn_general_kernelILj256ELj4EiiffffEEvbT2_NS_24const_host_device_scalarIT6_EEPKT1_S7_PKS1_PKT3_PKT4_S4_PT5_21rocsparse_index_base_b,"axG",@progbits,_ZN9rocsparseL21csrmvn_general_kernelILj256ELj4EiiffffEEvbT2_NS_24const_host_device_scalarIT6_EEPKT1_S7_PKS1_PKT3_PKT4_S4_PT5_21rocsparse_index_base_b,comdat
.Lfunc_end1:
	.size	_ZN9rocsparseL21csrmvn_general_kernelILj256ELj4EiiffffEEvbT2_NS_24const_host_device_scalarIT6_EEPKT1_S7_PKS1_PKT3_PKT4_S4_PT5_21rocsparse_index_base_b, .Lfunc_end1-_ZN9rocsparseL21csrmvn_general_kernelILj256ELj4EiiffffEEvbT2_NS_24const_host_device_scalarIT6_EEPKT1_S7_PKS1_PKT3_PKT4_S4_PT5_21rocsparse_index_base_b
                                        ; -- End function
	.set _ZN9rocsparseL21csrmvn_general_kernelILj256ELj4EiiffffEEvbT2_NS_24const_host_device_scalarIT6_EEPKT1_S7_PKS1_PKT3_PKT4_S4_PT5_21rocsparse_index_base_b.num_vgpr, 9
	.set _ZN9rocsparseL21csrmvn_general_kernelILj256ELj4EiiffffEEvbT2_NS_24const_host_device_scalarIT6_EEPKT1_S7_PKS1_PKT3_PKT4_S4_PT5_21rocsparse_index_base_b.num_agpr, 0
	.set _ZN9rocsparseL21csrmvn_general_kernelILj256ELj4EiiffffEEvbT2_NS_24const_host_device_scalarIT6_EEPKT1_S7_PKS1_PKT3_PKT4_S4_PT5_21rocsparse_index_base_b.numbered_sgpr, 22
	.set _ZN9rocsparseL21csrmvn_general_kernelILj256ELj4EiiffffEEvbT2_NS_24const_host_device_scalarIT6_EEPKT1_S7_PKS1_PKT3_PKT4_S4_PT5_21rocsparse_index_base_b.num_named_barrier, 0
	.set _ZN9rocsparseL21csrmvn_general_kernelILj256ELj4EiiffffEEvbT2_NS_24const_host_device_scalarIT6_EEPKT1_S7_PKS1_PKT3_PKT4_S4_PT5_21rocsparse_index_base_b.private_seg_size, 0
	.set _ZN9rocsparseL21csrmvn_general_kernelILj256ELj4EiiffffEEvbT2_NS_24const_host_device_scalarIT6_EEPKT1_S7_PKS1_PKT3_PKT4_S4_PT5_21rocsparse_index_base_b.uses_vcc, 1
	.set _ZN9rocsparseL21csrmvn_general_kernelILj256ELj4EiiffffEEvbT2_NS_24const_host_device_scalarIT6_EEPKT1_S7_PKS1_PKT3_PKT4_S4_PT5_21rocsparse_index_base_b.uses_flat_scratch, 0
	.set _ZN9rocsparseL21csrmvn_general_kernelILj256ELj4EiiffffEEvbT2_NS_24const_host_device_scalarIT6_EEPKT1_S7_PKS1_PKT3_PKT4_S4_PT5_21rocsparse_index_base_b.has_dyn_sized_stack, 0
	.set _ZN9rocsparseL21csrmvn_general_kernelILj256ELj4EiiffffEEvbT2_NS_24const_host_device_scalarIT6_EEPKT1_S7_PKS1_PKT3_PKT4_S4_PT5_21rocsparse_index_base_b.has_recursion, 0
	.set _ZN9rocsparseL21csrmvn_general_kernelILj256ELj4EiiffffEEvbT2_NS_24const_host_device_scalarIT6_EEPKT1_S7_PKS1_PKT3_PKT4_S4_PT5_21rocsparse_index_base_b.has_indirect_call, 0
	.section	.AMDGPU.csdata,"",@progbits
; Kernel info:
; codeLenInByte = 660
; TotalNumSgprs: 24
; NumVgprs: 9
; ScratchSize: 0
; MemoryBound: 0
; FloatMode: 240
; IeeeMode: 1
; LDSByteSize: 0 bytes/workgroup (compile time only)
; SGPRBlocks: 0
; VGPRBlocks: 0
; NumSGPRsForWavesPerEU: 24
; NumVGPRsForWavesPerEU: 9
; NamedBarCnt: 0
; Occupancy: 16
; WaveLimiterHint : 1
; COMPUTE_PGM_RSRC2:SCRATCH_EN: 0
; COMPUTE_PGM_RSRC2:USER_SGPR: 2
; COMPUTE_PGM_RSRC2:TRAP_HANDLER: 0
; COMPUTE_PGM_RSRC2:TGID_X_EN: 1
; COMPUTE_PGM_RSRC2:TGID_Y_EN: 0
; COMPUTE_PGM_RSRC2:TGID_Z_EN: 0
; COMPUTE_PGM_RSRC2:TIDIG_COMP_CNT: 0
	.section	.text._ZN9rocsparseL21csrmvn_general_kernelILj256ELj8EiiffffEEvbT2_NS_24const_host_device_scalarIT6_EEPKT1_S7_PKS1_PKT3_PKT4_S4_PT5_21rocsparse_index_base_b,"axG",@progbits,_ZN9rocsparseL21csrmvn_general_kernelILj256ELj8EiiffffEEvbT2_NS_24const_host_device_scalarIT6_EEPKT1_S7_PKS1_PKT3_PKT4_S4_PT5_21rocsparse_index_base_b,comdat
	.globl	_ZN9rocsparseL21csrmvn_general_kernelILj256ELj8EiiffffEEvbT2_NS_24const_host_device_scalarIT6_EEPKT1_S7_PKS1_PKT3_PKT4_S4_PT5_21rocsparse_index_base_b ; -- Begin function _ZN9rocsparseL21csrmvn_general_kernelILj256ELj8EiiffffEEvbT2_NS_24const_host_device_scalarIT6_EEPKT1_S7_PKS1_PKT3_PKT4_S4_PT5_21rocsparse_index_base_b
	.p2align	8
	.type	_ZN9rocsparseL21csrmvn_general_kernelILj256ELj8EiiffffEEvbT2_NS_24const_host_device_scalarIT6_EEPKT1_S7_PKS1_PKT3_PKT4_S4_PT5_21rocsparse_index_base_b,@function
_ZN9rocsparseL21csrmvn_general_kernelILj256ELj8EiiffffEEvbT2_NS_24const_host_device_scalarIT6_EEPKT1_S7_PKS1_PKT3_PKT4_S4_PT5_21rocsparse_index_base_b: ; @_ZN9rocsparseL21csrmvn_general_kernelILj256ELj8EiiffffEEvbT2_NS_24const_host_device_scalarIT6_EEPKT1_S7_PKS1_PKT3_PKT4_S4_PT5_21rocsparse_index_base_b
; %bb.0:
	s_clause 0x2
	s_load_b64 s[2:3], s[0:1], 0x48
	s_load_b128 s[12:15], s[0:1], 0x8
	s_load_b64 s[16:17], s[0:1], 0x38
	s_wait_kmcnt 0x0
	s_bitcmp1_b32 s3, 0
	s_cselect_b32 s3, -1, 0
	s_delay_alu instid0(SALU_CYCLE_1)
	s_and_b32 vcc_lo, exec_lo, s3
	s_xor_b32 s3, s3, -1
	s_cbranch_vccnz .LBB2_2
; %bb.1:
	s_load_b32 s12, s[12:13], 0x0
.LBB2_2:
	s_and_not1_b32 vcc_lo, exec_lo, s3
	s_cbranch_vccnz .LBB2_4
; %bb.3:
	s_load_b32 s16, s[16:17], 0x0
.LBB2_4:
	s_wait_kmcnt 0x0
	s_cmp_neq_f32 s12, 0
	s_cselect_b32 s3, -1, 0
	s_cmp_neq_f32 s16, 1.0
	s_cselect_b32 s4, -1, 0
	s_delay_alu instid0(SALU_CYCLE_1) | instskip(NEXT) | instid1(SALU_CYCLE_1)
	s_or_b32 s3, s3, s4
	s_and_not1_b32 vcc_lo, exec_lo, s3
	s_cbranch_vccnz .LBB2_16
; %bb.5:
	s_bfe_u32 s3, ttmp6, 0x4000c
	s_load_b32 s13, s[0:1], 0x4
	s_add_co_i32 s3, s3, 1
	s_and_b32 s4, ttmp6, 15
	s_mul_i32 s3, ttmp9, s3
	s_getreg_b32 s5, hwreg(HW_REG_IB_STS2, 6, 4)
	s_add_co_i32 s4, s4, s3
	s_cmp_eq_u32 s5, 0
	s_cselect_b32 s3, ttmp9, s4
	s_delay_alu instid0(SALU_CYCLE_1) | instskip(SKIP_1) | instid1(VALU_DEP_1)
	v_lshl_or_b32 v1, s3, 8, v0
	s_mov_b32 s3, exec_lo
	v_lshrrev_b32_e32 v2, 3, v1
	s_wait_kmcnt 0x0
	s_delay_alu instid0(VALU_DEP_1)
	v_cmpx_gt_i32_e64 s13, v2
	s_cbranch_execz .LBB2_16
; %bb.6:
	v_mbcnt_lo_u32_b32 v1, -1, 0
	s_clause 0x2
	s_load_b32 s17, s[0:1], 0x50
	s_load_b64 s[18:19], s[0:1], 0x40
	s_load_b256 s[4:11], s[0:1], 0x18
	s_ashr_i32 s3, s2, 31
	s_delay_alu instid0(SALU_CYCLE_1) | instskip(SKIP_2) | instid1(VALU_DEP_1)
	s_lshl_b64 s[20:21], s[2:3], 2
	v_xor_b32_e32 v6, 1, v1
	v_xor_b32_e32 v3, 4, v1
	v_cmp_gt_i32_e32 vcc_lo, 32, v3
	v_xor_b32_e32 v5, 2, v1
	v_and_b32_e32 v0, 7, v0
	s_delay_alu instid0(VALU_DEP_1)
	v_subrev_nc_u32_e32 v4, s2, v0
	s_wait_xcnt 0x0
	v_cmp_eq_u32_e64 s0, 7, v0
	v_cndmask_b32_e32 v0, v1, v3, vcc_lo
	v_cmp_gt_i32_e32 vcc_lo, 32, v5
	s_wait_kmcnt 0x0
	s_lshl_b32 s1, s17, 5
	s_cmp_neq_f32 s16, 0
	s_sub_nc_u64 s[10:11], s[10:11], s[20:21]
	s_mov_b32 s17, 0
	v_dual_cndmask_b32 v3, v1, v5, vcc_lo :: v_dual_lshlrev_b32 v5, 2, v0
	v_cmp_gt_i32_e32 vcc_lo, 32, v6
	s_cselect_b32 s3, -1, 0
	s_delay_alu instid0(VALU_DEP_2) | instskip(NEXT) | instid1(VALU_DEP_1)
	v_dual_cndmask_b32 v1, v1, v6 :: v_dual_lshlrev_b32 v6, 2, v3
	v_lshlrev_b32_e32 v7, 2, v1
	s_branch .LBB2_9
.LBB2_7:                                ;   in Loop: Header=BB2_9 Depth=1
	global_store_b32 v[0:1], v8, off
.LBB2_8:                                ;   in Loop: Header=BB2_9 Depth=1
	s_wait_xcnt 0x0
	s_or_b32 exec_lo, exec_lo, s20
	v_add_nc_u32_e32 v2, s1, v2
	s_delay_alu instid0(VALU_DEP_1) | instskip(SKIP_1) | instid1(SALU_CYCLE_1)
	v_cmp_le_i32_e32 vcc_lo, s13, v2
	s_or_b32 s17, vcc_lo, s17
	s_and_not1_b32 exec_lo, exec_lo, s17
	s_cbranch_execz .LBB2_16
.LBB2_9:                                ; =>This Loop Header: Depth=1
                                        ;     Child Loop BB2_11 Depth 2
	s_clause 0x1
	global_load_b32 v0, v2, s[4:5] scale_offset
	global_load_b32 v3, v2, s[14:15] scale_offset
	s_mov_b32 s20, exec_lo
	s_wait_loadcnt_dscnt 0x100
	v_subrev_nc_u32_e32 v1, s2, v0
	s_wait_loadcnt 0x0
	v_dual_mov_b32 v0, 0 :: v_dual_add_nc_u32 v3, v3, v4
	s_wait_xcnt 0x0
	s_delay_alu instid0(VALU_DEP_1)
	v_cmpx_lt_i32_e64 v3, v1
	s_cbranch_execz .LBB2_13
; %bb.10:                               ;   in Loop: Header=BB2_9 Depth=1
	v_mov_b32_e32 v0, 0
	s_mov_b32 s21, 0
.LBB2_11:                               ;   Parent Loop BB2_9 Depth=1
                                        ; =>  This Inner Loop Header: Depth=2
	s_clause 0x1
	global_load_b32 v8, v3, s[6:7] scale_offset
	global_load_b32 v9, v3, s[8:9] scale_offset
	s_wait_xcnt 0x0
	v_add_nc_u32_e32 v3, 8, v3
	s_wait_loadcnt 0x1
	global_load_b32 v8, v8, s[10:11] scale_offset
	s_wait_loadcnt 0x1
	v_mul_f32_e32 v9, s12, v9
	v_cmp_ge_i32_e32 vcc_lo, v3, v1
	s_or_b32 s21, vcc_lo, s21
	s_wait_loadcnt 0x0
	s_delay_alu instid0(VALU_DEP_2)
	v_fmac_f32_e32 v0, v9, v8
	s_wait_xcnt 0x0
	s_and_not1_b32 exec_lo, exec_lo, s21
	s_cbranch_execnz .LBB2_11
; %bb.12:                               ;   in Loop: Header=BB2_9 Depth=1
	s_or_b32 exec_lo, exec_lo, s21
.LBB2_13:                               ;   in Loop: Header=BB2_9 Depth=1
	s_delay_alu instid0(SALU_CYCLE_1)
	s_or_b32 exec_lo, exec_lo, s20
	ds_bpermute_b32 v1, v5, v0
	s_wait_dscnt 0x0
	v_dual_add_f32 v0, v0, v1 :: v_dual_ashrrev_i32 v3, 31, v2
	ds_bpermute_b32 v1, v6, v0
	s_wait_dscnt 0x0
	v_add_f32_e32 v0, v0, v1
	ds_bpermute_b32 v1, v7, v0
	s_and_saveexec_b32 s20, s0
	s_cbranch_execz .LBB2_8
; %bb.14:                               ;   in Loop: Header=BB2_9 Depth=1
	s_wait_dscnt 0x0
	v_add_f32_e32 v8, v0, v1
	v_lshl_add_u64 v[0:1], v[2:3], 2, s[18:19]
	s_and_not1_b32 vcc_lo, exec_lo, s3
	s_cbranch_vccnz .LBB2_7
; %bb.15:                               ;   in Loop: Header=BB2_9 Depth=1
	global_load_b32 v3, v[0:1], off
	s_wait_loadcnt 0x0
	v_fmac_f32_e32 v8, s16, v3
	s_branch .LBB2_7
.LBB2_16:
	s_endpgm
	.section	.rodata,"a",@progbits
	.p2align	6, 0x0
	.amdhsa_kernel _ZN9rocsparseL21csrmvn_general_kernelILj256ELj8EiiffffEEvbT2_NS_24const_host_device_scalarIT6_EEPKT1_S7_PKS1_PKT3_PKT4_S4_PT5_21rocsparse_index_base_b
		.amdhsa_group_segment_fixed_size 0
		.amdhsa_private_segment_fixed_size 0
		.amdhsa_kernarg_size 336
		.amdhsa_user_sgpr_count 2
		.amdhsa_user_sgpr_dispatch_ptr 0
		.amdhsa_user_sgpr_queue_ptr 0
		.amdhsa_user_sgpr_kernarg_segment_ptr 1
		.amdhsa_user_sgpr_dispatch_id 0
		.amdhsa_user_sgpr_kernarg_preload_length 0
		.amdhsa_user_sgpr_kernarg_preload_offset 0
		.amdhsa_user_sgpr_private_segment_size 0
		.amdhsa_wavefront_size32 1
		.amdhsa_uses_dynamic_stack 0
		.amdhsa_enable_private_segment 0
		.amdhsa_system_sgpr_workgroup_id_x 1
		.amdhsa_system_sgpr_workgroup_id_y 0
		.amdhsa_system_sgpr_workgroup_id_z 0
		.amdhsa_system_sgpr_workgroup_info 0
		.amdhsa_system_vgpr_workitem_id 0
		.amdhsa_next_free_vgpr 10
		.amdhsa_next_free_sgpr 22
		.amdhsa_named_barrier_count 0
		.amdhsa_reserve_vcc 1
		.amdhsa_float_round_mode_32 0
		.amdhsa_float_round_mode_16_64 0
		.amdhsa_float_denorm_mode_32 3
		.amdhsa_float_denorm_mode_16_64 3
		.amdhsa_fp16_overflow 0
		.amdhsa_memory_ordered 1
		.amdhsa_forward_progress 1
		.amdhsa_inst_pref_size 6
		.amdhsa_round_robin_scheduling 0
		.amdhsa_exception_fp_ieee_invalid_op 0
		.amdhsa_exception_fp_denorm_src 0
		.amdhsa_exception_fp_ieee_div_zero 0
		.amdhsa_exception_fp_ieee_overflow 0
		.amdhsa_exception_fp_ieee_underflow 0
		.amdhsa_exception_fp_ieee_inexact 0
		.amdhsa_exception_int_div_zero 0
	.end_amdhsa_kernel
	.section	.text._ZN9rocsparseL21csrmvn_general_kernelILj256ELj8EiiffffEEvbT2_NS_24const_host_device_scalarIT6_EEPKT1_S7_PKS1_PKT3_PKT4_S4_PT5_21rocsparse_index_base_b,"axG",@progbits,_ZN9rocsparseL21csrmvn_general_kernelILj256ELj8EiiffffEEvbT2_NS_24const_host_device_scalarIT6_EEPKT1_S7_PKS1_PKT3_PKT4_S4_PT5_21rocsparse_index_base_b,comdat
.Lfunc_end2:
	.size	_ZN9rocsparseL21csrmvn_general_kernelILj256ELj8EiiffffEEvbT2_NS_24const_host_device_scalarIT6_EEPKT1_S7_PKS1_PKT3_PKT4_S4_PT5_21rocsparse_index_base_b, .Lfunc_end2-_ZN9rocsparseL21csrmvn_general_kernelILj256ELj8EiiffffEEvbT2_NS_24const_host_device_scalarIT6_EEPKT1_S7_PKS1_PKT3_PKT4_S4_PT5_21rocsparse_index_base_b
                                        ; -- End function
	.set _ZN9rocsparseL21csrmvn_general_kernelILj256ELj8EiiffffEEvbT2_NS_24const_host_device_scalarIT6_EEPKT1_S7_PKS1_PKT3_PKT4_S4_PT5_21rocsparse_index_base_b.num_vgpr, 10
	.set _ZN9rocsparseL21csrmvn_general_kernelILj256ELj8EiiffffEEvbT2_NS_24const_host_device_scalarIT6_EEPKT1_S7_PKS1_PKT3_PKT4_S4_PT5_21rocsparse_index_base_b.num_agpr, 0
	.set _ZN9rocsparseL21csrmvn_general_kernelILj256ELj8EiiffffEEvbT2_NS_24const_host_device_scalarIT6_EEPKT1_S7_PKS1_PKT3_PKT4_S4_PT5_21rocsparse_index_base_b.numbered_sgpr, 22
	.set _ZN9rocsparseL21csrmvn_general_kernelILj256ELj8EiiffffEEvbT2_NS_24const_host_device_scalarIT6_EEPKT1_S7_PKS1_PKT3_PKT4_S4_PT5_21rocsparse_index_base_b.num_named_barrier, 0
	.set _ZN9rocsparseL21csrmvn_general_kernelILj256ELj8EiiffffEEvbT2_NS_24const_host_device_scalarIT6_EEPKT1_S7_PKS1_PKT3_PKT4_S4_PT5_21rocsparse_index_base_b.private_seg_size, 0
	.set _ZN9rocsparseL21csrmvn_general_kernelILj256ELj8EiiffffEEvbT2_NS_24const_host_device_scalarIT6_EEPKT1_S7_PKS1_PKT3_PKT4_S4_PT5_21rocsparse_index_base_b.uses_vcc, 1
	.set _ZN9rocsparseL21csrmvn_general_kernelILj256ELj8EiiffffEEvbT2_NS_24const_host_device_scalarIT6_EEPKT1_S7_PKS1_PKT3_PKT4_S4_PT5_21rocsparse_index_base_b.uses_flat_scratch, 0
	.set _ZN9rocsparseL21csrmvn_general_kernelILj256ELj8EiiffffEEvbT2_NS_24const_host_device_scalarIT6_EEPKT1_S7_PKS1_PKT3_PKT4_S4_PT5_21rocsparse_index_base_b.has_dyn_sized_stack, 0
	.set _ZN9rocsparseL21csrmvn_general_kernelILj256ELj8EiiffffEEvbT2_NS_24const_host_device_scalarIT6_EEPKT1_S7_PKS1_PKT3_PKT4_S4_PT5_21rocsparse_index_base_b.has_recursion, 0
	.set _ZN9rocsparseL21csrmvn_general_kernelILj256ELj8EiiffffEEvbT2_NS_24const_host_device_scalarIT6_EEPKT1_S7_PKS1_PKT3_PKT4_S4_PT5_21rocsparse_index_base_b.has_indirect_call, 0
	.section	.AMDGPU.csdata,"",@progbits
; Kernel info:
; codeLenInByte = 688
; TotalNumSgprs: 24
; NumVgprs: 10
; ScratchSize: 0
; MemoryBound: 0
; FloatMode: 240
; IeeeMode: 1
; LDSByteSize: 0 bytes/workgroup (compile time only)
; SGPRBlocks: 0
; VGPRBlocks: 0
; NumSGPRsForWavesPerEU: 24
; NumVGPRsForWavesPerEU: 10
; NamedBarCnt: 0
; Occupancy: 16
; WaveLimiterHint : 1
; COMPUTE_PGM_RSRC2:SCRATCH_EN: 0
; COMPUTE_PGM_RSRC2:USER_SGPR: 2
; COMPUTE_PGM_RSRC2:TRAP_HANDLER: 0
; COMPUTE_PGM_RSRC2:TGID_X_EN: 1
; COMPUTE_PGM_RSRC2:TGID_Y_EN: 0
; COMPUTE_PGM_RSRC2:TGID_Z_EN: 0
; COMPUTE_PGM_RSRC2:TIDIG_COMP_CNT: 0
	.section	.text._ZN9rocsparseL21csrmvn_general_kernelILj256ELj16EiiffffEEvbT2_NS_24const_host_device_scalarIT6_EEPKT1_S7_PKS1_PKT3_PKT4_S4_PT5_21rocsparse_index_base_b,"axG",@progbits,_ZN9rocsparseL21csrmvn_general_kernelILj256ELj16EiiffffEEvbT2_NS_24const_host_device_scalarIT6_EEPKT1_S7_PKS1_PKT3_PKT4_S4_PT5_21rocsparse_index_base_b,comdat
	.globl	_ZN9rocsparseL21csrmvn_general_kernelILj256ELj16EiiffffEEvbT2_NS_24const_host_device_scalarIT6_EEPKT1_S7_PKS1_PKT3_PKT4_S4_PT5_21rocsparse_index_base_b ; -- Begin function _ZN9rocsparseL21csrmvn_general_kernelILj256ELj16EiiffffEEvbT2_NS_24const_host_device_scalarIT6_EEPKT1_S7_PKS1_PKT3_PKT4_S4_PT5_21rocsparse_index_base_b
	.p2align	8
	.type	_ZN9rocsparseL21csrmvn_general_kernelILj256ELj16EiiffffEEvbT2_NS_24const_host_device_scalarIT6_EEPKT1_S7_PKS1_PKT3_PKT4_S4_PT5_21rocsparse_index_base_b,@function
_ZN9rocsparseL21csrmvn_general_kernelILj256ELj16EiiffffEEvbT2_NS_24const_host_device_scalarIT6_EEPKT1_S7_PKS1_PKT3_PKT4_S4_PT5_21rocsparse_index_base_b: ; @_ZN9rocsparseL21csrmvn_general_kernelILj256ELj16EiiffffEEvbT2_NS_24const_host_device_scalarIT6_EEPKT1_S7_PKS1_PKT3_PKT4_S4_PT5_21rocsparse_index_base_b
; %bb.0:
	s_clause 0x2
	s_load_b64 s[2:3], s[0:1], 0x48
	s_load_b128 s[12:15], s[0:1], 0x8
	s_load_b64 s[16:17], s[0:1], 0x38
	s_wait_kmcnt 0x0
	s_bitcmp1_b32 s3, 0
	s_cselect_b32 s3, -1, 0
	s_delay_alu instid0(SALU_CYCLE_1)
	s_and_b32 vcc_lo, exec_lo, s3
	s_xor_b32 s3, s3, -1
	s_cbranch_vccnz .LBB3_2
; %bb.1:
	s_load_b32 s12, s[12:13], 0x0
.LBB3_2:
	s_and_not1_b32 vcc_lo, exec_lo, s3
	s_cbranch_vccnz .LBB3_4
; %bb.3:
	s_load_b32 s16, s[16:17], 0x0
.LBB3_4:
	s_wait_kmcnt 0x0
	s_cmp_neq_f32 s12, 0
	s_cselect_b32 s3, -1, 0
	s_cmp_neq_f32 s16, 1.0
	s_cselect_b32 s4, -1, 0
	s_delay_alu instid0(SALU_CYCLE_1) | instskip(NEXT) | instid1(SALU_CYCLE_1)
	s_or_b32 s3, s3, s4
	s_and_not1_b32 vcc_lo, exec_lo, s3
	s_cbranch_vccnz .LBB3_16
; %bb.5:
	s_bfe_u32 s3, ttmp6, 0x4000c
	s_load_b32 s13, s[0:1], 0x4
	s_add_co_i32 s3, s3, 1
	s_and_b32 s4, ttmp6, 15
	s_mul_i32 s3, ttmp9, s3
	s_getreg_b32 s5, hwreg(HW_REG_IB_STS2, 6, 4)
	s_add_co_i32 s4, s4, s3
	s_cmp_eq_u32 s5, 0
	s_cselect_b32 s3, ttmp9, s4
	s_delay_alu instid0(SALU_CYCLE_1) | instskip(SKIP_1) | instid1(VALU_DEP_1)
	v_lshl_or_b32 v1, s3, 8, v0
	s_mov_b32 s3, exec_lo
	v_lshrrev_b32_e32 v2, 4, v1
	s_wait_kmcnt 0x0
	s_delay_alu instid0(VALU_DEP_1)
	v_cmpx_gt_i32_e64 s13, v2
	s_cbranch_execz .LBB3_16
; %bb.6:
	v_mbcnt_lo_u32_b32 v1, -1, 0
	s_clause 0x2
	s_load_b32 s17, s[0:1], 0x50
	s_load_b64 s[18:19], s[0:1], 0x40
	s_load_b256 s[4:11], s[0:1], 0x18
	s_ashr_i32 s3, s2, 31
	s_delay_alu instid0(SALU_CYCLE_1) | instskip(SKIP_4) | instid1(VALU_DEP_3)
	s_lshl_b64 s[20:21], s[2:3], 2
	v_xor_b32_e32 v6, 2, v1
	v_xor_b32_e32 v3, 8, v1
	;; [unrolled: 1-line block ×4, first 2 shown]
	v_cmp_gt_i32_e32 vcc_lo, 32, v3
	v_dual_cndmask_b32 v3, v1, v3, vcc_lo :: v_dual_bitop2_b32 v0, 15, v0 bitop3:0x40
	s_delay_alu instid0(VALU_DEP_3) | instskip(NEXT) | instid1(VALU_DEP_2)
	v_cmp_gt_i32_e32 vcc_lo, 32, v5
	v_subrev_nc_u32_e32 v4, s2, v0
	s_wait_kmcnt 0x0
	s_lshl_b32 s1, s17, 4
	s_cmp_neq_f32 s16, 0
	v_cmp_eq_u32_e64 s0, 15, v0
	v_dual_cndmask_b32 v8, v1, v5 :: v_dual_lshlrev_b32 v5, 2, v3
	v_cmp_gt_i32_e32 vcc_lo, 32, v6
	s_cselect_b32 s3, -1, 0
	s_sub_nc_u64 s[10:11], s[10:11], s[20:21]
	s_mov_b32 s17, 0
	v_dual_cndmask_b32 v9, v1, v6 :: v_dual_lshlrev_b32 v6, 2, v8
	v_cmp_gt_i32_e32 vcc_lo, 32, v7
	s_delay_alu instid0(VALU_DEP_2) | instskip(NEXT) | instid1(VALU_DEP_1)
	v_dual_cndmask_b32 v1, v1, v7, vcc_lo :: v_dual_lshlrev_b32 v7, 2, v9
	v_lshlrev_b32_e32 v8, 2, v1
	s_branch .LBB3_9
.LBB3_7:                                ;   in Loop: Header=BB3_9 Depth=1
	global_store_b32 v[0:1], v9, off
.LBB3_8:                                ;   in Loop: Header=BB3_9 Depth=1
	s_wait_xcnt 0x0
	s_or_b32 exec_lo, exec_lo, s20
	v_add_nc_u32_e32 v2, s1, v2
	s_delay_alu instid0(VALU_DEP_1) | instskip(SKIP_1) | instid1(SALU_CYCLE_1)
	v_cmp_le_i32_e32 vcc_lo, s13, v2
	s_or_b32 s17, vcc_lo, s17
	s_and_not1_b32 exec_lo, exec_lo, s17
	s_cbranch_execz .LBB3_16
.LBB3_9:                                ; =>This Loop Header: Depth=1
                                        ;     Child Loop BB3_11 Depth 2
	s_clause 0x1
	global_load_b32 v0, v2, s[4:5] scale_offset
	global_load_b32 v3, v2, s[14:15] scale_offset
	s_mov_b32 s20, exec_lo
	s_wait_loadcnt_dscnt 0x100
	v_subrev_nc_u32_e32 v1, s2, v0
	s_wait_loadcnt 0x0
	v_dual_mov_b32 v0, 0 :: v_dual_add_nc_u32 v3, v3, v4
	s_wait_xcnt 0x0
	s_delay_alu instid0(VALU_DEP_1)
	v_cmpx_lt_i32_e64 v3, v1
	s_cbranch_execz .LBB3_13
; %bb.10:                               ;   in Loop: Header=BB3_9 Depth=1
	v_mov_b32_e32 v0, 0
	s_mov_b32 s21, 0
.LBB3_11:                               ;   Parent Loop BB3_9 Depth=1
                                        ; =>  This Inner Loop Header: Depth=2
	s_clause 0x1
	global_load_b32 v9, v3, s[6:7] scale_offset
	global_load_b32 v10, v3, s[8:9] scale_offset
	s_wait_xcnt 0x0
	v_add_nc_u32_e32 v3, 16, v3
	s_wait_loadcnt 0x1
	global_load_b32 v9, v9, s[10:11] scale_offset
	s_wait_loadcnt 0x1
	v_mul_f32_e32 v10, s12, v10
	v_cmp_ge_i32_e32 vcc_lo, v3, v1
	s_or_b32 s21, vcc_lo, s21
	s_wait_loadcnt 0x0
	s_delay_alu instid0(VALU_DEP_2)
	v_fmac_f32_e32 v0, v10, v9
	s_wait_xcnt 0x0
	s_and_not1_b32 exec_lo, exec_lo, s21
	s_cbranch_execnz .LBB3_11
; %bb.12:                               ;   in Loop: Header=BB3_9 Depth=1
	s_or_b32 exec_lo, exec_lo, s21
.LBB3_13:                               ;   in Loop: Header=BB3_9 Depth=1
	s_delay_alu instid0(SALU_CYCLE_1)
	s_or_b32 exec_lo, exec_lo, s20
	ds_bpermute_b32 v1, v5, v0
	s_wait_dscnt 0x0
	v_dual_add_f32 v0, v0, v1 :: v_dual_ashrrev_i32 v3, 31, v2
	ds_bpermute_b32 v1, v6, v0
	s_wait_dscnt 0x0
	v_add_f32_e32 v0, v0, v1
	ds_bpermute_b32 v1, v7, v0
	s_wait_dscnt 0x0
	v_add_f32_e32 v0, v0, v1
	ds_bpermute_b32 v1, v8, v0
	s_and_saveexec_b32 s20, s0
	s_cbranch_execz .LBB3_8
; %bb.14:                               ;   in Loop: Header=BB3_9 Depth=1
	s_wait_dscnt 0x0
	v_add_f32_e32 v9, v0, v1
	v_lshl_add_u64 v[0:1], v[2:3], 2, s[18:19]
	s_and_not1_b32 vcc_lo, exec_lo, s3
	s_cbranch_vccnz .LBB3_7
; %bb.15:                               ;   in Loop: Header=BB3_9 Depth=1
	global_load_b32 v3, v[0:1], off
	s_wait_loadcnt 0x0
	v_fmac_f32_e32 v9, s16, v3
	s_branch .LBB3_7
.LBB3_16:
	s_endpgm
	.section	.rodata,"a",@progbits
	.p2align	6, 0x0
	.amdhsa_kernel _ZN9rocsparseL21csrmvn_general_kernelILj256ELj16EiiffffEEvbT2_NS_24const_host_device_scalarIT6_EEPKT1_S7_PKS1_PKT3_PKT4_S4_PT5_21rocsparse_index_base_b
		.amdhsa_group_segment_fixed_size 0
		.amdhsa_private_segment_fixed_size 0
		.amdhsa_kernarg_size 336
		.amdhsa_user_sgpr_count 2
		.amdhsa_user_sgpr_dispatch_ptr 0
		.amdhsa_user_sgpr_queue_ptr 0
		.amdhsa_user_sgpr_kernarg_segment_ptr 1
		.amdhsa_user_sgpr_dispatch_id 0
		.amdhsa_user_sgpr_kernarg_preload_length 0
		.amdhsa_user_sgpr_kernarg_preload_offset 0
		.amdhsa_user_sgpr_private_segment_size 0
		.amdhsa_wavefront_size32 1
		.amdhsa_uses_dynamic_stack 0
		.amdhsa_enable_private_segment 0
		.amdhsa_system_sgpr_workgroup_id_x 1
		.amdhsa_system_sgpr_workgroup_id_y 0
		.amdhsa_system_sgpr_workgroup_id_z 0
		.amdhsa_system_sgpr_workgroup_info 0
		.amdhsa_system_vgpr_workitem_id 0
		.amdhsa_next_free_vgpr 11
		.amdhsa_next_free_sgpr 22
		.amdhsa_named_barrier_count 0
		.amdhsa_reserve_vcc 1
		.amdhsa_float_round_mode_32 0
		.amdhsa_float_round_mode_16_64 0
		.amdhsa_float_denorm_mode_32 3
		.amdhsa_float_denorm_mode_16_64 3
		.amdhsa_fp16_overflow 0
		.amdhsa_memory_ordered 1
		.amdhsa_forward_progress 1
		.amdhsa_inst_pref_size 6
		.amdhsa_round_robin_scheduling 0
		.amdhsa_exception_fp_ieee_invalid_op 0
		.amdhsa_exception_fp_denorm_src 0
		.amdhsa_exception_fp_ieee_div_zero 0
		.amdhsa_exception_fp_ieee_overflow 0
		.amdhsa_exception_fp_ieee_underflow 0
		.amdhsa_exception_fp_ieee_inexact 0
		.amdhsa_exception_int_div_zero 0
	.end_amdhsa_kernel
	.section	.text._ZN9rocsparseL21csrmvn_general_kernelILj256ELj16EiiffffEEvbT2_NS_24const_host_device_scalarIT6_EEPKT1_S7_PKS1_PKT3_PKT4_S4_PT5_21rocsparse_index_base_b,"axG",@progbits,_ZN9rocsparseL21csrmvn_general_kernelILj256ELj16EiiffffEEvbT2_NS_24const_host_device_scalarIT6_EEPKT1_S7_PKS1_PKT3_PKT4_S4_PT5_21rocsparse_index_base_b,comdat
.Lfunc_end3:
	.size	_ZN9rocsparseL21csrmvn_general_kernelILj256ELj16EiiffffEEvbT2_NS_24const_host_device_scalarIT6_EEPKT1_S7_PKS1_PKT3_PKT4_S4_PT5_21rocsparse_index_base_b, .Lfunc_end3-_ZN9rocsparseL21csrmvn_general_kernelILj256ELj16EiiffffEEvbT2_NS_24const_host_device_scalarIT6_EEPKT1_S7_PKS1_PKT3_PKT4_S4_PT5_21rocsparse_index_base_b
                                        ; -- End function
	.set _ZN9rocsparseL21csrmvn_general_kernelILj256ELj16EiiffffEEvbT2_NS_24const_host_device_scalarIT6_EEPKT1_S7_PKS1_PKT3_PKT4_S4_PT5_21rocsparse_index_base_b.num_vgpr, 11
	.set _ZN9rocsparseL21csrmvn_general_kernelILj256ELj16EiiffffEEvbT2_NS_24const_host_device_scalarIT6_EEPKT1_S7_PKS1_PKT3_PKT4_S4_PT5_21rocsparse_index_base_b.num_agpr, 0
	.set _ZN9rocsparseL21csrmvn_general_kernelILj256ELj16EiiffffEEvbT2_NS_24const_host_device_scalarIT6_EEPKT1_S7_PKS1_PKT3_PKT4_S4_PT5_21rocsparse_index_base_b.numbered_sgpr, 22
	.set _ZN9rocsparseL21csrmvn_general_kernelILj256ELj16EiiffffEEvbT2_NS_24const_host_device_scalarIT6_EEPKT1_S7_PKS1_PKT3_PKT4_S4_PT5_21rocsparse_index_base_b.num_named_barrier, 0
	.set _ZN9rocsparseL21csrmvn_general_kernelILj256ELj16EiiffffEEvbT2_NS_24const_host_device_scalarIT6_EEPKT1_S7_PKS1_PKT3_PKT4_S4_PT5_21rocsparse_index_base_b.private_seg_size, 0
	.set _ZN9rocsparseL21csrmvn_general_kernelILj256ELj16EiiffffEEvbT2_NS_24const_host_device_scalarIT6_EEPKT1_S7_PKS1_PKT3_PKT4_S4_PT5_21rocsparse_index_base_b.uses_vcc, 1
	.set _ZN9rocsparseL21csrmvn_general_kernelILj256ELj16EiiffffEEvbT2_NS_24const_host_device_scalarIT6_EEPKT1_S7_PKS1_PKT3_PKT4_S4_PT5_21rocsparse_index_base_b.uses_flat_scratch, 0
	.set _ZN9rocsparseL21csrmvn_general_kernelILj256ELj16EiiffffEEvbT2_NS_24const_host_device_scalarIT6_EEPKT1_S7_PKS1_PKT3_PKT4_S4_PT5_21rocsparse_index_base_b.has_dyn_sized_stack, 0
	.set _ZN9rocsparseL21csrmvn_general_kernelILj256ELj16EiiffffEEvbT2_NS_24const_host_device_scalarIT6_EEPKT1_S7_PKS1_PKT3_PKT4_S4_PT5_21rocsparse_index_base_b.has_recursion, 0
	.set _ZN9rocsparseL21csrmvn_general_kernelILj256ELj16EiiffffEEvbT2_NS_24const_host_device_scalarIT6_EEPKT1_S7_PKS1_PKT3_PKT4_S4_PT5_21rocsparse_index_base_b.has_indirect_call, 0
	.section	.AMDGPU.csdata,"",@progbits
; Kernel info:
; codeLenInByte = 720
; TotalNumSgprs: 24
; NumVgprs: 11
; ScratchSize: 0
; MemoryBound: 0
; FloatMode: 240
; IeeeMode: 1
; LDSByteSize: 0 bytes/workgroup (compile time only)
; SGPRBlocks: 0
; VGPRBlocks: 0
; NumSGPRsForWavesPerEU: 24
; NumVGPRsForWavesPerEU: 11
; NamedBarCnt: 0
; Occupancy: 16
; WaveLimiterHint : 1
; COMPUTE_PGM_RSRC2:SCRATCH_EN: 0
; COMPUTE_PGM_RSRC2:USER_SGPR: 2
; COMPUTE_PGM_RSRC2:TRAP_HANDLER: 0
; COMPUTE_PGM_RSRC2:TGID_X_EN: 1
; COMPUTE_PGM_RSRC2:TGID_Y_EN: 0
; COMPUTE_PGM_RSRC2:TGID_Z_EN: 0
; COMPUTE_PGM_RSRC2:TIDIG_COMP_CNT: 0
	.section	.text._ZN9rocsparseL21csrmvn_general_kernelILj256ELj32EiiffffEEvbT2_NS_24const_host_device_scalarIT6_EEPKT1_S7_PKS1_PKT3_PKT4_S4_PT5_21rocsparse_index_base_b,"axG",@progbits,_ZN9rocsparseL21csrmvn_general_kernelILj256ELj32EiiffffEEvbT2_NS_24const_host_device_scalarIT6_EEPKT1_S7_PKS1_PKT3_PKT4_S4_PT5_21rocsparse_index_base_b,comdat
	.globl	_ZN9rocsparseL21csrmvn_general_kernelILj256ELj32EiiffffEEvbT2_NS_24const_host_device_scalarIT6_EEPKT1_S7_PKS1_PKT3_PKT4_S4_PT5_21rocsparse_index_base_b ; -- Begin function _ZN9rocsparseL21csrmvn_general_kernelILj256ELj32EiiffffEEvbT2_NS_24const_host_device_scalarIT6_EEPKT1_S7_PKS1_PKT3_PKT4_S4_PT5_21rocsparse_index_base_b
	.p2align	8
	.type	_ZN9rocsparseL21csrmvn_general_kernelILj256ELj32EiiffffEEvbT2_NS_24const_host_device_scalarIT6_EEPKT1_S7_PKS1_PKT3_PKT4_S4_PT5_21rocsparse_index_base_b,@function
_ZN9rocsparseL21csrmvn_general_kernelILj256ELj32EiiffffEEvbT2_NS_24const_host_device_scalarIT6_EEPKT1_S7_PKS1_PKT3_PKT4_S4_PT5_21rocsparse_index_base_b: ; @_ZN9rocsparseL21csrmvn_general_kernelILj256ELj32EiiffffEEvbT2_NS_24const_host_device_scalarIT6_EEPKT1_S7_PKS1_PKT3_PKT4_S4_PT5_21rocsparse_index_base_b
; %bb.0:
	s_clause 0x2
	s_load_b64 s[2:3], s[0:1], 0x48
	s_load_b128 s[12:15], s[0:1], 0x8
	s_load_b64 s[16:17], s[0:1], 0x38
	s_wait_kmcnt 0x0
	s_bitcmp1_b32 s3, 0
	s_cselect_b32 s3, -1, 0
	s_delay_alu instid0(SALU_CYCLE_1)
	s_and_b32 vcc_lo, exec_lo, s3
	s_xor_b32 s3, s3, -1
	s_cbranch_vccnz .LBB4_2
; %bb.1:
	s_load_b32 s12, s[12:13], 0x0
.LBB4_2:
	s_and_not1_b32 vcc_lo, exec_lo, s3
	s_cbranch_vccnz .LBB4_4
; %bb.3:
	s_load_b32 s16, s[16:17], 0x0
.LBB4_4:
	s_wait_kmcnt 0x0
	s_cmp_neq_f32 s12, 0
	s_cselect_b32 s3, -1, 0
	s_cmp_neq_f32 s16, 1.0
	s_cselect_b32 s4, -1, 0
	s_delay_alu instid0(SALU_CYCLE_1) | instskip(NEXT) | instid1(SALU_CYCLE_1)
	s_or_b32 s3, s3, s4
	s_and_not1_b32 vcc_lo, exec_lo, s3
	s_cbranch_vccnz .LBB4_16
; %bb.5:
	s_bfe_u32 s3, ttmp6, 0x4000c
	s_load_b32 s13, s[0:1], 0x4
	s_add_co_i32 s3, s3, 1
	s_and_b32 s4, ttmp6, 15
	s_mul_i32 s3, ttmp9, s3
	s_getreg_b32 s5, hwreg(HW_REG_IB_STS2, 6, 4)
	s_add_co_i32 s4, s4, s3
	s_cmp_eq_u32 s5, 0
	s_cselect_b32 s3, ttmp9, s4
	s_delay_alu instid0(SALU_CYCLE_1) | instskip(SKIP_1) | instid1(VALU_DEP_1)
	v_lshl_or_b32 v1, s3, 8, v0
	s_mov_b32 s3, exec_lo
	v_lshrrev_b32_e32 v2, 5, v1
	s_wait_kmcnt 0x0
	s_delay_alu instid0(VALU_DEP_1)
	v_cmpx_gt_i32_e64 s13, v2
	s_cbranch_execz .LBB4_16
; %bb.6:
	v_mbcnt_lo_u32_b32 v1, -1, 0
	s_clause 0x2
	s_load_b32 s17, s[0:1], 0x50
	s_load_b64 s[18:19], s[0:1], 0x40
	s_load_b256 s[4:11], s[0:1], 0x18
	s_ashr_i32 s3, s2, 31
	s_delay_alu instid0(SALU_CYCLE_1)
	s_lshl_b64 s[20:21], s[2:3], 2
	v_xor_b32_e32 v6, 4, v1
	v_xor_b32_e32 v3, 16, v1
	;; [unrolled: 1-line block ×5, first 2 shown]
	s_delay_alu instid0(VALU_DEP_4) | instskip(SKIP_1) | instid1(VALU_DEP_3)
	v_cmp_gt_i32_e32 vcc_lo, 32, v3
	v_dual_cndmask_b32 v3, v1, v3, vcc_lo :: v_dual_bitop2_b32 v0, 31, v0 bitop3:0x40
	v_cmp_gt_i32_e32 vcc_lo, 32, v5
	s_delay_alu instid0(VALU_DEP_2)
	v_subrev_nc_u32_e32 v4, s2, v0
	s_wait_kmcnt 0x0
	s_lshl_b32 s1, s17, 3
	s_cmp_neq_f32 s16, 0
	v_cmp_eq_u32_e64 s0, 31, v0
	v_dual_cndmask_b32 v9, v1, v5, vcc_lo :: v_dual_lshlrev_b32 v5, 2, v3
	v_cmp_gt_i32_e32 vcc_lo, 32, v6
	s_cselect_b32 s3, -1, 0
	s_sub_nc_u64 s[10:11], s[10:11], s[20:21]
	s_mov_b32 s17, 0
	v_cndmask_b32_e32 v10, v1, v6, vcc_lo
	v_cmp_gt_i32_e32 vcc_lo, 32, v7
	s_delay_alu instid0(VALU_DEP_2) | instskip(SKIP_1) | instid1(VALU_DEP_2)
	v_dual_cndmask_b32 v3, v1, v7, vcc_lo :: v_dual_lshlrev_b32 v7, 2, v10
	v_cmp_gt_i32_e32 vcc_lo, 32, v8
	v_dual_cndmask_b32 v1, v1, v8 :: v_dual_lshlrev_b32 v8, 2, v3
	v_lshlrev_b32_e32 v6, 2, v9
	s_delay_alu instid0(VALU_DEP_2)
	v_lshlrev_b32_e32 v9, 2, v1
	s_branch .LBB4_9
.LBB4_7:                                ;   in Loop: Header=BB4_9 Depth=1
	global_store_b32 v[0:1], v10, off
.LBB4_8:                                ;   in Loop: Header=BB4_9 Depth=1
	s_wait_xcnt 0x0
	s_or_b32 exec_lo, exec_lo, s20
	v_add_nc_u32_e32 v2, s1, v2
	s_delay_alu instid0(VALU_DEP_1) | instskip(SKIP_1) | instid1(SALU_CYCLE_1)
	v_cmp_le_i32_e32 vcc_lo, s13, v2
	s_or_b32 s17, vcc_lo, s17
	s_and_not1_b32 exec_lo, exec_lo, s17
	s_cbranch_execz .LBB4_16
.LBB4_9:                                ; =>This Loop Header: Depth=1
                                        ;     Child Loop BB4_11 Depth 2
	s_clause 0x1
	global_load_b32 v0, v2, s[4:5] scale_offset
	global_load_b32 v3, v2, s[14:15] scale_offset
	s_mov_b32 s20, exec_lo
	s_wait_loadcnt_dscnt 0x100
	v_subrev_nc_u32_e32 v1, s2, v0
	s_wait_loadcnt 0x0
	v_dual_mov_b32 v0, 0 :: v_dual_add_nc_u32 v3, v3, v4
	s_wait_xcnt 0x0
	s_delay_alu instid0(VALU_DEP_1)
	v_cmpx_lt_i32_e64 v3, v1
	s_cbranch_execz .LBB4_13
; %bb.10:                               ;   in Loop: Header=BB4_9 Depth=1
	v_mov_b32_e32 v0, 0
	s_mov_b32 s21, 0
.LBB4_11:                               ;   Parent Loop BB4_9 Depth=1
                                        ; =>  This Inner Loop Header: Depth=2
	s_clause 0x1
	global_load_b32 v10, v3, s[6:7] scale_offset
	global_load_b32 v11, v3, s[8:9] scale_offset
	s_wait_loadcnt 0x1
	global_load_b32 v10, v10, s[10:11] scale_offset
	s_wait_loadcnt 0x1
	v_mul_f32_e32 v11, s12, v11
	s_wait_loadcnt 0x0
	s_wait_xcnt 0x1
	s_delay_alu instid0(VALU_DEP_1) | instskip(NEXT) | instid1(VALU_DEP_1)
	v_dual_fmac_f32 v0, v11, v10 :: v_dual_add_nc_u32 v3, 32, v3
	v_cmp_ge_i32_e32 vcc_lo, v3, v1
	s_or_b32 s21, vcc_lo, s21
	s_wait_xcnt 0x0
	s_and_not1_b32 exec_lo, exec_lo, s21
	s_cbranch_execnz .LBB4_11
; %bb.12:                               ;   in Loop: Header=BB4_9 Depth=1
	s_or_b32 exec_lo, exec_lo, s21
.LBB4_13:                               ;   in Loop: Header=BB4_9 Depth=1
	s_delay_alu instid0(SALU_CYCLE_1)
	s_or_b32 exec_lo, exec_lo, s20
	ds_bpermute_b32 v1, v5, v0
	s_wait_dscnt 0x0
	v_dual_add_f32 v0, v0, v1 :: v_dual_ashrrev_i32 v3, 31, v2
	ds_bpermute_b32 v1, v6, v0
	s_wait_dscnt 0x0
	v_add_f32_e32 v0, v0, v1
	ds_bpermute_b32 v1, v7, v0
	s_wait_dscnt 0x0
	v_add_f32_e32 v0, v0, v1
	ds_bpermute_b32 v1, v8, v0
	s_wait_dscnt 0x0
	v_add_f32_e32 v0, v0, v1
	ds_bpermute_b32 v1, v9, v0
	s_and_saveexec_b32 s20, s0
	s_cbranch_execz .LBB4_8
; %bb.14:                               ;   in Loop: Header=BB4_9 Depth=1
	s_wait_dscnt 0x0
	v_add_f32_e32 v10, v0, v1
	v_lshl_add_u64 v[0:1], v[2:3], 2, s[18:19]
	s_and_not1_b32 vcc_lo, exec_lo, s3
	s_cbranch_vccnz .LBB4_7
; %bb.15:                               ;   in Loop: Header=BB4_9 Depth=1
	global_load_b32 v3, v[0:1], off
	s_wait_loadcnt 0x0
	v_fmac_f32_e32 v10, s16, v3
	s_branch .LBB4_7
.LBB4_16:
	s_endpgm
	.section	.rodata,"a",@progbits
	.p2align	6, 0x0
	.amdhsa_kernel _ZN9rocsparseL21csrmvn_general_kernelILj256ELj32EiiffffEEvbT2_NS_24const_host_device_scalarIT6_EEPKT1_S7_PKS1_PKT3_PKT4_S4_PT5_21rocsparse_index_base_b
		.amdhsa_group_segment_fixed_size 0
		.amdhsa_private_segment_fixed_size 0
		.amdhsa_kernarg_size 336
		.amdhsa_user_sgpr_count 2
		.amdhsa_user_sgpr_dispatch_ptr 0
		.amdhsa_user_sgpr_queue_ptr 0
		.amdhsa_user_sgpr_kernarg_segment_ptr 1
		.amdhsa_user_sgpr_dispatch_id 0
		.amdhsa_user_sgpr_kernarg_preload_length 0
		.amdhsa_user_sgpr_kernarg_preload_offset 0
		.amdhsa_user_sgpr_private_segment_size 0
		.amdhsa_wavefront_size32 1
		.amdhsa_uses_dynamic_stack 0
		.amdhsa_enable_private_segment 0
		.amdhsa_system_sgpr_workgroup_id_x 1
		.amdhsa_system_sgpr_workgroup_id_y 0
		.amdhsa_system_sgpr_workgroup_id_z 0
		.amdhsa_system_sgpr_workgroup_info 0
		.amdhsa_system_vgpr_workitem_id 0
		.amdhsa_next_free_vgpr 12
		.amdhsa_next_free_sgpr 22
		.amdhsa_named_barrier_count 0
		.amdhsa_reserve_vcc 1
		.amdhsa_float_round_mode_32 0
		.amdhsa_float_round_mode_16_64 0
		.amdhsa_float_denorm_mode_32 3
		.amdhsa_float_denorm_mode_16_64 3
		.amdhsa_fp16_overflow 0
		.amdhsa_memory_ordered 1
		.amdhsa_forward_progress 1
		.amdhsa_inst_pref_size 6
		.amdhsa_round_robin_scheduling 0
		.amdhsa_exception_fp_ieee_invalid_op 0
		.amdhsa_exception_fp_denorm_src 0
		.amdhsa_exception_fp_ieee_div_zero 0
		.amdhsa_exception_fp_ieee_overflow 0
		.amdhsa_exception_fp_ieee_underflow 0
		.amdhsa_exception_fp_ieee_inexact 0
		.amdhsa_exception_int_div_zero 0
	.end_amdhsa_kernel
	.section	.text._ZN9rocsparseL21csrmvn_general_kernelILj256ELj32EiiffffEEvbT2_NS_24const_host_device_scalarIT6_EEPKT1_S7_PKS1_PKT3_PKT4_S4_PT5_21rocsparse_index_base_b,"axG",@progbits,_ZN9rocsparseL21csrmvn_general_kernelILj256ELj32EiiffffEEvbT2_NS_24const_host_device_scalarIT6_EEPKT1_S7_PKS1_PKT3_PKT4_S4_PT5_21rocsparse_index_base_b,comdat
.Lfunc_end4:
	.size	_ZN9rocsparseL21csrmvn_general_kernelILj256ELj32EiiffffEEvbT2_NS_24const_host_device_scalarIT6_EEPKT1_S7_PKS1_PKT3_PKT4_S4_PT5_21rocsparse_index_base_b, .Lfunc_end4-_ZN9rocsparseL21csrmvn_general_kernelILj256ELj32EiiffffEEvbT2_NS_24const_host_device_scalarIT6_EEPKT1_S7_PKS1_PKT3_PKT4_S4_PT5_21rocsparse_index_base_b
                                        ; -- End function
	.set _ZN9rocsparseL21csrmvn_general_kernelILj256ELj32EiiffffEEvbT2_NS_24const_host_device_scalarIT6_EEPKT1_S7_PKS1_PKT3_PKT4_S4_PT5_21rocsparse_index_base_b.num_vgpr, 12
	.set _ZN9rocsparseL21csrmvn_general_kernelILj256ELj32EiiffffEEvbT2_NS_24const_host_device_scalarIT6_EEPKT1_S7_PKS1_PKT3_PKT4_S4_PT5_21rocsparse_index_base_b.num_agpr, 0
	.set _ZN9rocsparseL21csrmvn_general_kernelILj256ELj32EiiffffEEvbT2_NS_24const_host_device_scalarIT6_EEPKT1_S7_PKS1_PKT3_PKT4_S4_PT5_21rocsparse_index_base_b.numbered_sgpr, 22
	.set _ZN9rocsparseL21csrmvn_general_kernelILj256ELj32EiiffffEEvbT2_NS_24const_host_device_scalarIT6_EEPKT1_S7_PKS1_PKT3_PKT4_S4_PT5_21rocsparse_index_base_b.num_named_barrier, 0
	.set _ZN9rocsparseL21csrmvn_general_kernelILj256ELj32EiiffffEEvbT2_NS_24const_host_device_scalarIT6_EEPKT1_S7_PKS1_PKT3_PKT4_S4_PT5_21rocsparse_index_base_b.private_seg_size, 0
	.set _ZN9rocsparseL21csrmvn_general_kernelILj256ELj32EiiffffEEvbT2_NS_24const_host_device_scalarIT6_EEPKT1_S7_PKS1_PKT3_PKT4_S4_PT5_21rocsparse_index_base_b.uses_vcc, 1
	.set _ZN9rocsparseL21csrmvn_general_kernelILj256ELj32EiiffffEEvbT2_NS_24const_host_device_scalarIT6_EEPKT1_S7_PKS1_PKT3_PKT4_S4_PT5_21rocsparse_index_base_b.uses_flat_scratch, 0
	.set _ZN9rocsparseL21csrmvn_general_kernelILj256ELj32EiiffffEEvbT2_NS_24const_host_device_scalarIT6_EEPKT1_S7_PKS1_PKT3_PKT4_S4_PT5_21rocsparse_index_base_b.has_dyn_sized_stack, 0
	.set _ZN9rocsparseL21csrmvn_general_kernelILj256ELj32EiiffffEEvbT2_NS_24const_host_device_scalarIT6_EEPKT1_S7_PKS1_PKT3_PKT4_S4_PT5_21rocsparse_index_base_b.has_recursion, 0
	.set _ZN9rocsparseL21csrmvn_general_kernelILj256ELj32EiiffffEEvbT2_NS_24const_host_device_scalarIT6_EEPKT1_S7_PKS1_PKT3_PKT4_S4_PT5_21rocsparse_index_base_b.has_indirect_call, 0
	.section	.AMDGPU.csdata,"",@progbits
; Kernel info:
; codeLenInByte = 764
; TotalNumSgprs: 24
; NumVgprs: 12
; ScratchSize: 0
; MemoryBound: 0
; FloatMode: 240
; IeeeMode: 1
; LDSByteSize: 0 bytes/workgroup (compile time only)
; SGPRBlocks: 0
; VGPRBlocks: 0
; NumSGPRsForWavesPerEU: 24
; NumVGPRsForWavesPerEU: 12
; NamedBarCnt: 0
; Occupancy: 16
; WaveLimiterHint : 1
; COMPUTE_PGM_RSRC2:SCRATCH_EN: 0
; COMPUTE_PGM_RSRC2:USER_SGPR: 2
; COMPUTE_PGM_RSRC2:TRAP_HANDLER: 0
; COMPUTE_PGM_RSRC2:TGID_X_EN: 1
; COMPUTE_PGM_RSRC2:TGID_Y_EN: 0
; COMPUTE_PGM_RSRC2:TGID_Z_EN: 0
; COMPUTE_PGM_RSRC2:TIDIG_COMP_CNT: 0
	.section	.text._ZN9rocsparseL21csrmvn_general_kernelILj256ELj64EiiffffEEvbT2_NS_24const_host_device_scalarIT6_EEPKT1_S7_PKS1_PKT3_PKT4_S4_PT5_21rocsparse_index_base_b,"axG",@progbits,_ZN9rocsparseL21csrmvn_general_kernelILj256ELj64EiiffffEEvbT2_NS_24const_host_device_scalarIT6_EEPKT1_S7_PKS1_PKT3_PKT4_S4_PT5_21rocsparse_index_base_b,comdat
	.globl	_ZN9rocsparseL21csrmvn_general_kernelILj256ELj64EiiffffEEvbT2_NS_24const_host_device_scalarIT6_EEPKT1_S7_PKS1_PKT3_PKT4_S4_PT5_21rocsparse_index_base_b ; -- Begin function _ZN9rocsparseL21csrmvn_general_kernelILj256ELj64EiiffffEEvbT2_NS_24const_host_device_scalarIT6_EEPKT1_S7_PKS1_PKT3_PKT4_S4_PT5_21rocsparse_index_base_b
	.p2align	8
	.type	_ZN9rocsparseL21csrmvn_general_kernelILj256ELj64EiiffffEEvbT2_NS_24const_host_device_scalarIT6_EEPKT1_S7_PKS1_PKT3_PKT4_S4_PT5_21rocsparse_index_base_b,@function
_ZN9rocsparseL21csrmvn_general_kernelILj256ELj64EiiffffEEvbT2_NS_24const_host_device_scalarIT6_EEPKT1_S7_PKS1_PKT3_PKT4_S4_PT5_21rocsparse_index_base_b: ; @_ZN9rocsparseL21csrmvn_general_kernelILj256ELj64EiiffffEEvbT2_NS_24const_host_device_scalarIT6_EEPKT1_S7_PKS1_PKT3_PKT4_S4_PT5_21rocsparse_index_base_b
; %bb.0:
	s_clause 0x2
	s_load_b64 s[2:3], s[0:1], 0x48
	s_load_b128 s[12:15], s[0:1], 0x8
	s_load_b64 s[16:17], s[0:1], 0x38
	s_wait_kmcnt 0x0
	s_bitcmp1_b32 s3, 0
	s_cselect_b32 s3, -1, 0
	s_delay_alu instid0(SALU_CYCLE_1)
	s_and_b32 vcc_lo, exec_lo, s3
	s_xor_b32 s3, s3, -1
	s_cbranch_vccnz .LBB5_2
; %bb.1:
	s_load_b32 s12, s[12:13], 0x0
.LBB5_2:
	s_and_not1_b32 vcc_lo, exec_lo, s3
	s_cbranch_vccnz .LBB5_4
; %bb.3:
	s_load_b32 s16, s[16:17], 0x0
.LBB5_4:
	s_wait_kmcnt 0x0
	s_cmp_neq_f32 s12, 0
	s_cselect_b32 s3, -1, 0
	s_cmp_neq_f32 s16, 1.0
	s_cselect_b32 s4, -1, 0
	s_delay_alu instid0(SALU_CYCLE_1) | instskip(NEXT) | instid1(SALU_CYCLE_1)
	s_or_b32 s3, s3, s4
	s_and_not1_b32 vcc_lo, exec_lo, s3
	s_cbranch_vccnz .LBB5_16
; %bb.5:
	s_bfe_u32 s3, ttmp6, 0x4000c
	s_load_b32 s13, s[0:1], 0x4
	s_add_co_i32 s3, s3, 1
	s_and_b32 s4, ttmp6, 15
	s_mul_i32 s3, ttmp9, s3
	s_getreg_b32 s5, hwreg(HW_REG_IB_STS2, 6, 4)
	s_add_co_i32 s4, s4, s3
	s_cmp_eq_u32 s5, 0
	s_cselect_b32 s3, ttmp9, s4
	s_delay_alu instid0(SALU_CYCLE_1) | instskip(SKIP_1) | instid1(VALU_DEP_1)
	v_lshl_or_b32 v1, s3, 8, v0
	s_mov_b32 s3, exec_lo
	v_lshrrev_b32_e32 v2, 6, v1
	s_wait_kmcnt 0x0
	s_delay_alu instid0(VALU_DEP_1)
	v_cmpx_gt_i32_e64 s13, v2
	s_cbranch_execz .LBB5_16
; %bb.6:
	v_mbcnt_lo_u32_b32 v1, -1, 0
	s_clause 0x2
	s_load_b32 s17, s[0:1], 0x50
	s_load_b64 s[18:19], s[0:1], 0x40
	s_load_b256 s[4:11], s[0:1], 0x18
	s_ashr_i32 s3, s2, 31
	s_delay_alu instid0(SALU_CYCLE_1) | instskip(SKIP_4) | instid1(VALU_DEP_4)
	s_lshl_b64 s[20:21], s[2:3], 2
	v_or_b32_e32 v3, 32, v1
	v_xor_b32_e32 v8, 4, v1
	v_xor_b32_e32 v7, 8, v1
	;; [unrolled: 1-line block ×3, first 2 shown]
	v_cmp_gt_i32_e32 vcc_lo, 32, v3
	v_dual_cndmask_b32 v3, v1, v3, vcc_lo :: v_dual_bitop2_b32 v0, 63, v0 bitop3:0x40
	s_delay_alu instid0(VALU_DEP_3) | instskip(NEXT) | instid1(VALU_DEP_2)
	v_cmp_gt_i32_e32 vcc_lo, 32, v5
	v_subrev_nc_u32_e32 v4, s2, v0
	s_wait_xcnt 0x0
	v_cmp_eq_u32_e64 s0, 63, v0
	s_wait_kmcnt 0x0
	s_lshl_b32 s1, s17, 2
	v_dual_cndmask_b32 v6, v1, v5 :: v_dual_lshlrev_b32 v5, 2, v3
	v_cmp_gt_i32_e32 vcc_lo, 32, v7
	s_cmp_neq_f32 s16, 0
	s_sub_nc_u64 s[10:11], s[10:11], s[20:21]
	s_delay_alu instid0(VALU_DEP_2)
	v_lshlrev_b32_e32 v6, 2, v6
	s_mov_b32 s17, 0
	v_dual_cndmask_b32 v3, v1, v7, vcc_lo :: v_dual_bitop2_b32 v9, 2, v1 bitop3:0x14
	v_cmp_gt_i32_e32 vcc_lo, 32, v8
	s_cselect_b32 s3, -1, 0
	v_dual_cndmask_b32 v8, v1, v8, vcc_lo :: v_dual_bitop2_b32 v7, 1, v1 bitop3:0x14
	s_delay_alu instid0(VALU_DEP_3) | instskip(NEXT) | instid1(VALU_DEP_2)
	v_cmp_gt_i32_e32 vcc_lo, 32, v9
	v_dual_cndmask_b32 v9, v1, v9 :: v_dual_lshlrev_b32 v8, 2, v8
	s_delay_alu instid0(VALU_DEP_3) | instskip(NEXT) | instid1(VALU_DEP_2)
	v_cmp_gt_i32_e32 vcc_lo, 32, v7
	v_dual_lshlrev_b32 v9, 2, v9 :: v_dual_cndmask_b32 v1, v1, v7, vcc_lo
	s_delay_alu instid0(VALU_DEP_1)
	v_dual_lshlrev_b32 v7, 2, v3 :: v_dual_lshlrev_b32 v10, 2, v1
	s_branch .LBB5_9
.LBB5_7:                                ;   in Loop: Header=BB5_9 Depth=1
	global_store_b32 v[0:1], v11, off
.LBB5_8:                                ;   in Loop: Header=BB5_9 Depth=1
	s_wait_xcnt 0x0
	s_or_b32 exec_lo, exec_lo, s20
	v_add_nc_u32_e32 v2, s1, v2
	s_delay_alu instid0(VALU_DEP_1) | instskip(SKIP_1) | instid1(SALU_CYCLE_1)
	v_cmp_le_i32_e32 vcc_lo, s13, v2
	s_or_b32 s17, vcc_lo, s17
	s_and_not1_b32 exec_lo, exec_lo, s17
	s_cbranch_execz .LBB5_16
.LBB5_9:                                ; =>This Loop Header: Depth=1
                                        ;     Child Loop BB5_11 Depth 2
	s_clause 0x1
	global_load_b32 v0, v2, s[4:5] scale_offset
	global_load_b32 v3, v2, s[14:15] scale_offset
	s_mov_b32 s20, exec_lo
	s_wait_loadcnt_dscnt 0x100
	v_subrev_nc_u32_e32 v1, s2, v0
	s_wait_loadcnt 0x0
	v_dual_mov_b32 v0, 0 :: v_dual_add_nc_u32 v3, v3, v4
	s_wait_xcnt 0x0
	s_delay_alu instid0(VALU_DEP_1)
	v_cmpx_lt_i32_e64 v3, v1
	s_cbranch_execz .LBB5_13
; %bb.10:                               ;   in Loop: Header=BB5_9 Depth=1
	v_mov_b32_e32 v0, 0
	s_mov_b32 s21, 0
.LBB5_11:                               ;   Parent Loop BB5_9 Depth=1
                                        ; =>  This Inner Loop Header: Depth=2
	s_clause 0x1
	global_load_b32 v11, v3, s[6:7] scale_offset
	global_load_b32 v12, v3, s[8:9] scale_offset
	s_wait_xcnt 0x0
	v_add_nc_u32_e32 v3, 64, v3
	s_wait_loadcnt 0x1
	global_load_b32 v11, v11, s[10:11] scale_offset
	s_wait_loadcnt 0x1
	v_mul_f32_e32 v12, s12, v12
	v_cmp_ge_i32_e32 vcc_lo, v3, v1
	s_or_b32 s21, vcc_lo, s21
	s_wait_loadcnt 0x0
	s_delay_alu instid0(VALU_DEP_2)
	v_fmac_f32_e32 v0, v12, v11
	s_wait_xcnt 0x0
	s_and_not1_b32 exec_lo, exec_lo, s21
	s_cbranch_execnz .LBB5_11
; %bb.12:                               ;   in Loop: Header=BB5_9 Depth=1
	s_or_b32 exec_lo, exec_lo, s21
.LBB5_13:                               ;   in Loop: Header=BB5_9 Depth=1
	s_delay_alu instid0(SALU_CYCLE_1)
	s_or_b32 exec_lo, exec_lo, s20
	ds_bpermute_b32 v1, v5, v0
	s_wait_dscnt 0x0
	v_dual_add_f32 v0, v0, v1 :: v_dual_ashrrev_i32 v3, 31, v2
	ds_bpermute_b32 v1, v6, v0
	s_wait_dscnt 0x0
	v_add_f32_e32 v0, v0, v1
	ds_bpermute_b32 v1, v7, v0
	s_wait_dscnt 0x0
	v_add_f32_e32 v0, v0, v1
	;; [unrolled: 3-line block ×4, first 2 shown]
	ds_bpermute_b32 v1, v10, v0
	s_and_saveexec_b32 s20, s0
	s_cbranch_execz .LBB5_8
; %bb.14:                               ;   in Loop: Header=BB5_9 Depth=1
	s_wait_dscnt 0x0
	v_add_f32_e32 v11, v0, v1
	v_lshl_add_u64 v[0:1], v[2:3], 2, s[18:19]
	s_and_not1_b32 vcc_lo, exec_lo, s3
	s_cbranch_vccnz .LBB5_7
; %bb.15:                               ;   in Loop: Header=BB5_9 Depth=1
	global_load_b32 v3, v[0:1], off
	s_wait_loadcnt 0x0
	v_fmac_f32_e32 v11, s16, v3
	s_branch .LBB5_7
.LBB5_16:
	s_endpgm
	.section	.rodata,"a",@progbits
	.p2align	6, 0x0
	.amdhsa_kernel _ZN9rocsparseL21csrmvn_general_kernelILj256ELj64EiiffffEEvbT2_NS_24const_host_device_scalarIT6_EEPKT1_S7_PKS1_PKT3_PKT4_S4_PT5_21rocsparse_index_base_b
		.amdhsa_group_segment_fixed_size 0
		.amdhsa_private_segment_fixed_size 0
		.amdhsa_kernarg_size 336
		.amdhsa_user_sgpr_count 2
		.amdhsa_user_sgpr_dispatch_ptr 0
		.amdhsa_user_sgpr_queue_ptr 0
		.amdhsa_user_sgpr_kernarg_segment_ptr 1
		.amdhsa_user_sgpr_dispatch_id 0
		.amdhsa_user_sgpr_kernarg_preload_length 0
		.amdhsa_user_sgpr_kernarg_preload_offset 0
		.amdhsa_user_sgpr_private_segment_size 0
		.amdhsa_wavefront_size32 1
		.amdhsa_uses_dynamic_stack 0
		.amdhsa_enable_private_segment 0
		.amdhsa_system_sgpr_workgroup_id_x 1
		.amdhsa_system_sgpr_workgroup_id_y 0
		.amdhsa_system_sgpr_workgroup_id_z 0
		.amdhsa_system_sgpr_workgroup_info 0
		.amdhsa_system_vgpr_workitem_id 0
		.amdhsa_next_free_vgpr 13
		.amdhsa_next_free_sgpr 22
		.amdhsa_named_barrier_count 0
		.amdhsa_reserve_vcc 1
		.amdhsa_float_round_mode_32 0
		.amdhsa_float_round_mode_16_64 0
		.amdhsa_float_denorm_mode_32 3
		.amdhsa_float_denorm_mode_16_64 3
		.amdhsa_fp16_overflow 0
		.amdhsa_memory_ordered 1
		.amdhsa_forward_progress 1
		.amdhsa_inst_pref_size 7
		.amdhsa_round_robin_scheduling 0
		.amdhsa_exception_fp_ieee_invalid_op 0
		.amdhsa_exception_fp_denorm_src 0
		.amdhsa_exception_fp_ieee_div_zero 0
		.amdhsa_exception_fp_ieee_overflow 0
		.amdhsa_exception_fp_ieee_underflow 0
		.amdhsa_exception_fp_ieee_inexact 0
		.amdhsa_exception_int_div_zero 0
	.end_amdhsa_kernel
	.section	.text._ZN9rocsparseL21csrmvn_general_kernelILj256ELj64EiiffffEEvbT2_NS_24const_host_device_scalarIT6_EEPKT1_S7_PKS1_PKT3_PKT4_S4_PT5_21rocsparse_index_base_b,"axG",@progbits,_ZN9rocsparseL21csrmvn_general_kernelILj256ELj64EiiffffEEvbT2_NS_24const_host_device_scalarIT6_EEPKT1_S7_PKS1_PKT3_PKT4_S4_PT5_21rocsparse_index_base_b,comdat
.Lfunc_end5:
	.size	_ZN9rocsparseL21csrmvn_general_kernelILj256ELj64EiiffffEEvbT2_NS_24const_host_device_scalarIT6_EEPKT1_S7_PKS1_PKT3_PKT4_S4_PT5_21rocsparse_index_base_b, .Lfunc_end5-_ZN9rocsparseL21csrmvn_general_kernelILj256ELj64EiiffffEEvbT2_NS_24const_host_device_scalarIT6_EEPKT1_S7_PKS1_PKT3_PKT4_S4_PT5_21rocsparse_index_base_b
                                        ; -- End function
	.set _ZN9rocsparseL21csrmvn_general_kernelILj256ELj64EiiffffEEvbT2_NS_24const_host_device_scalarIT6_EEPKT1_S7_PKS1_PKT3_PKT4_S4_PT5_21rocsparse_index_base_b.num_vgpr, 13
	.set _ZN9rocsparseL21csrmvn_general_kernelILj256ELj64EiiffffEEvbT2_NS_24const_host_device_scalarIT6_EEPKT1_S7_PKS1_PKT3_PKT4_S4_PT5_21rocsparse_index_base_b.num_agpr, 0
	.set _ZN9rocsparseL21csrmvn_general_kernelILj256ELj64EiiffffEEvbT2_NS_24const_host_device_scalarIT6_EEPKT1_S7_PKS1_PKT3_PKT4_S4_PT5_21rocsparse_index_base_b.numbered_sgpr, 22
	.set _ZN9rocsparseL21csrmvn_general_kernelILj256ELj64EiiffffEEvbT2_NS_24const_host_device_scalarIT6_EEPKT1_S7_PKS1_PKT3_PKT4_S4_PT5_21rocsparse_index_base_b.num_named_barrier, 0
	.set _ZN9rocsparseL21csrmvn_general_kernelILj256ELj64EiiffffEEvbT2_NS_24const_host_device_scalarIT6_EEPKT1_S7_PKS1_PKT3_PKT4_S4_PT5_21rocsparse_index_base_b.private_seg_size, 0
	.set _ZN9rocsparseL21csrmvn_general_kernelILj256ELj64EiiffffEEvbT2_NS_24const_host_device_scalarIT6_EEPKT1_S7_PKS1_PKT3_PKT4_S4_PT5_21rocsparse_index_base_b.uses_vcc, 1
	.set _ZN9rocsparseL21csrmvn_general_kernelILj256ELj64EiiffffEEvbT2_NS_24const_host_device_scalarIT6_EEPKT1_S7_PKS1_PKT3_PKT4_S4_PT5_21rocsparse_index_base_b.uses_flat_scratch, 0
	.set _ZN9rocsparseL21csrmvn_general_kernelILj256ELj64EiiffffEEvbT2_NS_24const_host_device_scalarIT6_EEPKT1_S7_PKS1_PKT3_PKT4_S4_PT5_21rocsparse_index_base_b.has_dyn_sized_stack, 0
	.set _ZN9rocsparseL21csrmvn_general_kernelILj256ELj64EiiffffEEvbT2_NS_24const_host_device_scalarIT6_EEPKT1_S7_PKS1_PKT3_PKT4_S4_PT5_21rocsparse_index_base_b.has_recursion, 0
	.set _ZN9rocsparseL21csrmvn_general_kernelILj256ELj64EiiffffEEvbT2_NS_24const_host_device_scalarIT6_EEPKT1_S7_PKS1_PKT3_PKT4_S4_PT5_21rocsparse_index_base_b.has_indirect_call, 0
	.section	.AMDGPU.csdata,"",@progbits
; Kernel info:
; codeLenInByte = 812
; TotalNumSgprs: 24
; NumVgprs: 13
; ScratchSize: 0
; MemoryBound: 0
; FloatMode: 240
; IeeeMode: 1
; LDSByteSize: 0 bytes/workgroup (compile time only)
; SGPRBlocks: 0
; VGPRBlocks: 0
; NumSGPRsForWavesPerEU: 24
; NumVGPRsForWavesPerEU: 13
; NamedBarCnt: 0
; Occupancy: 16
; WaveLimiterHint : 1
; COMPUTE_PGM_RSRC2:SCRATCH_EN: 0
; COMPUTE_PGM_RSRC2:USER_SGPR: 2
; COMPUTE_PGM_RSRC2:TRAP_HANDLER: 0
; COMPUTE_PGM_RSRC2:TGID_X_EN: 1
; COMPUTE_PGM_RSRC2:TGID_Y_EN: 0
; COMPUTE_PGM_RSRC2:TGID_Z_EN: 0
; COMPUTE_PGM_RSRC2:TIDIG_COMP_CNT: 0
	.section	.text._ZN9rocsparseL21csrmvt_general_kernelILj256ELj4EiiffffEEvbbT2_NS_24const_host_device_scalarIT6_EEPKT1_S7_PKS1_PKT3_PKT4_PT5_21rocsparse_index_base_b,"axG",@progbits,_ZN9rocsparseL21csrmvt_general_kernelILj256ELj4EiiffffEEvbbT2_NS_24const_host_device_scalarIT6_EEPKT1_S7_PKS1_PKT3_PKT4_PT5_21rocsparse_index_base_b,comdat
	.globl	_ZN9rocsparseL21csrmvt_general_kernelILj256ELj4EiiffffEEvbbT2_NS_24const_host_device_scalarIT6_EEPKT1_S7_PKS1_PKT3_PKT4_PT5_21rocsparse_index_base_b ; -- Begin function _ZN9rocsparseL21csrmvt_general_kernelILj256ELj4EiiffffEEvbbT2_NS_24const_host_device_scalarIT6_EEPKT1_S7_PKS1_PKT3_PKT4_PT5_21rocsparse_index_base_b
	.p2align	8
	.type	_ZN9rocsparseL21csrmvt_general_kernelILj256ELj4EiiffffEEvbbT2_NS_24const_host_device_scalarIT6_EEPKT1_S7_PKS1_PKT3_PKT4_PT5_21rocsparse_index_base_b,@function
_ZN9rocsparseL21csrmvt_general_kernelILj256ELj4EiiffffEEvbbT2_NS_24const_host_device_scalarIT6_EEPKT1_S7_PKS1_PKT3_PKT4_PT5_21rocsparse_index_base_b: ; @_ZN9rocsparseL21csrmvt_general_kernelILj256ELj4EiiffffEEvbbT2_NS_24const_host_device_scalarIT6_EEPKT1_S7_PKS1_PKT3_PKT4_PT5_21rocsparse_index_base_b
; %bb.0:
	s_clause 0x1
	s_load_b64 s[2:3], s[0:1], 0x40
	s_load_b128 s[12:15], s[0:1], 0x8
	s_wait_kmcnt 0x0
	s_bitcmp1_b32 s3, 0
	s_cselect_b32 s3, -1, 0
	s_delay_alu instid0(SALU_CYCLE_1)
	s_and_b32 vcc_lo, exec_lo, s3
	s_cbranch_vccnz .LBB6_2
; %bb.1:
	s_load_b32 s12, s[12:13], 0x0
.LBB6_2:
	s_wait_kmcnt 0x0
	s_cmp_eq_f32 s12, 0
	s_cbranch_scc1 .LBB6_20
; %bb.3:
	s_clause 0x3
	s_load_b64 s[16:17], s[0:1], 0x0
	s_load_b32 s3, s[0:1], 0x48
	s_load_b64 s[18:19], s[0:1], 0x38
	s_load_b256 s[4:11], s[0:1], 0x18
	s_wait_xcnt 0x0
	s_bfe_u32 s0, ttmp6, 0x4000c
	s_and_b32 s13, ttmp6, 15
	s_add_co_i32 s0, s0, 1
	s_getreg_b32 s20, hwreg(HW_REG_IB_STS2, 6, 4)
	s_mul_i32 s0, ttmp9, s0
	v_and_b32_e32 v3, 3, v0
	s_add_co_i32 s13, s13, s0
	s_wait_kmcnt 0x0
	s_and_b32 s16, s16, 1
	s_lshl_b32 s1, s3, 6
	s_cmp_eq_u32 s20, 0
	s_mov_b32 s3, -1
	s_cselect_b32 s0, ttmp9, s13
	s_cmp_eq_u32 s16, 0
	v_lshl_or_b32 v1, s0, 8, v0
	s_delay_alu instid0(VALU_DEP_1) | instskip(NEXT) | instid1(VALU_DEP_1)
	v_lshrrev_b32_e32 v2, 2, v1
	v_cmp_gt_i32_e64 s0, s17, v2
	s_cbranch_scc0 .LBB6_11
; %bb.4:
	s_and_saveexec_b32 s3, s0
	s_cbranch_execz .LBB6_10
; %bb.5:
	v_subrev_nc_u32_e32 v4, s2, v3
	v_mov_b32_e32 v0, v2
	s_mov_b32 s13, 0
	s_branch .LBB6_7
.LBB6_6:                                ;   in Loop: Header=BB6_7 Depth=1
	s_or_b32 exec_lo, exec_lo, s16
	v_add_nc_u32_e32 v0, s1, v0
	s_delay_alu instid0(VALU_DEP_1) | instskip(SKIP_1) | instid1(SALU_CYCLE_1)
	v_cmp_le_i32_e32 vcc_lo, s17, v0
	s_or_b32 s13, vcc_lo, s13
	s_and_not1_b32 exec_lo, exec_lo, s13
	s_cbranch_execz .LBB6_10
.LBB6_7:                                ; =>This Loop Header: Depth=1
                                        ;     Child Loop BB6_9 Depth 2
	s_clause 0x1
	global_load_b32 v1, v0, s[4:5] scale_offset
	global_load_b32 v6, v0, s[14:15] scale_offset
	s_mov_b32 s16, exec_lo
	s_wait_loadcnt 0x1
	v_subrev_nc_u32_e32 v5, s2, v1
	s_wait_loadcnt 0x0
	v_add_nc_u32_e32 v6, v6, v4
	s_wait_xcnt 0x0
	s_delay_alu instid0(VALU_DEP_1)
	v_cmpx_lt_i32_e64 v6, v5
	s_cbranch_execz .LBB6_6
; %bb.8:                                ;   in Loop: Header=BB6_7 Depth=1
	v_ashrrev_i32_e32 v1, 31, v0
	s_mov_b32 s20, 0
	s_delay_alu instid0(VALU_DEP_1)
	v_lshl_add_u64 v[8:9], v[0:1], 2, s[10:11]
	global_load_b32 v1, v[8:9], off
	s_wait_loadcnt 0x0
	v_mul_f32_e32 v1, s12, v1
.LBB6_9:                                ;   Parent Loop BB6_7 Depth=1
                                        ; =>  This Inner Loop Header: Depth=2
	s_clause 0x1
	global_load_b32 v7, v6, s[6:7] scale_offset
	global_load_b32 v8, v6, s[8:9] scale_offset
	s_wait_xcnt 0x0
	v_add_nc_u32_e32 v6, 4, v6
	s_delay_alu instid0(VALU_DEP_1)
	v_cmp_ge_i32_e32 vcc_lo, v6, v5
	s_or_b32 s20, vcc_lo, s20
	s_wait_loadcnt 0x1
	v_subrev_nc_u32_e32 v7, s2, v7
	s_wait_loadcnt 0x0
	v_mul_f32_e32 v8, v1, v8
	global_atomic_add_f32 v7, v8, s[18:19] scale_offset scope:SCOPE_DEV
	s_wait_xcnt 0x0
	s_and_not1_b32 exec_lo, exec_lo, s20
	s_cbranch_execnz .LBB6_9
	s_branch .LBB6_6
.LBB6_10:
	s_or_b32 exec_lo, exec_lo, s3
	s_mov_b32 s3, 0
.LBB6_11:
	s_delay_alu instid0(SALU_CYCLE_1)
	s_and_not1_b32 vcc_lo, exec_lo, s3
	s_cbranch_vccnz .LBB6_20
; %bb.12:
	s_and_saveexec_b32 s3, s0
	s_cbranch_execz .LBB6_20
; %bb.13:
	v_subrev_nc_u32_e32 v4, s2, v3
	s_mov_b32 s0, 0
	s_branch .LBB6_15
.LBB6_14:                               ;   in Loop: Header=BB6_15 Depth=1
	s_or_b32 exec_lo, exec_lo, s3
	v_add_nc_u32_e32 v2, s1, v2
	s_delay_alu instid0(VALU_DEP_1) | instskip(SKIP_1) | instid1(SALU_CYCLE_1)
	v_cmp_le_i32_e32 vcc_lo, s17, v2
	s_or_b32 s0, vcc_lo, s0
	s_and_not1_b32 exec_lo, exec_lo, s0
	s_cbranch_execz .LBB6_20
.LBB6_15:                               ; =>This Loop Header: Depth=1
                                        ;     Child Loop BB6_18 Depth 2
	s_clause 0x1
	global_load_b32 v0, v2, s[4:5] scale_offset
	global_load_b32 v1, v2, s[14:15] scale_offset
	s_mov_b32 s3, exec_lo
	s_wait_loadcnt 0x1
	v_subrev_nc_u32_e32 v5, s2, v0
	s_wait_loadcnt 0x0
	v_add_nc_u32_e32 v0, v1, v4
	s_wait_xcnt 0x0
	s_delay_alu instid0(VALU_DEP_1)
	v_cmpx_lt_i32_e64 v0, v5
	s_cbranch_execz .LBB6_14
; %bb.16:                               ;   in Loop: Header=BB6_15 Depth=1
	v_ashrrev_i32_e32 v3, 31, v2
	s_mov_b32 s13, 0
	s_delay_alu instid0(VALU_DEP_1)
	v_lshl_add_u64 v[6:7], v[2:3], 2, s[10:11]
	global_load_b32 v1, v[6:7], off
	s_wait_loadcnt 0x0
	v_mul_f32_e32 v3, s12, v1
	s_branch .LBB6_18
.LBB6_17:                               ;   in Loop: Header=BB6_18 Depth=2
	s_wait_xcnt 0x0
	s_or_b32 exec_lo, exec_lo, s16
	v_add_nc_u32_e32 v0, 4, v0
	s_delay_alu instid0(VALU_DEP_1) | instskip(SKIP_1) | instid1(SALU_CYCLE_1)
	v_cmp_ge_i32_e32 vcc_lo, v0, v5
	s_or_b32 s13, vcc_lo, s13
	s_and_not1_b32 exec_lo, exec_lo, s13
	s_cbranch_execz .LBB6_14
.LBB6_18:                               ;   Parent Loop BB6_15 Depth=1
                                        ; =>  This Inner Loop Header: Depth=2
	global_load_b32 v1, v0, s[6:7] scale_offset
	s_mov_b32 s16, exec_lo
	s_wait_loadcnt 0x0
	s_wait_xcnt 0x1
	v_subrev_nc_u32_e32 v6, s2, v1
	v_ashrrev_i32_e32 v1, 31, v0
	s_wait_xcnt 0x0
	s_delay_alu instid0(VALU_DEP_2)
	v_cmpx_ne_u32_e64 v6, v2
	s_cbranch_execz .LBB6_17
; %bb.19:                               ;   in Loop: Header=BB6_18 Depth=2
	s_delay_alu instid0(VALU_DEP_2)
	v_lshl_add_u64 v[8:9], v[0:1], 2, s[8:9]
	global_load_b32 v1, v[8:9], off
	s_wait_loadcnt 0x0
	v_mul_f32_e32 v1, v3, v1
	s_wait_xcnt 0x0
	global_atomic_add_f32 v6, v1, s[18:19] scale_offset scope:SCOPE_DEV
	s_branch .LBB6_17
.LBB6_20:
	s_endpgm
	.section	.rodata,"a",@progbits
	.p2align	6, 0x0
	.amdhsa_kernel _ZN9rocsparseL21csrmvt_general_kernelILj256ELj4EiiffffEEvbbT2_NS_24const_host_device_scalarIT6_EEPKT1_S7_PKS1_PKT3_PKT4_PT5_21rocsparse_index_base_b
		.amdhsa_group_segment_fixed_size 0
		.amdhsa_private_segment_fixed_size 0
		.amdhsa_kernarg_size 328
		.amdhsa_user_sgpr_count 2
		.amdhsa_user_sgpr_dispatch_ptr 0
		.amdhsa_user_sgpr_queue_ptr 0
		.amdhsa_user_sgpr_kernarg_segment_ptr 1
		.amdhsa_user_sgpr_dispatch_id 0
		.amdhsa_user_sgpr_kernarg_preload_length 0
		.amdhsa_user_sgpr_kernarg_preload_offset 0
		.amdhsa_user_sgpr_private_segment_size 0
		.amdhsa_wavefront_size32 1
		.amdhsa_uses_dynamic_stack 0
		.amdhsa_enable_private_segment 0
		.amdhsa_system_sgpr_workgroup_id_x 1
		.amdhsa_system_sgpr_workgroup_id_y 0
		.amdhsa_system_sgpr_workgroup_id_z 0
		.amdhsa_system_sgpr_workgroup_info 0
		.amdhsa_system_vgpr_workitem_id 0
		.amdhsa_next_free_vgpr 10
		.amdhsa_next_free_sgpr 21
		.amdhsa_named_barrier_count 0
		.amdhsa_reserve_vcc 1
		.amdhsa_float_round_mode_32 0
		.amdhsa_float_round_mode_16_64 0
		.amdhsa_float_denorm_mode_32 3
		.amdhsa_float_denorm_mode_16_64 3
		.amdhsa_fp16_overflow 0
		.amdhsa_memory_ordered 1
		.amdhsa_forward_progress 1
		.amdhsa_inst_pref_size 6
		.amdhsa_round_robin_scheduling 0
		.amdhsa_exception_fp_ieee_invalid_op 0
		.amdhsa_exception_fp_denorm_src 0
		.amdhsa_exception_fp_ieee_div_zero 0
		.amdhsa_exception_fp_ieee_overflow 0
		.amdhsa_exception_fp_ieee_underflow 0
		.amdhsa_exception_fp_ieee_inexact 0
		.amdhsa_exception_int_div_zero 0
	.end_amdhsa_kernel
	.section	.text._ZN9rocsparseL21csrmvt_general_kernelILj256ELj4EiiffffEEvbbT2_NS_24const_host_device_scalarIT6_EEPKT1_S7_PKS1_PKT3_PKT4_PT5_21rocsparse_index_base_b,"axG",@progbits,_ZN9rocsparseL21csrmvt_general_kernelILj256ELj4EiiffffEEvbbT2_NS_24const_host_device_scalarIT6_EEPKT1_S7_PKS1_PKT3_PKT4_PT5_21rocsparse_index_base_b,comdat
.Lfunc_end6:
	.size	_ZN9rocsparseL21csrmvt_general_kernelILj256ELj4EiiffffEEvbbT2_NS_24const_host_device_scalarIT6_EEPKT1_S7_PKS1_PKT3_PKT4_PT5_21rocsparse_index_base_b, .Lfunc_end6-_ZN9rocsparseL21csrmvt_general_kernelILj256ELj4EiiffffEEvbbT2_NS_24const_host_device_scalarIT6_EEPKT1_S7_PKS1_PKT3_PKT4_PT5_21rocsparse_index_base_b
                                        ; -- End function
	.set _ZN9rocsparseL21csrmvt_general_kernelILj256ELj4EiiffffEEvbbT2_NS_24const_host_device_scalarIT6_EEPKT1_S7_PKS1_PKT3_PKT4_PT5_21rocsparse_index_base_b.num_vgpr, 10
	.set _ZN9rocsparseL21csrmvt_general_kernelILj256ELj4EiiffffEEvbbT2_NS_24const_host_device_scalarIT6_EEPKT1_S7_PKS1_PKT3_PKT4_PT5_21rocsparse_index_base_b.num_agpr, 0
	.set _ZN9rocsparseL21csrmvt_general_kernelILj256ELj4EiiffffEEvbbT2_NS_24const_host_device_scalarIT6_EEPKT1_S7_PKS1_PKT3_PKT4_PT5_21rocsparse_index_base_b.numbered_sgpr, 21
	.set _ZN9rocsparseL21csrmvt_general_kernelILj256ELj4EiiffffEEvbbT2_NS_24const_host_device_scalarIT6_EEPKT1_S7_PKS1_PKT3_PKT4_PT5_21rocsparse_index_base_b.num_named_barrier, 0
	.set _ZN9rocsparseL21csrmvt_general_kernelILj256ELj4EiiffffEEvbbT2_NS_24const_host_device_scalarIT6_EEPKT1_S7_PKS1_PKT3_PKT4_PT5_21rocsparse_index_base_b.private_seg_size, 0
	.set _ZN9rocsparseL21csrmvt_general_kernelILj256ELj4EiiffffEEvbbT2_NS_24const_host_device_scalarIT6_EEPKT1_S7_PKS1_PKT3_PKT4_PT5_21rocsparse_index_base_b.uses_vcc, 1
	.set _ZN9rocsparseL21csrmvt_general_kernelILj256ELj4EiiffffEEvbbT2_NS_24const_host_device_scalarIT6_EEPKT1_S7_PKS1_PKT3_PKT4_PT5_21rocsparse_index_base_b.uses_flat_scratch, 0
	.set _ZN9rocsparseL21csrmvt_general_kernelILj256ELj4EiiffffEEvbbT2_NS_24const_host_device_scalarIT6_EEPKT1_S7_PKS1_PKT3_PKT4_PT5_21rocsparse_index_base_b.has_dyn_sized_stack, 0
	.set _ZN9rocsparseL21csrmvt_general_kernelILj256ELj4EiiffffEEvbbT2_NS_24const_host_device_scalarIT6_EEPKT1_S7_PKS1_PKT3_PKT4_PT5_21rocsparse_index_base_b.has_recursion, 0
	.set _ZN9rocsparseL21csrmvt_general_kernelILj256ELj4EiiffffEEvbbT2_NS_24const_host_device_scalarIT6_EEPKT1_S7_PKS1_PKT3_PKT4_PT5_21rocsparse_index_base_b.has_indirect_call, 0
	.section	.AMDGPU.csdata,"",@progbits
; Kernel info:
; codeLenInByte = 764
; TotalNumSgprs: 23
; NumVgprs: 10
; ScratchSize: 0
; MemoryBound: 0
; FloatMode: 240
; IeeeMode: 1
; LDSByteSize: 0 bytes/workgroup (compile time only)
; SGPRBlocks: 0
; VGPRBlocks: 0
; NumSGPRsForWavesPerEU: 23
; NumVGPRsForWavesPerEU: 10
; NamedBarCnt: 0
; Occupancy: 16
; WaveLimiterHint : 1
; COMPUTE_PGM_RSRC2:SCRATCH_EN: 0
; COMPUTE_PGM_RSRC2:USER_SGPR: 2
; COMPUTE_PGM_RSRC2:TRAP_HANDLER: 0
; COMPUTE_PGM_RSRC2:TGID_X_EN: 1
; COMPUTE_PGM_RSRC2:TGID_Y_EN: 0
; COMPUTE_PGM_RSRC2:TGID_Z_EN: 0
; COMPUTE_PGM_RSRC2:TIDIG_COMP_CNT: 0
	.section	.text._ZN9rocsparseL21csrmvt_general_kernelILj256ELj8EiiffffEEvbbT2_NS_24const_host_device_scalarIT6_EEPKT1_S7_PKS1_PKT3_PKT4_PT5_21rocsparse_index_base_b,"axG",@progbits,_ZN9rocsparseL21csrmvt_general_kernelILj256ELj8EiiffffEEvbbT2_NS_24const_host_device_scalarIT6_EEPKT1_S7_PKS1_PKT3_PKT4_PT5_21rocsparse_index_base_b,comdat
	.globl	_ZN9rocsparseL21csrmvt_general_kernelILj256ELj8EiiffffEEvbbT2_NS_24const_host_device_scalarIT6_EEPKT1_S7_PKS1_PKT3_PKT4_PT5_21rocsparse_index_base_b ; -- Begin function _ZN9rocsparseL21csrmvt_general_kernelILj256ELj8EiiffffEEvbbT2_NS_24const_host_device_scalarIT6_EEPKT1_S7_PKS1_PKT3_PKT4_PT5_21rocsparse_index_base_b
	.p2align	8
	.type	_ZN9rocsparseL21csrmvt_general_kernelILj256ELj8EiiffffEEvbbT2_NS_24const_host_device_scalarIT6_EEPKT1_S7_PKS1_PKT3_PKT4_PT5_21rocsparse_index_base_b,@function
_ZN9rocsparseL21csrmvt_general_kernelILj256ELj8EiiffffEEvbbT2_NS_24const_host_device_scalarIT6_EEPKT1_S7_PKS1_PKT3_PKT4_PT5_21rocsparse_index_base_b: ; @_ZN9rocsparseL21csrmvt_general_kernelILj256ELj8EiiffffEEvbbT2_NS_24const_host_device_scalarIT6_EEPKT1_S7_PKS1_PKT3_PKT4_PT5_21rocsparse_index_base_b
; %bb.0:
	s_clause 0x1
	s_load_b64 s[2:3], s[0:1], 0x40
	s_load_b128 s[12:15], s[0:1], 0x8
	s_wait_kmcnt 0x0
	s_bitcmp1_b32 s3, 0
	s_cselect_b32 s3, -1, 0
	s_delay_alu instid0(SALU_CYCLE_1)
	s_and_b32 vcc_lo, exec_lo, s3
	s_cbranch_vccnz .LBB7_2
; %bb.1:
	s_load_b32 s12, s[12:13], 0x0
.LBB7_2:
	s_wait_kmcnt 0x0
	s_cmp_eq_f32 s12, 0
	s_cbranch_scc1 .LBB7_20
; %bb.3:
	s_clause 0x3
	s_load_b64 s[16:17], s[0:1], 0x0
	s_load_b32 s3, s[0:1], 0x48
	s_load_b64 s[18:19], s[0:1], 0x38
	s_load_b256 s[4:11], s[0:1], 0x18
	s_wait_xcnt 0x0
	s_bfe_u32 s0, ttmp6, 0x4000c
	s_and_b32 s13, ttmp6, 15
	s_add_co_i32 s0, s0, 1
	s_getreg_b32 s20, hwreg(HW_REG_IB_STS2, 6, 4)
	s_mul_i32 s0, ttmp9, s0
	v_and_b32_e32 v3, 7, v0
	s_add_co_i32 s13, s13, s0
	s_wait_kmcnt 0x0
	s_and_b32 s16, s16, 1
	s_lshl_b32 s1, s3, 5
	s_cmp_eq_u32 s20, 0
	s_mov_b32 s3, -1
	s_cselect_b32 s0, ttmp9, s13
	s_cmp_eq_u32 s16, 0
	v_lshl_or_b32 v1, s0, 8, v0
	s_delay_alu instid0(VALU_DEP_1) | instskip(NEXT) | instid1(VALU_DEP_1)
	v_lshrrev_b32_e32 v2, 3, v1
	v_cmp_gt_i32_e64 s0, s17, v2
	s_cbranch_scc0 .LBB7_11
; %bb.4:
	s_and_saveexec_b32 s3, s0
	s_cbranch_execz .LBB7_10
; %bb.5:
	v_subrev_nc_u32_e32 v4, s2, v3
	v_mov_b32_e32 v0, v2
	s_mov_b32 s13, 0
	s_branch .LBB7_7
.LBB7_6:                                ;   in Loop: Header=BB7_7 Depth=1
	s_or_b32 exec_lo, exec_lo, s16
	v_add_nc_u32_e32 v0, s1, v0
	s_delay_alu instid0(VALU_DEP_1) | instskip(SKIP_1) | instid1(SALU_CYCLE_1)
	v_cmp_le_i32_e32 vcc_lo, s17, v0
	s_or_b32 s13, vcc_lo, s13
	s_and_not1_b32 exec_lo, exec_lo, s13
	s_cbranch_execz .LBB7_10
.LBB7_7:                                ; =>This Loop Header: Depth=1
                                        ;     Child Loop BB7_9 Depth 2
	s_clause 0x1
	global_load_b32 v1, v0, s[4:5] scale_offset
	global_load_b32 v6, v0, s[14:15] scale_offset
	s_mov_b32 s16, exec_lo
	s_wait_loadcnt 0x1
	v_subrev_nc_u32_e32 v5, s2, v1
	s_wait_loadcnt 0x0
	v_add_nc_u32_e32 v6, v6, v4
	s_wait_xcnt 0x0
	s_delay_alu instid0(VALU_DEP_1)
	v_cmpx_lt_i32_e64 v6, v5
	s_cbranch_execz .LBB7_6
; %bb.8:                                ;   in Loop: Header=BB7_7 Depth=1
	v_ashrrev_i32_e32 v1, 31, v0
	s_mov_b32 s20, 0
	s_delay_alu instid0(VALU_DEP_1)
	v_lshl_add_u64 v[8:9], v[0:1], 2, s[10:11]
	global_load_b32 v1, v[8:9], off
	s_wait_loadcnt 0x0
	v_mul_f32_e32 v1, s12, v1
.LBB7_9:                                ;   Parent Loop BB7_7 Depth=1
                                        ; =>  This Inner Loop Header: Depth=2
	s_clause 0x1
	global_load_b32 v7, v6, s[6:7] scale_offset
	global_load_b32 v8, v6, s[8:9] scale_offset
	s_wait_xcnt 0x0
	v_add_nc_u32_e32 v6, 8, v6
	s_delay_alu instid0(VALU_DEP_1)
	v_cmp_ge_i32_e32 vcc_lo, v6, v5
	s_or_b32 s20, vcc_lo, s20
	s_wait_loadcnt 0x1
	v_subrev_nc_u32_e32 v7, s2, v7
	s_wait_loadcnt 0x0
	v_mul_f32_e32 v8, v1, v8
	global_atomic_add_f32 v7, v8, s[18:19] scale_offset scope:SCOPE_DEV
	s_wait_xcnt 0x0
	s_and_not1_b32 exec_lo, exec_lo, s20
	s_cbranch_execnz .LBB7_9
	s_branch .LBB7_6
.LBB7_10:
	s_or_b32 exec_lo, exec_lo, s3
	s_mov_b32 s3, 0
.LBB7_11:
	s_delay_alu instid0(SALU_CYCLE_1)
	s_and_not1_b32 vcc_lo, exec_lo, s3
	s_cbranch_vccnz .LBB7_20
; %bb.12:
	s_and_saveexec_b32 s3, s0
	s_cbranch_execz .LBB7_20
; %bb.13:
	v_subrev_nc_u32_e32 v4, s2, v3
	s_mov_b32 s0, 0
	s_branch .LBB7_15
.LBB7_14:                               ;   in Loop: Header=BB7_15 Depth=1
	s_or_b32 exec_lo, exec_lo, s3
	v_add_nc_u32_e32 v2, s1, v2
	s_delay_alu instid0(VALU_DEP_1) | instskip(SKIP_1) | instid1(SALU_CYCLE_1)
	v_cmp_le_i32_e32 vcc_lo, s17, v2
	s_or_b32 s0, vcc_lo, s0
	s_and_not1_b32 exec_lo, exec_lo, s0
	s_cbranch_execz .LBB7_20
.LBB7_15:                               ; =>This Loop Header: Depth=1
                                        ;     Child Loop BB7_18 Depth 2
	s_clause 0x1
	global_load_b32 v0, v2, s[4:5] scale_offset
	global_load_b32 v1, v2, s[14:15] scale_offset
	s_mov_b32 s3, exec_lo
	s_wait_loadcnt 0x1
	v_subrev_nc_u32_e32 v5, s2, v0
	s_wait_loadcnt 0x0
	v_add_nc_u32_e32 v0, v1, v4
	s_wait_xcnt 0x0
	s_delay_alu instid0(VALU_DEP_1)
	v_cmpx_lt_i32_e64 v0, v5
	s_cbranch_execz .LBB7_14
; %bb.16:                               ;   in Loop: Header=BB7_15 Depth=1
	v_ashrrev_i32_e32 v3, 31, v2
	s_mov_b32 s13, 0
	s_delay_alu instid0(VALU_DEP_1)
	v_lshl_add_u64 v[6:7], v[2:3], 2, s[10:11]
	global_load_b32 v1, v[6:7], off
	s_wait_loadcnt 0x0
	v_mul_f32_e32 v3, s12, v1
	s_branch .LBB7_18
.LBB7_17:                               ;   in Loop: Header=BB7_18 Depth=2
	s_wait_xcnt 0x0
	s_or_b32 exec_lo, exec_lo, s16
	v_add_nc_u32_e32 v0, 8, v0
	s_delay_alu instid0(VALU_DEP_1) | instskip(SKIP_1) | instid1(SALU_CYCLE_1)
	v_cmp_ge_i32_e32 vcc_lo, v0, v5
	s_or_b32 s13, vcc_lo, s13
	s_and_not1_b32 exec_lo, exec_lo, s13
	s_cbranch_execz .LBB7_14
.LBB7_18:                               ;   Parent Loop BB7_15 Depth=1
                                        ; =>  This Inner Loop Header: Depth=2
	global_load_b32 v1, v0, s[6:7] scale_offset
	s_mov_b32 s16, exec_lo
	s_wait_loadcnt 0x0
	s_wait_xcnt 0x1
	v_subrev_nc_u32_e32 v6, s2, v1
	v_ashrrev_i32_e32 v1, 31, v0
	s_wait_xcnt 0x0
	s_delay_alu instid0(VALU_DEP_2)
	v_cmpx_ne_u32_e64 v6, v2
	s_cbranch_execz .LBB7_17
; %bb.19:                               ;   in Loop: Header=BB7_18 Depth=2
	s_delay_alu instid0(VALU_DEP_2)
	v_lshl_add_u64 v[8:9], v[0:1], 2, s[8:9]
	global_load_b32 v1, v[8:9], off
	s_wait_loadcnt 0x0
	v_mul_f32_e32 v1, v3, v1
	s_wait_xcnt 0x0
	global_atomic_add_f32 v6, v1, s[18:19] scale_offset scope:SCOPE_DEV
	s_branch .LBB7_17
.LBB7_20:
	s_endpgm
	.section	.rodata,"a",@progbits
	.p2align	6, 0x0
	.amdhsa_kernel _ZN9rocsparseL21csrmvt_general_kernelILj256ELj8EiiffffEEvbbT2_NS_24const_host_device_scalarIT6_EEPKT1_S7_PKS1_PKT3_PKT4_PT5_21rocsparse_index_base_b
		.amdhsa_group_segment_fixed_size 0
		.amdhsa_private_segment_fixed_size 0
		.amdhsa_kernarg_size 328
		.amdhsa_user_sgpr_count 2
		.amdhsa_user_sgpr_dispatch_ptr 0
		.amdhsa_user_sgpr_queue_ptr 0
		.amdhsa_user_sgpr_kernarg_segment_ptr 1
		.amdhsa_user_sgpr_dispatch_id 0
		.amdhsa_user_sgpr_kernarg_preload_length 0
		.amdhsa_user_sgpr_kernarg_preload_offset 0
		.amdhsa_user_sgpr_private_segment_size 0
		.amdhsa_wavefront_size32 1
		.amdhsa_uses_dynamic_stack 0
		.amdhsa_enable_private_segment 0
		.amdhsa_system_sgpr_workgroup_id_x 1
		.amdhsa_system_sgpr_workgroup_id_y 0
		.amdhsa_system_sgpr_workgroup_id_z 0
		.amdhsa_system_sgpr_workgroup_info 0
		.amdhsa_system_vgpr_workitem_id 0
		.amdhsa_next_free_vgpr 10
		.amdhsa_next_free_sgpr 21
		.amdhsa_named_barrier_count 0
		.amdhsa_reserve_vcc 1
		.amdhsa_float_round_mode_32 0
		.amdhsa_float_round_mode_16_64 0
		.amdhsa_float_denorm_mode_32 3
		.amdhsa_float_denorm_mode_16_64 3
		.amdhsa_fp16_overflow 0
		.amdhsa_memory_ordered 1
		.amdhsa_forward_progress 1
		.amdhsa_inst_pref_size 6
		.amdhsa_round_robin_scheduling 0
		.amdhsa_exception_fp_ieee_invalid_op 0
		.amdhsa_exception_fp_denorm_src 0
		.amdhsa_exception_fp_ieee_div_zero 0
		.amdhsa_exception_fp_ieee_overflow 0
		.amdhsa_exception_fp_ieee_underflow 0
		.amdhsa_exception_fp_ieee_inexact 0
		.amdhsa_exception_int_div_zero 0
	.end_amdhsa_kernel
	.section	.text._ZN9rocsparseL21csrmvt_general_kernelILj256ELj8EiiffffEEvbbT2_NS_24const_host_device_scalarIT6_EEPKT1_S7_PKS1_PKT3_PKT4_PT5_21rocsparse_index_base_b,"axG",@progbits,_ZN9rocsparseL21csrmvt_general_kernelILj256ELj8EiiffffEEvbbT2_NS_24const_host_device_scalarIT6_EEPKT1_S7_PKS1_PKT3_PKT4_PT5_21rocsparse_index_base_b,comdat
.Lfunc_end7:
	.size	_ZN9rocsparseL21csrmvt_general_kernelILj256ELj8EiiffffEEvbbT2_NS_24const_host_device_scalarIT6_EEPKT1_S7_PKS1_PKT3_PKT4_PT5_21rocsparse_index_base_b, .Lfunc_end7-_ZN9rocsparseL21csrmvt_general_kernelILj256ELj8EiiffffEEvbbT2_NS_24const_host_device_scalarIT6_EEPKT1_S7_PKS1_PKT3_PKT4_PT5_21rocsparse_index_base_b
                                        ; -- End function
	.set _ZN9rocsparseL21csrmvt_general_kernelILj256ELj8EiiffffEEvbbT2_NS_24const_host_device_scalarIT6_EEPKT1_S7_PKS1_PKT3_PKT4_PT5_21rocsparse_index_base_b.num_vgpr, 10
	.set _ZN9rocsparseL21csrmvt_general_kernelILj256ELj8EiiffffEEvbbT2_NS_24const_host_device_scalarIT6_EEPKT1_S7_PKS1_PKT3_PKT4_PT5_21rocsparse_index_base_b.num_agpr, 0
	.set _ZN9rocsparseL21csrmvt_general_kernelILj256ELj8EiiffffEEvbbT2_NS_24const_host_device_scalarIT6_EEPKT1_S7_PKS1_PKT3_PKT4_PT5_21rocsparse_index_base_b.numbered_sgpr, 21
	.set _ZN9rocsparseL21csrmvt_general_kernelILj256ELj8EiiffffEEvbbT2_NS_24const_host_device_scalarIT6_EEPKT1_S7_PKS1_PKT3_PKT4_PT5_21rocsparse_index_base_b.num_named_barrier, 0
	.set _ZN9rocsparseL21csrmvt_general_kernelILj256ELj8EiiffffEEvbbT2_NS_24const_host_device_scalarIT6_EEPKT1_S7_PKS1_PKT3_PKT4_PT5_21rocsparse_index_base_b.private_seg_size, 0
	.set _ZN9rocsparseL21csrmvt_general_kernelILj256ELj8EiiffffEEvbbT2_NS_24const_host_device_scalarIT6_EEPKT1_S7_PKS1_PKT3_PKT4_PT5_21rocsparse_index_base_b.uses_vcc, 1
	.set _ZN9rocsparseL21csrmvt_general_kernelILj256ELj8EiiffffEEvbbT2_NS_24const_host_device_scalarIT6_EEPKT1_S7_PKS1_PKT3_PKT4_PT5_21rocsparse_index_base_b.uses_flat_scratch, 0
	.set _ZN9rocsparseL21csrmvt_general_kernelILj256ELj8EiiffffEEvbbT2_NS_24const_host_device_scalarIT6_EEPKT1_S7_PKS1_PKT3_PKT4_PT5_21rocsparse_index_base_b.has_dyn_sized_stack, 0
	.set _ZN9rocsparseL21csrmvt_general_kernelILj256ELj8EiiffffEEvbbT2_NS_24const_host_device_scalarIT6_EEPKT1_S7_PKS1_PKT3_PKT4_PT5_21rocsparse_index_base_b.has_recursion, 0
	.set _ZN9rocsparseL21csrmvt_general_kernelILj256ELj8EiiffffEEvbbT2_NS_24const_host_device_scalarIT6_EEPKT1_S7_PKS1_PKT3_PKT4_PT5_21rocsparse_index_base_b.has_indirect_call, 0
	.section	.AMDGPU.csdata,"",@progbits
; Kernel info:
; codeLenInByte = 764
; TotalNumSgprs: 23
; NumVgprs: 10
; ScratchSize: 0
; MemoryBound: 0
; FloatMode: 240
; IeeeMode: 1
; LDSByteSize: 0 bytes/workgroup (compile time only)
; SGPRBlocks: 0
; VGPRBlocks: 0
; NumSGPRsForWavesPerEU: 23
; NumVGPRsForWavesPerEU: 10
; NamedBarCnt: 0
; Occupancy: 16
; WaveLimiterHint : 1
; COMPUTE_PGM_RSRC2:SCRATCH_EN: 0
; COMPUTE_PGM_RSRC2:USER_SGPR: 2
; COMPUTE_PGM_RSRC2:TRAP_HANDLER: 0
; COMPUTE_PGM_RSRC2:TGID_X_EN: 1
; COMPUTE_PGM_RSRC2:TGID_Y_EN: 0
; COMPUTE_PGM_RSRC2:TGID_Z_EN: 0
; COMPUTE_PGM_RSRC2:TIDIG_COMP_CNT: 0
	.section	.text._ZN9rocsparseL21csrmvt_general_kernelILj256ELj16EiiffffEEvbbT2_NS_24const_host_device_scalarIT6_EEPKT1_S7_PKS1_PKT3_PKT4_PT5_21rocsparse_index_base_b,"axG",@progbits,_ZN9rocsparseL21csrmvt_general_kernelILj256ELj16EiiffffEEvbbT2_NS_24const_host_device_scalarIT6_EEPKT1_S7_PKS1_PKT3_PKT4_PT5_21rocsparse_index_base_b,comdat
	.globl	_ZN9rocsparseL21csrmvt_general_kernelILj256ELj16EiiffffEEvbbT2_NS_24const_host_device_scalarIT6_EEPKT1_S7_PKS1_PKT3_PKT4_PT5_21rocsparse_index_base_b ; -- Begin function _ZN9rocsparseL21csrmvt_general_kernelILj256ELj16EiiffffEEvbbT2_NS_24const_host_device_scalarIT6_EEPKT1_S7_PKS1_PKT3_PKT4_PT5_21rocsparse_index_base_b
	.p2align	8
	.type	_ZN9rocsparseL21csrmvt_general_kernelILj256ELj16EiiffffEEvbbT2_NS_24const_host_device_scalarIT6_EEPKT1_S7_PKS1_PKT3_PKT4_PT5_21rocsparse_index_base_b,@function
_ZN9rocsparseL21csrmvt_general_kernelILj256ELj16EiiffffEEvbbT2_NS_24const_host_device_scalarIT6_EEPKT1_S7_PKS1_PKT3_PKT4_PT5_21rocsparse_index_base_b: ; @_ZN9rocsparseL21csrmvt_general_kernelILj256ELj16EiiffffEEvbbT2_NS_24const_host_device_scalarIT6_EEPKT1_S7_PKS1_PKT3_PKT4_PT5_21rocsparse_index_base_b
; %bb.0:
	s_clause 0x1
	s_load_b64 s[2:3], s[0:1], 0x40
	s_load_b128 s[12:15], s[0:1], 0x8
	s_wait_kmcnt 0x0
	s_bitcmp1_b32 s3, 0
	s_cselect_b32 s3, -1, 0
	s_delay_alu instid0(SALU_CYCLE_1)
	s_and_b32 vcc_lo, exec_lo, s3
	s_cbranch_vccnz .LBB8_2
; %bb.1:
	s_load_b32 s12, s[12:13], 0x0
.LBB8_2:
	s_wait_kmcnt 0x0
	s_cmp_eq_f32 s12, 0
	s_cbranch_scc1 .LBB8_20
; %bb.3:
	s_clause 0x3
	s_load_b64 s[16:17], s[0:1], 0x0
	s_load_b32 s3, s[0:1], 0x48
	s_load_b64 s[18:19], s[0:1], 0x38
	s_load_b256 s[4:11], s[0:1], 0x18
	s_wait_xcnt 0x0
	s_bfe_u32 s0, ttmp6, 0x4000c
	s_and_b32 s13, ttmp6, 15
	s_add_co_i32 s0, s0, 1
	s_getreg_b32 s20, hwreg(HW_REG_IB_STS2, 6, 4)
	s_mul_i32 s0, ttmp9, s0
	v_and_b32_e32 v3, 15, v0
	s_add_co_i32 s13, s13, s0
	s_wait_kmcnt 0x0
	s_and_b32 s16, s16, 1
	s_lshl_b32 s1, s3, 4
	s_cmp_eq_u32 s20, 0
	s_mov_b32 s3, -1
	s_cselect_b32 s0, ttmp9, s13
	s_cmp_eq_u32 s16, 0
	v_lshl_or_b32 v1, s0, 8, v0
	s_delay_alu instid0(VALU_DEP_1) | instskip(NEXT) | instid1(VALU_DEP_1)
	v_lshrrev_b32_e32 v2, 4, v1
	v_cmp_gt_i32_e64 s0, s17, v2
	s_cbranch_scc0 .LBB8_11
; %bb.4:
	s_and_saveexec_b32 s3, s0
	s_cbranch_execz .LBB8_10
; %bb.5:
	v_subrev_nc_u32_e32 v4, s2, v3
	v_mov_b32_e32 v0, v2
	s_mov_b32 s13, 0
	s_branch .LBB8_7
.LBB8_6:                                ;   in Loop: Header=BB8_7 Depth=1
	s_or_b32 exec_lo, exec_lo, s16
	v_add_nc_u32_e32 v0, s1, v0
	s_delay_alu instid0(VALU_DEP_1) | instskip(SKIP_1) | instid1(SALU_CYCLE_1)
	v_cmp_le_i32_e32 vcc_lo, s17, v0
	s_or_b32 s13, vcc_lo, s13
	s_and_not1_b32 exec_lo, exec_lo, s13
	s_cbranch_execz .LBB8_10
.LBB8_7:                                ; =>This Loop Header: Depth=1
                                        ;     Child Loop BB8_9 Depth 2
	s_clause 0x1
	global_load_b32 v1, v0, s[4:5] scale_offset
	global_load_b32 v6, v0, s[14:15] scale_offset
	s_mov_b32 s16, exec_lo
	s_wait_loadcnt 0x1
	v_subrev_nc_u32_e32 v5, s2, v1
	s_wait_loadcnt 0x0
	v_add_nc_u32_e32 v6, v6, v4
	s_wait_xcnt 0x0
	s_delay_alu instid0(VALU_DEP_1)
	v_cmpx_lt_i32_e64 v6, v5
	s_cbranch_execz .LBB8_6
; %bb.8:                                ;   in Loop: Header=BB8_7 Depth=1
	v_ashrrev_i32_e32 v1, 31, v0
	s_mov_b32 s20, 0
	s_delay_alu instid0(VALU_DEP_1)
	v_lshl_add_u64 v[8:9], v[0:1], 2, s[10:11]
	global_load_b32 v1, v[8:9], off
	s_wait_loadcnt 0x0
	v_mul_f32_e32 v1, s12, v1
.LBB8_9:                                ;   Parent Loop BB8_7 Depth=1
                                        ; =>  This Inner Loop Header: Depth=2
	s_clause 0x1
	global_load_b32 v7, v6, s[6:7] scale_offset
	global_load_b32 v8, v6, s[8:9] scale_offset
	s_wait_xcnt 0x0
	v_add_nc_u32_e32 v6, 16, v6
	s_delay_alu instid0(VALU_DEP_1)
	v_cmp_ge_i32_e32 vcc_lo, v6, v5
	s_or_b32 s20, vcc_lo, s20
	s_wait_loadcnt 0x1
	v_subrev_nc_u32_e32 v7, s2, v7
	s_wait_loadcnt 0x0
	v_mul_f32_e32 v8, v1, v8
	global_atomic_add_f32 v7, v8, s[18:19] scale_offset scope:SCOPE_DEV
	s_wait_xcnt 0x0
	s_and_not1_b32 exec_lo, exec_lo, s20
	s_cbranch_execnz .LBB8_9
	s_branch .LBB8_6
.LBB8_10:
	s_or_b32 exec_lo, exec_lo, s3
	s_mov_b32 s3, 0
.LBB8_11:
	s_delay_alu instid0(SALU_CYCLE_1)
	s_and_not1_b32 vcc_lo, exec_lo, s3
	s_cbranch_vccnz .LBB8_20
; %bb.12:
	s_and_saveexec_b32 s3, s0
	s_cbranch_execz .LBB8_20
; %bb.13:
	v_subrev_nc_u32_e32 v4, s2, v3
	s_mov_b32 s0, 0
	s_branch .LBB8_15
.LBB8_14:                               ;   in Loop: Header=BB8_15 Depth=1
	s_or_b32 exec_lo, exec_lo, s3
	v_add_nc_u32_e32 v2, s1, v2
	s_delay_alu instid0(VALU_DEP_1) | instskip(SKIP_1) | instid1(SALU_CYCLE_1)
	v_cmp_le_i32_e32 vcc_lo, s17, v2
	s_or_b32 s0, vcc_lo, s0
	s_and_not1_b32 exec_lo, exec_lo, s0
	s_cbranch_execz .LBB8_20
.LBB8_15:                               ; =>This Loop Header: Depth=1
                                        ;     Child Loop BB8_18 Depth 2
	s_clause 0x1
	global_load_b32 v0, v2, s[4:5] scale_offset
	global_load_b32 v1, v2, s[14:15] scale_offset
	s_mov_b32 s3, exec_lo
	s_wait_loadcnt 0x1
	v_subrev_nc_u32_e32 v5, s2, v0
	s_wait_loadcnt 0x0
	v_add_nc_u32_e32 v0, v1, v4
	s_wait_xcnt 0x0
	s_delay_alu instid0(VALU_DEP_1)
	v_cmpx_lt_i32_e64 v0, v5
	s_cbranch_execz .LBB8_14
; %bb.16:                               ;   in Loop: Header=BB8_15 Depth=1
	v_ashrrev_i32_e32 v3, 31, v2
	s_mov_b32 s13, 0
	s_delay_alu instid0(VALU_DEP_1)
	v_lshl_add_u64 v[6:7], v[2:3], 2, s[10:11]
	global_load_b32 v1, v[6:7], off
	s_wait_loadcnt 0x0
	v_mul_f32_e32 v3, s12, v1
	s_branch .LBB8_18
.LBB8_17:                               ;   in Loop: Header=BB8_18 Depth=2
	s_wait_xcnt 0x0
	s_or_b32 exec_lo, exec_lo, s16
	v_add_nc_u32_e32 v0, 16, v0
	s_delay_alu instid0(VALU_DEP_1) | instskip(SKIP_1) | instid1(SALU_CYCLE_1)
	v_cmp_ge_i32_e32 vcc_lo, v0, v5
	s_or_b32 s13, vcc_lo, s13
	s_and_not1_b32 exec_lo, exec_lo, s13
	s_cbranch_execz .LBB8_14
.LBB8_18:                               ;   Parent Loop BB8_15 Depth=1
                                        ; =>  This Inner Loop Header: Depth=2
	global_load_b32 v1, v0, s[6:7] scale_offset
	s_mov_b32 s16, exec_lo
	s_wait_loadcnt 0x0
	s_wait_xcnt 0x1
	v_subrev_nc_u32_e32 v6, s2, v1
	v_ashrrev_i32_e32 v1, 31, v0
	s_wait_xcnt 0x0
	s_delay_alu instid0(VALU_DEP_2)
	v_cmpx_ne_u32_e64 v6, v2
	s_cbranch_execz .LBB8_17
; %bb.19:                               ;   in Loop: Header=BB8_18 Depth=2
	s_delay_alu instid0(VALU_DEP_2)
	v_lshl_add_u64 v[8:9], v[0:1], 2, s[8:9]
	global_load_b32 v1, v[8:9], off
	s_wait_loadcnt 0x0
	v_mul_f32_e32 v1, v3, v1
	s_wait_xcnt 0x0
	global_atomic_add_f32 v6, v1, s[18:19] scale_offset scope:SCOPE_DEV
	s_branch .LBB8_17
.LBB8_20:
	s_endpgm
	.section	.rodata,"a",@progbits
	.p2align	6, 0x0
	.amdhsa_kernel _ZN9rocsparseL21csrmvt_general_kernelILj256ELj16EiiffffEEvbbT2_NS_24const_host_device_scalarIT6_EEPKT1_S7_PKS1_PKT3_PKT4_PT5_21rocsparse_index_base_b
		.amdhsa_group_segment_fixed_size 0
		.amdhsa_private_segment_fixed_size 0
		.amdhsa_kernarg_size 328
		.amdhsa_user_sgpr_count 2
		.amdhsa_user_sgpr_dispatch_ptr 0
		.amdhsa_user_sgpr_queue_ptr 0
		.amdhsa_user_sgpr_kernarg_segment_ptr 1
		.amdhsa_user_sgpr_dispatch_id 0
		.amdhsa_user_sgpr_kernarg_preload_length 0
		.amdhsa_user_sgpr_kernarg_preload_offset 0
		.amdhsa_user_sgpr_private_segment_size 0
		.amdhsa_wavefront_size32 1
		.amdhsa_uses_dynamic_stack 0
		.amdhsa_enable_private_segment 0
		.amdhsa_system_sgpr_workgroup_id_x 1
		.amdhsa_system_sgpr_workgroup_id_y 0
		.amdhsa_system_sgpr_workgroup_id_z 0
		.amdhsa_system_sgpr_workgroup_info 0
		.amdhsa_system_vgpr_workitem_id 0
		.amdhsa_next_free_vgpr 10
		.amdhsa_next_free_sgpr 21
		.amdhsa_named_barrier_count 0
		.amdhsa_reserve_vcc 1
		.amdhsa_float_round_mode_32 0
		.amdhsa_float_round_mode_16_64 0
		.amdhsa_float_denorm_mode_32 3
		.amdhsa_float_denorm_mode_16_64 3
		.amdhsa_fp16_overflow 0
		.amdhsa_memory_ordered 1
		.amdhsa_forward_progress 1
		.amdhsa_inst_pref_size 6
		.amdhsa_round_robin_scheduling 0
		.amdhsa_exception_fp_ieee_invalid_op 0
		.amdhsa_exception_fp_denorm_src 0
		.amdhsa_exception_fp_ieee_div_zero 0
		.amdhsa_exception_fp_ieee_overflow 0
		.amdhsa_exception_fp_ieee_underflow 0
		.amdhsa_exception_fp_ieee_inexact 0
		.amdhsa_exception_int_div_zero 0
	.end_amdhsa_kernel
	.section	.text._ZN9rocsparseL21csrmvt_general_kernelILj256ELj16EiiffffEEvbbT2_NS_24const_host_device_scalarIT6_EEPKT1_S7_PKS1_PKT3_PKT4_PT5_21rocsparse_index_base_b,"axG",@progbits,_ZN9rocsparseL21csrmvt_general_kernelILj256ELj16EiiffffEEvbbT2_NS_24const_host_device_scalarIT6_EEPKT1_S7_PKS1_PKT3_PKT4_PT5_21rocsparse_index_base_b,comdat
.Lfunc_end8:
	.size	_ZN9rocsparseL21csrmvt_general_kernelILj256ELj16EiiffffEEvbbT2_NS_24const_host_device_scalarIT6_EEPKT1_S7_PKS1_PKT3_PKT4_PT5_21rocsparse_index_base_b, .Lfunc_end8-_ZN9rocsparseL21csrmvt_general_kernelILj256ELj16EiiffffEEvbbT2_NS_24const_host_device_scalarIT6_EEPKT1_S7_PKS1_PKT3_PKT4_PT5_21rocsparse_index_base_b
                                        ; -- End function
	.set _ZN9rocsparseL21csrmvt_general_kernelILj256ELj16EiiffffEEvbbT2_NS_24const_host_device_scalarIT6_EEPKT1_S7_PKS1_PKT3_PKT4_PT5_21rocsparse_index_base_b.num_vgpr, 10
	.set _ZN9rocsparseL21csrmvt_general_kernelILj256ELj16EiiffffEEvbbT2_NS_24const_host_device_scalarIT6_EEPKT1_S7_PKS1_PKT3_PKT4_PT5_21rocsparse_index_base_b.num_agpr, 0
	.set _ZN9rocsparseL21csrmvt_general_kernelILj256ELj16EiiffffEEvbbT2_NS_24const_host_device_scalarIT6_EEPKT1_S7_PKS1_PKT3_PKT4_PT5_21rocsparse_index_base_b.numbered_sgpr, 21
	.set _ZN9rocsparseL21csrmvt_general_kernelILj256ELj16EiiffffEEvbbT2_NS_24const_host_device_scalarIT6_EEPKT1_S7_PKS1_PKT3_PKT4_PT5_21rocsparse_index_base_b.num_named_barrier, 0
	.set _ZN9rocsparseL21csrmvt_general_kernelILj256ELj16EiiffffEEvbbT2_NS_24const_host_device_scalarIT6_EEPKT1_S7_PKS1_PKT3_PKT4_PT5_21rocsparse_index_base_b.private_seg_size, 0
	.set _ZN9rocsparseL21csrmvt_general_kernelILj256ELj16EiiffffEEvbbT2_NS_24const_host_device_scalarIT6_EEPKT1_S7_PKS1_PKT3_PKT4_PT5_21rocsparse_index_base_b.uses_vcc, 1
	.set _ZN9rocsparseL21csrmvt_general_kernelILj256ELj16EiiffffEEvbbT2_NS_24const_host_device_scalarIT6_EEPKT1_S7_PKS1_PKT3_PKT4_PT5_21rocsparse_index_base_b.uses_flat_scratch, 0
	.set _ZN9rocsparseL21csrmvt_general_kernelILj256ELj16EiiffffEEvbbT2_NS_24const_host_device_scalarIT6_EEPKT1_S7_PKS1_PKT3_PKT4_PT5_21rocsparse_index_base_b.has_dyn_sized_stack, 0
	.set _ZN9rocsparseL21csrmvt_general_kernelILj256ELj16EiiffffEEvbbT2_NS_24const_host_device_scalarIT6_EEPKT1_S7_PKS1_PKT3_PKT4_PT5_21rocsparse_index_base_b.has_recursion, 0
	.set _ZN9rocsparseL21csrmvt_general_kernelILj256ELj16EiiffffEEvbbT2_NS_24const_host_device_scalarIT6_EEPKT1_S7_PKS1_PKT3_PKT4_PT5_21rocsparse_index_base_b.has_indirect_call, 0
	.section	.AMDGPU.csdata,"",@progbits
; Kernel info:
; codeLenInByte = 764
; TotalNumSgprs: 23
; NumVgprs: 10
; ScratchSize: 0
; MemoryBound: 0
; FloatMode: 240
; IeeeMode: 1
; LDSByteSize: 0 bytes/workgroup (compile time only)
; SGPRBlocks: 0
; VGPRBlocks: 0
; NumSGPRsForWavesPerEU: 23
; NumVGPRsForWavesPerEU: 10
; NamedBarCnt: 0
; Occupancy: 16
; WaveLimiterHint : 1
; COMPUTE_PGM_RSRC2:SCRATCH_EN: 0
; COMPUTE_PGM_RSRC2:USER_SGPR: 2
; COMPUTE_PGM_RSRC2:TRAP_HANDLER: 0
; COMPUTE_PGM_RSRC2:TGID_X_EN: 1
; COMPUTE_PGM_RSRC2:TGID_Y_EN: 0
; COMPUTE_PGM_RSRC2:TGID_Z_EN: 0
; COMPUTE_PGM_RSRC2:TIDIG_COMP_CNT: 0
	.section	.text._ZN9rocsparseL21csrmvt_general_kernelILj256ELj32EiiffffEEvbbT2_NS_24const_host_device_scalarIT6_EEPKT1_S7_PKS1_PKT3_PKT4_PT5_21rocsparse_index_base_b,"axG",@progbits,_ZN9rocsparseL21csrmvt_general_kernelILj256ELj32EiiffffEEvbbT2_NS_24const_host_device_scalarIT6_EEPKT1_S7_PKS1_PKT3_PKT4_PT5_21rocsparse_index_base_b,comdat
	.globl	_ZN9rocsparseL21csrmvt_general_kernelILj256ELj32EiiffffEEvbbT2_NS_24const_host_device_scalarIT6_EEPKT1_S7_PKS1_PKT3_PKT4_PT5_21rocsparse_index_base_b ; -- Begin function _ZN9rocsparseL21csrmvt_general_kernelILj256ELj32EiiffffEEvbbT2_NS_24const_host_device_scalarIT6_EEPKT1_S7_PKS1_PKT3_PKT4_PT5_21rocsparse_index_base_b
	.p2align	8
	.type	_ZN9rocsparseL21csrmvt_general_kernelILj256ELj32EiiffffEEvbbT2_NS_24const_host_device_scalarIT6_EEPKT1_S7_PKS1_PKT3_PKT4_PT5_21rocsparse_index_base_b,@function
_ZN9rocsparseL21csrmvt_general_kernelILj256ELj32EiiffffEEvbbT2_NS_24const_host_device_scalarIT6_EEPKT1_S7_PKS1_PKT3_PKT4_PT5_21rocsparse_index_base_b: ; @_ZN9rocsparseL21csrmvt_general_kernelILj256ELj32EiiffffEEvbbT2_NS_24const_host_device_scalarIT6_EEPKT1_S7_PKS1_PKT3_PKT4_PT5_21rocsparse_index_base_b
; %bb.0:
	s_clause 0x1
	s_load_b64 s[2:3], s[0:1], 0x40
	s_load_b128 s[12:15], s[0:1], 0x8
	s_wait_kmcnt 0x0
	s_bitcmp1_b32 s3, 0
	s_cselect_b32 s3, -1, 0
	s_delay_alu instid0(SALU_CYCLE_1)
	s_and_b32 vcc_lo, exec_lo, s3
	s_cbranch_vccnz .LBB9_2
; %bb.1:
	s_load_b32 s12, s[12:13], 0x0
.LBB9_2:
	s_wait_kmcnt 0x0
	s_cmp_eq_f32 s12, 0
	s_cbranch_scc1 .LBB9_20
; %bb.3:
	s_clause 0x3
	s_load_b64 s[16:17], s[0:1], 0x0
	s_load_b32 s3, s[0:1], 0x48
	s_load_b64 s[18:19], s[0:1], 0x38
	s_load_b256 s[4:11], s[0:1], 0x18
	s_wait_xcnt 0x0
	s_bfe_u32 s0, ttmp6, 0x4000c
	s_and_b32 s13, ttmp6, 15
	s_add_co_i32 s0, s0, 1
	s_getreg_b32 s20, hwreg(HW_REG_IB_STS2, 6, 4)
	s_mul_i32 s0, ttmp9, s0
	v_and_b32_e32 v3, 31, v0
	s_add_co_i32 s13, s13, s0
	s_wait_kmcnt 0x0
	s_and_b32 s16, s16, 1
	s_lshl_b32 s1, s3, 3
	s_cmp_eq_u32 s20, 0
	s_mov_b32 s3, -1
	s_cselect_b32 s0, ttmp9, s13
	s_cmp_eq_u32 s16, 0
	v_lshl_or_b32 v1, s0, 8, v0
	s_delay_alu instid0(VALU_DEP_1) | instskip(NEXT) | instid1(VALU_DEP_1)
	v_lshrrev_b32_e32 v2, 5, v1
	v_cmp_gt_i32_e64 s0, s17, v2
	s_cbranch_scc0 .LBB9_11
; %bb.4:
	s_and_saveexec_b32 s3, s0
	s_cbranch_execz .LBB9_10
; %bb.5:
	v_subrev_nc_u32_e32 v4, s2, v3
	v_mov_b32_e32 v0, v2
	s_mov_b32 s13, 0
	s_branch .LBB9_7
.LBB9_6:                                ;   in Loop: Header=BB9_7 Depth=1
	s_or_b32 exec_lo, exec_lo, s16
	v_add_nc_u32_e32 v0, s1, v0
	s_delay_alu instid0(VALU_DEP_1) | instskip(SKIP_1) | instid1(SALU_CYCLE_1)
	v_cmp_le_i32_e32 vcc_lo, s17, v0
	s_or_b32 s13, vcc_lo, s13
	s_and_not1_b32 exec_lo, exec_lo, s13
	s_cbranch_execz .LBB9_10
.LBB9_7:                                ; =>This Loop Header: Depth=1
                                        ;     Child Loop BB9_9 Depth 2
	s_clause 0x1
	global_load_b32 v1, v0, s[4:5] scale_offset
	global_load_b32 v6, v0, s[14:15] scale_offset
	s_mov_b32 s16, exec_lo
	s_wait_loadcnt 0x1
	v_subrev_nc_u32_e32 v5, s2, v1
	s_wait_loadcnt 0x0
	v_add_nc_u32_e32 v6, v6, v4
	s_wait_xcnt 0x0
	s_delay_alu instid0(VALU_DEP_1)
	v_cmpx_lt_i32_e64 v6, v5
	s_cbranch_execz .LBB9_6
; %bb.8:                                ;   in Loop: Header=BB9_7 Depth=1
	v_ashrrev_i32_e32 v1, 31, v0
	s_mov_b32 s20, 0
	s_delay_alu instid0(VALU_DEP_1)
	v_lshl_add_u64 v[8:9], v[0:1], 2, s[10:11]
	global_load_b32 v1, v[8:9], off
	s_wait_loadcnt 0x0
	v_mul_f32_e32 v1, s12, v1
.LBB9_9:                                ;   Parent Loop BB9_7 Depth=1
                                        ; =>  This Inner Loop Header: Depth=2
	s_clause 0x1
	global_load_b32 v7, v6, s[6:7] scale_offset
	global_load_b32 v8, v6, s[8:9] scale_offset
	s_wait_xcnt 0x0
	v_add_nc_u32_e32 v6, 32, v6
	s_delay_alu instid0(VALU_DEP_1)
	v_cmp_ge_i32_e32 vcc_lo, v6, v5
	s_or_b32 s20, vcc_lo, s20
	s_wait_loadcnt 0x1
	v_subrev_nc_u32_e32 v7, s2, v7
	s_wait_loadcnt 0x0
	v_mul_f32_e32 v8, v1, v8
	global_atomic_add_f32 v7, v8, s[18:19] scale_offset scope:SCOPE_DEV
	s_wait_xcnt 0x0
	s_and_not1_b32 exec_lo, exec_lo, s20
	s_cbranch_execnz .LBB9_9
	s_branch .LBB9_6
.LBB9_10:
	s_or_b32 exec_lo, exec_lo, s3
	s_mov_b32 s3, 0
.LBB9_11:
	s_delay_alu instid0(SALU_CYCLE_1)
	s_and_not1_b32 vcc_lo, exec_lo, s3
	s_cbranch_vccnz .LBB9_20
; %bb.12:
	s_and_saveexec_b32 s3, s0
	s_cbranch_execz .LBB9_20
; %bb.13:
	v_subrev_nc_u32_e32 v4, s2, v3
	s_mov_b32 s0, 0
	s_branch .LBB9_15
.LBB9_14:                               ;   in Loop: Header=BB9_15 Depth=1
	s_or_b32 exec_lo, exec_lo, s3
	v_add_nc_u32_e32 v2, s1, v2
	s_delay_alu instid0(VALU_DEP_1) | instskip(SKIP_1) | instid1(SALU_CYCLE_1)
	v_cmp_le_i32_e32 vcc_lo, s17, v2
	s_or_b32 s0, vcc_lo, s0
	s_and_not1_b32 exec_lo, exec_lo, s0
	s_cbranch_execz .LBB9_20
.LBB9_15:                               ; =>This Loop Header: Depth=1
                                        ;     Child Loop BB9_18 Depth 2
	s_clause 0x1
	global_load_b32 v0, v2, s[4:5] scale_offset
	global_load_b32 v1, v2, s[14:15] scale_offset
	s_mov_b32 s3, exec_lo
	s_wait_loadcnt 0x1
	v_subrev_nc_u32_e32 v5, s2, v0
	s_wait_loadcnt 0x0
	v_add_nc_u32_e32 v0, v1, v4
	s_wait_xcnt 0x0
	s_delay_alu instid0(VALU_DEP_1)
	v_cmpx_lt_i32_e64 v0, v5
	s_cbranch_execz .LBB9_14
; %bb.16:                               ;   in Loop: Header=BB9_15 Depth=1
	v_ashrrev_i32_e32 v3, 31, v2
	s_mov_b32 s13, 0
	s_delay_alu instid0(VALU_DEP_1)
	v_lshl_add_u64 v[6:7], v[2:3], 2, s[10:11]
	global_load_b32 v1, v[6:7], off
	s_wait_loadcnt 0x0
	v_mul_f32_e32 v3, s12, v1
	s_branch .LBB9_18
.LBB9_17:                               ;   in Loop: Header=BB9_18 Depth=2
	s_wait_xcnt 0x0
	s_or_b32 exec_lo, exec_lo, s16
	v_add_nc_u32_e32 v0, 32, v0
	s_delay_alu instid0(VALU_DEP_1) | instskip(SKIP_1) | instid1(SALU_CYCLE_1)
	v_cmp_ge_i32_e32 vcc_lo, v0, v5
	s_or_b32 s13, vcc_lo, s13
	s_and_not1_b32 exec_lo, exec_lo, s13
	s_cbranch_execz .LBB9_14
.LBB9_18:                               ;   Parent Loop BB9_15 Depth=1
                                        ; =>  This Inner Loop Header: Depth=2
	global_load_b32 v1, v0, s[6:7] scale_offset
	s_mov_b32 s16, exec_lo
	s_wait_loadcnt 0x0
	s_wait_xcnt 0x1
	v_subrev_nc_u32_e32 v6, s2, v1
	v_ashrrev_i32_e32 v1, 31, v0
	s_wait_xcnt 0x0
	s_delay_alu instid0(VALU_DEP_2)
	v_cmpx_ne_u32_e64 v6, v2
	s_cbranch_execz .LBB9_17
; %bb.19:                               ;   in Loop: Header=BB9_18 Depth=2
	s_delay_alu instid0(VALU_DEP_2)
	v_lshl_add_u64 v[8:9], v[0:1], 2, s[8:9]
	global_load_b32 v1, v[8:9], off
	s_wait_loadcnt 0x0
	v_mul_f32_e32 v1, v3, v1
	s_wait_xcnt 0x0
	global_atomic_add_f32 v6, v1, s[18:19] scale_offset scope:SCOPE_DEV
	s_branch .LBB9_17
.LBB9_20:
	s_endpgm
	.section	.rodata,"a",@progbits
	.p2align	6, 0x0
	.amdhsa_kernel _ZN9rocsparseL21csrmvt_general_kernelILj256ELj32EiiffffEEvbbT2_NS_24const_host_device_scalarIT6_EEPKT1_S7_PKS1_PKT3_PKT4_PT5_21rocsparse_index_base_b
		.amdhsa_group_segment_fixed_size 0
		.amdhsa_private_segment_fixed_size 0
		.amdhsa_kernarg_size 328
		.amdhsa_user_sgpr_count 2
		.amdhsa_user_sgpr_dispatch_ptr 0
		.amdhsa_user_sgpr_queue_ptr 0
		.amdhsa_user_sgpr_kernarg_segment_ptr 1
		.amdhsa_user_sgpr_dispatch_id 0
		.amdhsa_user_sgpr_kernarg_preload_length 0
		.amdhsa_user_sgpr_kernarg_preload_offset 0
		.amdhsa_user_sgpr_private_segment_size 0
		.amdhsa_wavefront_size32 1
		.amdhsa_uses_dynamic_stack 0
		.amdhsa_enable_private_segment 0
		.amdhsa_system_sgpr_workgroup_id_x 1
		.amdhsa_system_sgpr_workgroup_id_y 0
		.amdhsa_system_sgpr_workgroup_id_z 0
		.amdhsa_system_sgpr_workgroup_info 0
		.amdhsa_system_vgpr_workitem_id 0
		.amdhsa_next_free_vgpr 10
		.amdhsa_next_free_sgpr 21
		.amdhsa_named_barrier_count 0
		.amdhsa_reserve_vcc 1
		.amdhsa_float_round_mode_32 0
		.amdhsa_float_round_mode_16_64 0
		.amdhsa_float_denorm_mode_32 3
		.amdhsa_float_denorm_mode_16_64 3
		.amdhsa_fp16_overflow 0
		.amdhsa_memory_ordered 1
		.amdhsa_forward_progress 1
		.amdhsa_inst_pref_size 6
		.amdhsa_round_robin_scheduling 0
		.amdhsa_exception_fp_ieee_invalid_op 0
		.amdhsa_exception_fp_denorm_src 0
		.amdhsa_exception_fp_ieee_div_zero 0
		.amdhsa_exception_fp_ieee_overflow 0
		.amdhsa_exception_fp_ieee_underflow 0
		.amdhsa_exception_fp_ieee_inexact 0
		.amdhsa_exception_int_div_zero 0
	.end_amdhsa_kernel
	.section	.text._ZN9rocsparseL21csrmvt_general_kernelILj256ELj32EiiffffEEvbbT2_NS_24const_host_device_scalarIT6_EEPKT1_S7_PKS1_PKT3_PKT4_PT5_21rocsparse_index_base_b,"axG",@progbits,_ZN9rocsparseL21csrmvt_general_kernelILj256ELj32EiiffffEEvbbT2_NS_24const_host_device_scalarIT6_EEPKT1_S7_PKS1_PKT3_PKT4_PT5_21rocsparse_index_base_b,comdat
.Lfunc_end9:
	.size	_ZN9rocsparseL21csrmvt_general_kernelILj256ELj32EiiffffEEvbbT2_NS_24const_host_device_scalarIT6_EEPKT1_S7_PKS1_PKT3_PKT4_PT5_21rocsparse_index_base_b, .Lfunc_end9-_ZN9rocsparseL21csrmvt_general_kernelILj256ELj32EiiffffEEvbbT2_NS_24const_host_device_scalarIT6_EEPKT1_S7_PKS1_PKT3_PKT4_PT5_21rocsparse_index_base_b
                                        ; -- End function
	.set _ZN9rocsparseL21csrmvt_general_kernelILj256ELj32EiiffffEEvbbT2_NS_24const_host_device_scalarIT6_EEPKT1_S7_PKS1_PKT3_PKT4_PT5_21rocsparse_index_base_b.num_vgpr, 10
	.set _ZN9rocsparseL21csrmvt_general_kernelILj256ELj32EiiffffEEvbbT2_NS_24const_host_device_scalarIT6_EEPKT1_S7_PKS1_PKT3_PKT4_PT5_21rocsparse_index_base_b.num_agpr, 0
	.set _ZN9rocsparseL21csrmvt_general_kernelILj256ELj32EiiffffEEvbbT2_NS_24const_host_device_scalarIT6_EEPKT1_S7_PKS1_PKT3_PKT4_PT5_21rocsparse_index_base_b.numbered_sgpr, 21
	.set _ZN9rocsparseL21csrmvt_general_kernelILj256ELj32EiiffffEEvbbT2_NS_24const_host_device_scalarIT6_EEPKT1_S7_PKS1_PKT3_PKT4_PT5_21rocsparse_index_base_b.num_named_barrier, 0
	.set _ZN9rocsparseL21csrmvt_general_kernelILj256ELj32EiiffffEEvbbT2_NS_24const_host_device_scalarIT6_EEPKT1_S7_PKS1_PKT3_PKT4_PT5_21rocsparse_index_base_b.private_seg_size, 0
	.set _ZN9rocsparseL21csrmvt_general_kernelILj256ELj32EiiffffEEvbbT2_NS_24const_host_device_scalarIT6_EEPKT1_S7_PKS1_PKT3_PKT4_PT5_21rocsparse_index_base_b.uses_vcc, 1
	.set _ZN9rocsparseL21csrmvt_general_kernelILj256ELj32EiiffffEEvbbT2_NS_24const_host_device_scalarIT6_EEPKT1_S7_PKS1_PKT3_PKT4_PT5_21rocsparse_index_base_b.uses_flat_scratch, 0
	.set _ZN9rocsparseL21csrmvt_general_kernelILj256ELj32EiiffffEEvbbT2_NS_24const_host_device_scalarIT6_EEPKT1_S7_PKS1_PKT3_PKT4_PT5_21rocsparse_index_base_b.has_dyn_sized_stack, 0
	.set _ZN9rocsparseL21csrmvt_general_kernelILj256ELj32EiiffffEEvbbT2_NS_24const_host_device_scalarIT6_EEPKT1_S7_PKS1_PKT3_PKT4_PT5_21rocsparse_index_base_b.has_recursion, 0
	.set _ZN9rocsparseL21csrmvt_general_kernelILj256ELj32EiiffffEEvbbT2_NS_24const_host_device_scalarIT6_EEPKT1_S7_PKS1_PKT3_PKT4_PT5_21rocsparse_index_base_b.has_indirect_call, 0
	.section	.AMDGPU.csdata,"",@progbits
; Kernel info:
; codeLenInByte = 764
; TotalNumSgprs: 23
; NumVgprs: 10
; ScratchSize: 0
; MemoryBound: 0
; FloatMode: 240
; IeeeMode: 1
; LDSByteSize: 0 bytes/workgroup (compile time only)
; SGPRBlocks: 0
; VGPRBlocks: 0
; NumSGPRsForWavesPerEU: 23
; NumVGPRsForWavesPerEU: 10
; NamedBarCnt: 0
; Occupancy: 16
; WaveLimiterHint : 1
; COMPUTE_PGM_RSRC2:SCRATCH_EN: 0
; COMPUTE_PGM_RSRC2:USER_SGPR: 2
; COMPUTE_PGM_RSRC2:TRAP_HANDLER: 0
; COMPUTE_PGM_RSRC2:TGID_X_EN: 1
; COMPUTE_PGM_RSRC2:TGID_Y_EN: 0
; COMPUTE_PGM_RSRC2:TGID_Z_EN: 0
; COMPUTE_PGM_RSRC2:TIDIG_COMP_CNT: 0
	.section	.text._ZN9rocsparseL21csrmvt_general_kernelILj256ELj64EiiffffEEvbbT2_NS_24const_host_device_scalarIT6_EEPKT1_S7_PKS1_PKT3_PKT4_PT5_21rocsparse_index_base_b,"axG",@progbits,_ZN9rocsparseL21csrmvt_general_kernelILj256ELj64EiiffffEEvbbT2_NS_24const_host_device_scalarIT6_EEPKT1_S7_PKS1_PKT3_PKT4_PT5_21rocsparse_index_base_b,comdat
	.globl	_ZN9rocsparseL21csrmvt_general_kernelILj256ELj64EiiffffEEvbbT2_NS_24const_host_device_scalarIT6_EEPKT1_S7_PKS1_PKT3_PKT4_PT5_21rocsparse_index_base_b ; -- Begin function _ZN9rocsparseL21csrmvt_general_kernelILj256ELj64EiiffffEEvbbT2_NS_24const_host_device_scalarIT6_EEPKT1_S7_PKS1_PKT3_PKT4_PT5_21rocsparse_index_base_b
	.p2align	8
	.type	_ZN9rocsparseL21csrmvt_general_kernelILj256ELj64EiiffffEEvbbT2_NS_24const_host_device_scalarIT6_EEPKT1_S7_PKS1_PKT3_PKT4_PT5_21rocsparse_index_base_b,@function
_ZN9rocsparseL21csrmvt_general_kernelILj256ELj64EiiffffEEvbbT2_NS_24const_host_device_scalarIT6_EEPKT1_S7_PKS1_PKT3_PKT4_PT5_21rocsparse_index_base_b: ; @_ZN9rocsparseL21csrmvt_general_kernelILj256ELj64EiiffffEEvbbT2_NS_24const_host_device_scalarIT6_EEPKT1_S7_PKS1_PKT3_PKT4_PT5_21rocsparse_index_base_b
; %bb.0:
	s_clause 0x1
	s_load_b64 s[2:3], s[0:1], 0x40
	s_load_b128 s[12:15], s[0:1], 0x8
	s_wait_kmcnt 0x0
	s_bitcmp1_b32 s3, 0
	s_cselect_b32 s3, -1, 0
	s_delay_alu instid0(SALU_CYCLE_1)
	s_and_b32 vcc_lo, exec_lo, s3
	s_cbranch_vccnz .LBB10_2
; %bb.1:
	s_load_b32 s12, s[12:13], 0x0
.LBB10_2:
	s_wait_kmcnt 0x0
	s_cmp_eq_f32 s12, 0
	s_cbranch_scc1 .LBB10_20
; %bb.3:
	s_clause 0x3
	s_load_b64 s[16:17], s[0:1], 0x0
	s_load_b32 s3, s[0:1], 0x48
	s_load_b64 s[18:19], s[0:1], 0x38
	s_load_b256 s[4:11], s[0:1], 0x18
	s_wait_xcnt 0x0
	s_bfe_u32 s0, ttmp6, 0x4000c
	s_and_b32 s13, ttmp6, 15
	s_add_co_i32 s0, s0, 1
	s_getreg_b32 s20, hwreg(HW_REG_IB_STS2, 6, 4)
	s_mul_i32 s0, ttmp9, s0
	v_and_b32_e32 v3, 63, v0
	s_add_co_i32 s13, s13, s0
	s_wait_kmcnt 0x0
	s_and_b32 s16, s16, 1
	s_lshl_b32 s1, s3, 2
	s_cmp_eq_u32 s20, 0
	s_mov_b32 s3, -1
	s_cselect_b32 s0, ttmp9, s13
	s_cmp_eq_u32 s16, 0
	v_lshl_or_b32 v1, s0, 8, v0
	s_delay_alu instid0(VALU_DEP_1) | instskip(NEXT) | instid1(VALU_DEP_1)
	v_lshrrev_b32_e32 v2, 6, v1
	v_cmp_gt_i32_e64 s0, s17, v2
	s_cbranch_scc0 .LBB10_11
; %bb.4:
	s_and_saveexec_b32 s3, s0
	s_cbranch_execz .LBB10_10
; %bb.5:
	v_subrev_nc_u32_e32 v4, s2, v3
	v_mov_b32_e32 v0, v2
	s_mov_b32 s13, 0
	s_branch .LBB10_7
.LBB10_6:                               ;   in Loop: Header=BB10_7 Depth=1
	s_or_b32 exec_lo, exec_lo, s16
	v_add_nc_u32_e32 v0, s1, v0
	s_delay_alu instid0(VALU_DEP_1) | instskip(SKIP_1) | instid1(SALU_CYCLE_1)
	v_cmp_le_i32_e32 vcc_lo, s17, v0
	s_or_b32 s13, vcc_lo, s13
	s_and_not1_b32 exec_lo, exec_lo, s13
	s_cbranch_execz .LBB10_10
.LBB10_7:                               ; =>This Loop Header: Depth=1
                                        ;     Child Loop BB10_9 Depth 2
	s_clause 0x1
	global_load_b32 v1, v0, s[4:5] scale_offset
	global_load_b32 v6, v0, s[14:15] scale_offset
	s_mov_b32 s16, exec_lo
	s_wait_loadcnt 0x1
	v_subrev_nc_u32_e32 v5, s2, v1
	s_wait_loadcnt 0x0
	v_add_nc_u32_e32 v6, v6, v4
	s_wait_xcnt 0x0
	s_delay_alu instid0(VALU_DEP_1)
	v_cmpx_lt_i32_e64 v6, v5
	s_cbranch_execz .LBB10_6
; %bb.8:                                ;   in Loop: Header=BB10_7 Depth=1
	v_ashrrev_i32_e32 v1, 31, v0
	s_mov_b32 s20, 0
	s_delay_alu instid0(VALU_DEP_1)
	v_lshl_add_u64 v[8:9], v[0:1], 2, s[10:11]
	global_load_b32 v1, v[8:9], off
	s_wait_loadcnt 0x0
	v_mul_f32_e32 v1, s12, v1
.LBB10_9:                               ;   Parent Loop BB10_7 Depth=1
                                        ; =>  This Inner Loop Header: Depth=2
	s_clause 0x1
	global_load_b32 v7, v6, s[6:7] scale_offset
	global_load_b32 v8, v6, s[8:9] scale_offset
	s_wait_xcnt 0x0
	v_add_nc_u32_e32 v6, 64, v6
	s_delay_alu instid0(VALU_DEP_1)
	v_cmp_ge_i32_e32 vcc_lo, v6, v5
	s_or_b32 s20, vcc_lo, s20
	s_wait_loadcnt 0x1
	v_subrev_nc_u32_e32 v7, s2, v7
	s_wait_loadcnt 0x0
	v_mul_f32_e32 v8, v1, v8
	global_atomic_add_f32 v7, v8, s[18:19] scale_offset scope:SCOPE_DEV
	s_wait_xcnt 0x0
	s_and_not1_b32 exec_lo, exec_lo, s20
	s_cbranch_execnz .LBB10_9
	s_branch .LBB10_6
.LBB10_10:
	s_or_b32 exec_lo, exec_lo, s3
	s_mov_b32 s3, 0
.LBB10_11:
	s_delay_alu instid0(SALU_CYCLE_1)
	s_and_not1_b32 vcc_lo, exec_lo, s3
	s_cbranch_vccnz .LBB10_20
; %bb.12:
	s_and_saveexec_b32 s3, s0
	s_cbranch_execz .LBB10_20
; %bb.13:
	v_subrev_nc_u32_e32 v4, s2, v3
	s_mov_b32 s0, 0
	s_branch .LBB10_15
.LBB10_14:                              ;   in Loop: Header=BB10_15 Depth=1
	s_or_b32 exec_lo, exec_lo, s3
	v_add_nc_u32_e32 v2, s1, v2
	s_delay_alu instid0(VALU_DEP_1) | instskip(SKIP_1) | instid1(SALU_CYCLE_1)
	v_cmp_le_i32_e32 vcc_lo, s17, v2
	s_or_b32 s0, vcc_lo, s0
	s_and_not1_b32 exec_lo, exec_lo, s0
	s_cbranch_execz .LBB10_20
.LBB10_15:                              ; =>This Loop Header: Depth=1
                                        ;     Child Loop BB10_18 Depth 2
	s_clause 0x1
	global_load_b32 v0, v2, s[4:5] scale_offset
	global_load_b32 v1, v2, s[14:15] scale_offset
	s_mov_b32 s3, exec_lo
	s_wait_loadcnt 0x1
	v_subrev_nc_u32_e32 v5, s2, v0
	s_wait_loadcnt 0x0
	v_add_nc_u32_e32 v0, v1, v4
	s_wait_xcnt 0x0
	s_delay_alu instid0(VALU_DEP_1)
	v_cmpx_lt_i32_e64 v0, v5
	s_cbranch_execz .LBB10_14
; %bb.16:                               ;   in Loop: Header=BB10_15 Depth=1
	v_ashrrev_i32_e32 v3, 31, v2
	s_mov_b32 s13, 0
	s_delay_alu instid0(VALU_DEP_1)
	v_lshl_add_u64 v[6:7], v[2:3], 2, s[10:11]
	global_load_b32 v1, v[6:7], off
	s_wait_loadcnt 0x0
	v_mul_f32_e32 v3, s12, v1
	s_branch .LBB10_18
.LBB10_17:                              ;   in Loop: Header=BB10_18 Depth=2
	s_wait_xcnt 0x0
	s_or_b32 exec_lo, exec_lo, s16
	v_add_nc_u32_e32 v0, 64, v0
	s_delay_alu instid0(VALU_DEP_1) | instskip(SKIP_1) | instid1(SALU_CYCLE_1)
	v_cmp_ge_i32_e32 vcc_lo, v0, v5
	s_or_b32 s13, vcc_lo, s13
	s_and_not1_b32 exec_lo, exec_lo, s13
	s_cbranch_execz .LBB10_14
.LBB10_18:                              ;   Parent Loop BB10_15 Depth=1
                                        ; =>  This Inner Loop Header: Depth=2
	global_load_b32 v1, v0, s[6:7] scale_offset
	s_mov_b32 s16, exec_lo
	s_wait_loadcnt 0x0
	s_wait_xcnt 0x1
	v_subrev_nc_u32_e32 v6, s2, v1
	v_ashrrev_i32_e32 v1, 31, v0
	s_wait_xcnt 0x0
	s_delay_alu instid0(VALU_DEP_2)
	v_cmpx_ne_u32_e64 v6, v2
	s_cbranch_execz .LBB10_17
; %bb.19:                               ;   in Loop: Header=BB10_18 Depth=2
	s_delay_alu instid0(VALU_DEP_2)
	v_lshl_add_u64 v[8:9], v[0:1], 2, s[8:9]
	global_load_b32 v1, v[8:9], off
	s_wait_loadcnt 0x0
	v_mul_f32_e32 v1, v3, v1
	s_wait_xcnt 0x0
	global_atomic_add_f32 v6, v1, s[18:19] scale_offset scope:SCOPE_DEV
	s_branch .LBB10_17
.LBB10_20:
	s_endpgm
	.section	.rodata,"a",@progbits
	.p2align	6, 0x0
	.amdhsa_kernel _ZN9rocsparseL21csrmvt_general_kernelILj256ELj64EiiffffEEvbbT2_NS_24const_host_device_scalarIT6_EEPKT1_S7_PKS1_PKT3_PKT4_PT5_21rocsparse_index_base_b
		.amdhsa_group_segment_fixed_size 0
		.amdhsa_private_segment_fixed_size 0
		.amdhsa_kernarg_size 328
		.amdhsa_user_sgpr_count 2
		.amdhsa_user_sgpr_dispatch_ptr 0
		.amdhsa_user_sgpr_queue_ptr 0
		.amdhsa_user_sgpr_kernarg_segment_ptr 1
		.amdhsa_user_sgpr_dispatch_id 0
		.amdhsa_user_sgpr_kernarg_preload_length 0
		.amdhsa_user_sgpr_kernarg_preload_offset 0
		.amdhsa_user_sgpr_private_segment_size 0
		.amdhsa_wavefront_size32 1
		.amdhsa_uses_dynamic_stack 0
		.amdhsa_enable_private_segment 0
		.amdhsa_system_sgpr_workgroup_id_x 1
		.amdhsa_system_sgpr_workgroup_id_y 0
		.amdhsa_system_sgpr_workgroup_id_z 0
		.amdhsa_system_sgpr_workgroup_info 0
		.amdhsa_system_vgpr_workitem_id 0
		.amdhsa_next_free_vgpr 10
		.amdhsa_next_free_sgpr 21
		.amdhsa_named_barrier_count 0
		.amdhsa_reserve_vcc 1
		.amdhsa_float_round_mode_32 0
		.amdhsa_float_round_mode_16_64 0
		.amdhsa_float_denorm_mode_32 3
		.amdhsa_float_denorm_mode_16_64 3
		.amdhsa_fp16_overflow 0
		.amdhsa_memory_ordered 1
		.amdhsa_forward_progress 1
		.amdhsa_inst_pref_size 6
		.amdhsa_round_robin_scheduling 0
		.amdhsa_exception_fp_ieee_invalid_op 0
		.amdhsa_exception_fp_denorm_src 0
		.amdhsa_exception_fp_ieee_div_zero 0
		.amdhsa_exception_fp_ieee_overflow 0
		.amdhsa_exception_fp_ieee_underflow 0
		.amdhsa_exception_fp_ieee_inexact 0
		.amdhsa_exception_int_div_zero 0
	.end_amdhsa_kernel
	.section	.text._ZN9rocsparseL21csrmvt_general_kernelILj256ELj64EiiffffEEvbbT2_NS_24const_host_device_scalarIT6_EEPKT1_S7_PKS1_PKT3_PKT4_PT5_21rocsparse_index_base_b,"axG",@progbits,_ZN9rocsparseL21csrmvt_general_kernelILj256ELj64EiiffffEEvbbT2_NS_24const_host_device_scalarIT6_EEPKT1_S7_PKS1_PKT3_PKT4_PT5_21rocsparse_index_base_b,comdat
.Lfunc_end10:
	.size	_ZN9rocsparseL21csrmvt_general_kernelILj256ELj64EiiffffEEvbbT2_NS_24const_host_device_scalarIT6_EEPKT1_S7_PKS1_PKT3_PKT4_PT5_21rocsparse_index_base_b, .Lfunc_end10-_ZN9rocsparseL21csrmvt_general_kernelILj256ELj64EiiffffEEvbbT2_NS_24const_host_device_scalarIT6_EEPKT1_S7_PKS1_PKT3_PKT4_PT5_21rocsparse_index_base_b
                                        ; -- End function
	.set _ZN9rocsparseL21csrmvt_general_kernelILj256ELj64EiiffffEEvbbT2_NS_24const_host_device_scalarIT6_EEPKT1_S7_PKS1_PKT3_PKT4_PT5_21rocsparse_index_base_b.num_vgpr, 10
	.set _ZN9rocsparseL21csrmvt_general_kernelILj256ELj64EiiffffEEvbbT2_NS_24const_host_device_scalarIT6_EEPKT1_S7_PKS1_PKT3_PKT4_PT5_21rocsparse_index_base_b.num_agpr, 0
	.set _ZN9rocsparseL21csrmvt_general_kernelILj256ELj64EiiffffEEvbbT2_NS_24const_host_device_scalarIT6_EEPKT1_S7_PKS1_PKT3_PKT4_PT5_21rocsparse_index_base_b.numbered_sgpr, 21
	.set _ZN9rocsparseL21csrmvt_general_kernelILj256ELj64EiiffffEEvbbT2_NS_24const_host_device_scalarIT6_EEPKT1_S7_PKS1_PKT3_PKT4_PT5_21rocsparse_index_base_b.num_named_barrier, 0
	.set _ZN9rocsparseL21csrmvt_general_kernelILj256ELj64EiiffffEEvbbT2_NS_24const_host_device_scalarIT6_EEPKT1_S7_PKS1_PKT3_PKT4_PT5_21rocsparse_index_base_b.private_seg_size, 0
	.set _ZN9rocsparseL21csrmvt_general_kernelILj256ELj64EiiffffEEvbbT2_NS_24const_host_device_scalarIT6_EEPKT1_S7_PKS1_PKT3_PKT4_PT5_21rocsparse_index_base_b.uses_vcc, 1
	.set _ZN9rocsparseL21csrmvt_general_kernelILj256ELj64EiiffffEEvbbT2_NS_24const_host_device_scalarIT6_EEPKT1_S7_PKS1_PKT3_PKT4_PT5_21rocsparse_index_base_b.uses_flat_scratch, 0
	.set _ZN9rocsparseL21csrmvt_general_kernelILj256ELj64EiiffffEEvbbT2_NS_24const_host_device_scalarIT6_EEPKT1_S7_PKS1_PKT3_PKT4_PT5_21rocsparse_index_base_b.has_dyn_sized_stack, 0
	.set _ZN9rocsparseL21csrmvt_general_kernelILj256ELj64EiiffffEEvbbT2_NS_24const_host_device_scalarIT6_EEPKT1_S7_PKS1_PKT3_PKT4_PT5_21rocsparse_index_base_b.has_recursion, 0
	.set _ZN9rocsparseL21csrmvt_general_kernelILj256ELj64EiiffffEEvbbT2_NS_24const_host_device_scalarIT6_EEPKT1_S7_PKS1_PKT3_PKT4_PT5_21rocsparse_index_base_b.has_indirect_call, 0
	.section	.AMDGPU.csdata,"",@progbits
; Kernel info:
; codeLenInByte = 764
; TotalNumSgprs: 23
; NumVgprs: 10
; ScratchSize: 0
; MemoryBound: 0
; FloatMode: 240
; IeeeMode: 1
; LDSByteSize: 0 bytes/workgroup (compile time only)
; SGPRBlocks: 0
; VGPRBlocks: 0
; NumSGPRsForWavesPerEU: 23
; NumVGPRsForWavesPerEU: 10
; NamedBarCnt: 0
; Occupancy: 16
; WaveLimiterHint : 1
; COMPUTE_PGM_RSRC2:SCRATCH_EN: 0
; COMPUTE_PGM_RSRC2:USER_SGPR: 2
; COMPUTE_PGM_RSRC2:TRAP_HANDLER: 0
; COMPUTE_PGM_RSRC2:TGID_X_EN: 1
; COMPUTE_PGM_RSRC2:TGID_Y_EN: 0
; COMPUTE_PGM_RSRC2:TGID_Z_EN: 0
; COMPUTE_PGM_RSRC2:TIDIG_COMP_CNT: 0
	.section	.text._ZN9rocsparseL21csrmvn_general_kernelILj256ELj2EliffffEEvbT2_NS_24const_host_device_scalarIT6_EEPKT1_S7_PKS1_PKT3_PKT4_S4_PT5_21rocsparse_index_base_b,"axG",@progbits,_ZN9rocsparseL21csrmvn_general_kernelILj256ELj2EliffffEEvbT2_NS_24const_host_device_scalarIT6_EEPKT1_S7_PKS1_PKT3_PKT4_S4_PT5_21rocsparse_index_base_b,comdat
	.globl	_ZN9rocsparseL21csrmvn_general_kernelILj256ELj2EliffffEEvbT2_NS_24const_host_device_scalarIT6_EEPKT1_S7_PKS1_PKT3_PKT4_S4_PT5_21rocsparse_index_base_b ; -- Begin function _ZN9rocsparseL21csrmvn_general_kernelILj256ELj2EliffffEEvbT2_NS_24const_host_device_scalarIT6_EEPKT1_S7_PKS1_PKT3_PKT4_S4_PT5_21rocsparse_index_base_b
	.p2align	8
	.type	_ZN9rocsparseL21csrmvn_general_kernelILj256ELj2EliffffEEvbT2_NS_24const_host_device_scalarIT6_EEPKT1_S7_PKS1_PKT3_PKT4_S4_PT5_21rocsparse_index_base_b,@function
_ZN9rocsparseL21csrmvn_general_kernelILj256ELj2EliffffEEvbT2_NS_24const_host_device_scalarIT6_EEPKT1_S7_PKS1_PKT3_PKT4_S4_PT5_21rocsparse_index_base_b: ; @_ZN9rocsparseL21csrmvn_general_kernelILj256ELj2EliffffEEvbT2_NS_24const_host_device_scalarIT6_EEPKT1_S7_PKS1_PKT3_PKT4_S4_PT5_21rocsparse_index_base_b
; %bb.0:
	s_clause 0x2
	s_load_b64 s[2:3], s[0:1], 0x48
	s_load_b128 s[12:15], s[0:1], 0x8
	s_load_b64 s[16:17], s[0:1], 0x38
	s_wait_kmcnt 0x0
	s_bitcmp1_b32 s3, 0
	s_cselect_b32 s3, -1, 0
	s_delay_alu instid0(SALU_CYCLE_1)
	s_and_b32 vcc_lo, exec_lo, s3
	s_xor_b32 s3, s3, -1
	s_cbranch_vccnz .LBB11_2
; %bb.1:
	s_load_b32 s12, s[12:13], 0x0
.LBB11_2:
	s_and_not1_b32 vcc_lo, exec_lo, s3
	s_cbranch_vccnz .LBB11_4
; %bb.3:
	s_load_b32 s16, s[16:17], 0x0
.LBB11_4:
	s_wait_kmcnt 0x0
	s_cmp_neq_f32 s12, 0
	s_cselect_b32 s3, -1, 0
	s_cmp_neq_f32 s16, 1.0
	s_cselect_b32 s4, -1, 0
	s_delay_alu instid0(SALU_CYCLE_1) | instskip(NEXT) | instid1(SALU_CYCLE_1)
	s_or_b32 s3, s3, s4
	s_and_not1_b32 vcc_lo, exec_lo, s3
	s_cbranch_vccnz .LBB11_16
; %bb.5:
	s_bfe_u32 s3, ttmp6, 0x4000c
	s_load_b32 s13, s[0:1], 0x4
	s_add_co_i32 s3, s3, 1
	s_and_b32 s4, ttmp6, 15
	s_mul_i32 s3, ttmp9, s3
	s_getreg_b32 s5, hwreg(HW_REG_IB_STS2, 6, 4)
	s_add_co_i32 s4, s4, s3
	s_cmp_eq_u32 s5, 0
	s_cselect_b32 s3, ttmp9, s4
	s_delay_alu instid0(SALU_CYCLE_1) | instskip(SKIP_1) | instid1(VALU_DEP_1)
	v_lshl_or_b32 v1, s3, 8, v0
	s_mov_b32 s3, exec_lo
	v_lshrrev_b32_e32 v2, 1, v1
	s_wait_kmcnt 0x0
	s_delay_alu instid0(VALU_DEP_1)
	v_cmpx_gt_i32_e64 s13, v2
	s_cbranch_execz .LBB11_16
; %bb.6:
	s_clause 0x1
	s_load_b32 s17, s[0:1], 0x50
	s_load_b256 s[4:11], s[0:1], 0x18
	v_mbcnt_lo_u32_b32 v1, -1, 0
	s_load_b64 s[18:19], s[0:1], 0x40
	v_dual_mov_b32 v5, 0 :: v_dual_bitop2_b32 v4, 1, v0 bitop3:0x40
	s_mov_b32 s3, 0
	s_delay_alu instid0(VALU_DEP_2) | instskip(SKIP_3) | instid1(SALU_CYCLE_1)
	v_xor_b32_e32 v0, 1, v1
	s_wait_xcnt 0x0
	s_ashr_i32 s1, s2, 31
	s_mov_b32 s0, s2
	s_lshl_b64 s[20:21], s[0:1], 2
	v_cmp_gt_i32_e32 vcc_lo, 32, v0
	v_cmp_eq_u32_e64 s0, 1, v4
	v_cndmask_b32_e32 v3, v1, v0, vcc_lo
	v_sub_nc_u64_e64 v[0:1], v[4:5], s[2:3]
	s_wait_kmcnt 0x0
	s_lshl_b32 s1, s17, 7
	s_cmp_neq_f32 s16, 0
	v_lshlrev_b32_e32 v12, 2, v3
	s_sub_nc_u64 s[10:11], s[10:11], s[20:21]
	s_mov_b32 s20, s3
	s_cselect_b32 s17, -1, 0
	s_branch .LBB11_9
.LBB11_7:                               ;   in Loop: Header=BB11_9 Depth=1
	global_store_b32 v[4:5], v6, off
.LBB11_8:                               ;   in Loop: Header=BB11_9 Depth=1
	s_wait_xcnt 0x0
	s_or_b32 exec_lo, exec_lo, s21
	v_add_nc_u32_e32 v2, s1, v2
	s_delay_alu instid0(VALU_DEP_1) | instskip(SKIP_1) | instid1(SALU_CYCLE_1)
	v_cmp_le_i32_e32 vcc_lo, s13, v2
	s_or_b32 s20, vcc_lo, s20
	s_and_not1_b32 exec_lo, exec_lo, s20
	s_cbranch_execz .LBB11_16
.LBB11_9:                               ; =>This Loop Header: Depth=1
                                        ;     Child Loop BB11_11 Depth 2
	s_wait_dscnt 0x0
	s_clause 0x1
	global_load_b64 v[4:5], v2, s[4:5] scale_offset
	global_load_b64 v[6:7], v2, s[14:15] scale_offset
	v_mov_b32_e32 v13, 0
	s_mov_b32 s21, exec_lo
	s_wait_loadcnt 0x1
	v_sub_nc_u64_e64 v[4:5], v[4:5], s[2:3]
	s_wait_loadcnt 0x0
	v_add_nc_u64_e32 v[6:7], v[6:7], v[0:1]
	s_wait_xcnt 0x0
	s_delay_alu instid0(VALU_DEP_1)
	v_cmpx_lt_i64_e64 v[6:7], v[4:5]
	s_cbranch_execz .LBB11_13
; %bb.10:                               ;   in Loop: Header=BB11_9 Depth=1
	v_lshlrev_b64_e32 v[10:11], 2, v[6:7]
	v_mov_b32_e32 v13, 0
	s_mov_b32 s22, 0
	s_delay_alu instid0(VALU_DEP_2)
	v_add_nc_u64_e32 v[8:9], s[8:9], v[10:11]
	v_add_nc_u64_e32 v[10:11], s[6:7], v[10:11]
.LBB11_11:                              ;   Parent Loop BB11_9 Depth=1
                                        ; =>  This Inner Loop Header: Depth=2
	global_load_b32 v3, v[10:11], off
	global_load_b32 v14, v[8:9], off
	v_add_nc_u64_e32 v[6:7], 2, v[6:7]
	s_wait_xcnt 0x0
	v_add_nc_u64_e32 v[8:9], 8, v[8:9]
	v_add_nc_u64_e32 v[10:11], 8, v[10:11]
	s_delay_alu instid0(VALU_DEP_3)
	v_cmp_ge_i64_e32 vcc_lo, v[6:7], v[4:5]
	s_or_b32 s22, vcc_lo, s22
	s_wait_loadcnt 0x1
	global_load_b32 v3, v3, s[10:11] scale_offset
	s_wait_loadcnt 0x1
	v_mul_f32_e32 v14, s12, v14
	s_wait_loadcnt 0x0
	s_delay_alu instid0(VALU_DEP_1)
	v_fmac_f32_e32 v13, v14, v3
	s_wait_xcnt 0x0
	s_and_not1_b32 exec_lo, exec_lo, s22
	s_cbranch_execnz .LBB11_11
; %bb.12:                               ;   in Loop: Header=BB11_9 Depth=1
	s_or_b32 exec_lo, exec_lo, s22
.LBB11_13:                              ;   in Loop: Header=BB11_9 Depth=1
	s_delay_alu instid0(SALU_CYCLE_1)
	s_or_b32 exec_lo, exec_lo, s21
	ds_bpermute_b32 v4, v12, v13
	v_ashrrev_i32_e32 v3, 31, v2
	s_and_saveexec_b32 s21, s0
	s_cbranch_execz .LBB11_8
; %bb.14:                               ;   in Loop: Header=BB11_9 Depth=1
	s_wait_dscnt 0x0
	v_add_f32_e32 v6, v13, v4
	v_lshl_add_u64 v[4:5], v[2:3], 2, s[18:19]
	s_and_not1_b32 vcc_lo, exec_lo, s17
	s_cbranch_vccnz .LBB11_7
; %bb.15:                               ;   in Loop: Header=BB11_9 Depth=1
	global_load_b32 v3, v[4:5], off
	s_wait_loadcnt 0x0
	v_fmac_f32_e32 v6, s16, v3
	s_branch .LBB11_7
.LBB11_16:
	s_endpgm
	.section	.rodata,"a",@progbits
	.p2align	6, 0x0
	.amdhsa_kernel _ZN9rocsparseL21csrmvn_general_kernelILj256ELj2EliffffEEvbT2_NS_24const_host_device_scalarIT6_EEPKT1_S7_PKS1_PKT3_PKT4_S4_PT5_21rocsparse_index_base_b
		.amdhsa_group_segment_fixed_size 0
		.amdhsa_private_segment_fixed_size 0
		.amdhsa_kernarg_size 336
		.amdhsa_user_sgpr_count 2
		.amdhsa_user_sgpr_dispatch_ptr 0
		.amdhsa_user_sgpr_queue_ptr 0
		.amdhsa_user_sgpr_kernarg_segment_ptr 1
		.amdhsa_user_sgpr_dispatch_id 0
		.amdhsa_user_sgpr_kernarg_preload_length 0
		.amdhsa_user_sgpr_kernarg_preload_offset 0
		.amdhsa_user_sgpr_private_segment_size 0
		.amdhsa_wavefront_size32 1
		.amdhsa_uses_dynamic_stack 0
		.amdhsa_enable_private_segment 0
		.amdhsa_system_sgpr_workgroup_id_x 1
		.amdhsa_system_sgpr_workgroup_id_y 0
		.amdhsa_system_sgpr_workgroup_id_z 0
		.amdhsa_system_sgpr_workgroup_info 0
		.amdhsa_system_vgpr_workitem_id 0
		.amdhsa_next_free_vgpr 15
		.amdhsa_next_free_sgpr 23
		.amdhsa_named_barrier_count 0
		.amdhsa_reserve_vcc 1
		.amdhsa_float_round_mode_32 0
		.amdhsa_float_round_mode_16_64 0
		.amdhsa_float_denorm_mode_32 3
		.amdhsa_float_denorm_mode_16_64 3
		.amdhsa_fp16_overflow 0
		.amdhsa_memory_ordered 1
		.amdhsa_forward_progress 1
		.amdhsa_inst_pref_size 6
		.amdhsa_round_robin_scheduling 0
		.amdhsa_exception_fp_ieee_invalid_op 0
		.amdhsa_exception_fp_denorm_src 0
		.amdhsa_exception_fp_ieee_div_zero 0
		.amdhsa_exception_fp_ieee_overflow 0
		.amdhsa_exception_fp_ieee_underflow 0
		.amdhsa_exception_fp_ieee_inexact 0
		.amdhsa_exception_int_div_zero 0
	.end_amdhsa_kernel
	.section	.text._ZN9rocsparseL21csrmvn_general_kernelILj256ELj2EliffffEEvbT2_NS_24const_host_device_scalarIT6_EEPKT1_S7_PKS1_PKT3_PKT4_S4_PT5_21rocsparse_index_base_b,"axG",@progbits,_ZN9rocsparseL21csrmvn_general_kernelILj256ELj2EliffffEEvbT2_NS_24const_host_device_scalarIT6_EEPKT1_S7_PKS1_PKT3_PKT4_S4_PT5_21rocsparse_index_base_b,comdat
.Lfunc_end11:
	.size	_ZN9rocsparseL21csrmvn_general_kernelILj256ELj2EliffffEEvbT2_NS_24const_host_device_scalarIT6_EEPKT1_S7_PKS1_PKT3_PKT4_S4_PT5_21rocsparse_index_base_b, .Lfunc_end11-_ZN9rocsparseL21csrmvn_general_kernelILj256ELj2EliffffEEvbT2_NS_24const_host_device_scalarIT6_EEPKT1_S7_PKS1_PKT3_PKT4_S4_PT5_21rocsparse_index_base_b
                                        ; -- End function
	.set _ZN9rocsparseL21csrmvn_general_kernelILj256ELj2EliffffEEvbT2_NS_24const_host_device_scalarIT6_EEPKT1_S7_PKS1_PKT3_PKT4_S4_PT5_21rocsparse_index_base_b.num_vgpr, 15
	.set _ZN9rocsparseL21csrmvn_general_kernelILj256ELj2EliffffEEvbT2_NS_24const_host_device_scalarIT6_EEPKT1_S7_PKS1_PKT3_PKT4_S4_PT5_21rocsparse_index_base_b.num_agpr, 0
	.set _ZN9rocsparseL21csrmvn_general_kernelILj256ELj2EliffffEEvbT2_NS_24const_host_device_scalarIT6_EEPKT1_S7_PKS1_PKT3_PKT4_S4_PT5_21rocsparse_index_base_b.numbered_sgpr, 23
	.set _ZN9rocsparseL21csrmvn_general_kernelILj256ELj2EliffffEEvbT2_NS_24const_host_device_scalarIT6_EEPKT1_S7_PKS1_PKT3_PKT4_S4_PT5_21rocsparse_index_base_b.num_named_barrier, 0
	.set _ZN9rocsparseL21csrmvn_general_kernelILj256ELj2EliffffEEvbT2_NS_24const_host_device_scalarIT6_EEPKT1_S7_PKS1_PKT3_PKT4_S4_PT5_21rocsparse_index_base_b.private_seg_size, 0
	.set _ZN9rocsparseL21csrmvn_general_kernelILj256ELj2EliffffEEvbT2_NS_24const_host_device_scalarIT6_EEPKT1_S7_PKS1_PKT3_PKT4_S4_PT5_21rocsparse_index_base_b.uses_vcc, 1
	.set _ZN9rocsparseL21csrmvn_general_kernelILj256ELj2EliffffEEvbT2_NS_24const_host_device_scalarIT6_EEPKT1_S7_PKS1_PKT3_PKT4_S4_PT5_21rocsparse_index_base_b.uses_flat_scratch, 0
	.set _ZN9rocsparseL21csrmvn_general_kernelILj256ELj2EliffffEEvbT2_NS_24const_host_device_scalarIT6_EEPKT1_S7_PKS1_PKT3_PKT4_S4_PT5_21rocsparse_index_base_b.has_dyn_sized_stack, 0
	.set _ZN9rocsparseL21csrmvn_general_kernelILj256ELj2EliffffEEvbT2_NS_24const_host_device_scalarIT6_EEPKT1_S7_PKS1_PKT3_PKT4_S4_PT5_21rocsparse_index_base_b.has_recursion, 0
	.set _ZN9rocsparseL21csrmvn_general_kernelILj256ELj2EliffffEEvbT2_NS_24const_host_device_scalarIT6_EEPKT1_S7_PKS1_PKT3_PKT4_S4_PT5_21rocsparse_index_base_b.has_indirect_call, 0
	.section	.AMDGPU.csdata,"",@progbits
; Kernel info:
; codeLenInByte = 664
; TotalNumSgprs: 25
; NumVgprs: 15
; ScratchSize: 0
; MemoryBound: 0
; FloatMode: 240
; IeeeMode: 1
; LDSByteSize: 0 bytes/workgroup (compile time only)
; SGPRBlocks: 0
; VGPRBlocks: 0
; NumSGPRsForWavesPerEU: 25
; NumVGPRsForWavesPerEU: 15
; NamedBarCnt: 0
; Occupancy: 16
; WaveLimiterHint : 1
; COMPUTE_PGM_RSRC2:SCRATCH_EN: 0
; COMPUTE_PGM_RSRC2:USER_SGPR: 2
; COMPUTE_PGM_RSRC2:TRAP_HANDLER: 0
; COMPUTE_PGM_RSRC2:TGID_X_EN: 1
; COMPUTE_PGM_RSRC2:TGID_Y_EN: 0
; COMPUTE_PGM_RSRC2:TGID_Z_EN: 0
; COMPUTE_PGM_RSRC2:TIDIG_COMP_CNT: 0
	.section	.text._ZN9rocsparseL21csrmvn_general_kernelILj256ELj4EliffffEEvbT2_NS_24const_host_device_scalarIT6_EEPKT1_S7_PKS1_PKT3_PKT4_S4_PT5_21rocsparse_index_base_b,"axG",@progbits,_ZN9rocsparseL21csrmvn_general_kernelILj256ELj4EliffffEEvbT2_NS_24const_host_device_scalarIT6_EEPKT1_S7_PKS1_PKT3_PKT4_S4_PT5_21rocsparse_index_base_b,comdat
	.globl	_ZN9rocsparseL21csrmvn_general_kernelILj256ELj4EliffffEEvbT2_NS_24const_host_device_scalarIT6_EEPKT1_S7_PKS1_PKT3_PKT4_S4_PT5_21rocsparse_index_base_b ; -- Begin function _ZN9rocsparseL21csrmvn_general_kernelILj256ELj4EliffffEEvbT2_NS_24const_host_device_scalarIT6_EEPKT1_S7_PKS1_PKT3_PKT4_S4_PT5_21rocsparse_index_base_b
	.p2align	8
	.type	_ZN9rocsparseL21csrmvn_general_kernelILj256ELj4EliffffEEvbT2_NS_24const_host_device_scalarIT6_EEPKT1_S7_PKS1_PKT3_PKT4_S4_PT5_21rocsparse_index_base_b,@function
_ZN9rocsparseL21csrmvn_general_kernelILj256ELj4EliffffEEvbT2_NS_24const_host_device_scalarIT6_EEPKT1_S7_PKS1_PKT3_PKT4_S4_PT5_21rocsparse_index_base_b: ; @_ZN9rocsparseL21csrmvn_general_kernelILj256ELj4EliffffEEvbT2_NS_24const_host_device_scalarIT6_EEPKT1_S7_PKS1_PKT3_PKT4_S4_PT5_21rocsparse_index_base_b
; %bb.0:
	s_clause 0x2
	s_load_b64 s[2:3], s[0:1], 0x48
	s_load_b128 s[12:15], s[0:1], 0x8
	s_load_b64 s[16:17], s[0:1], 0x38
	s_wait_kmcnt 0x0
	s_bitcmp1_b32 s3, 0
	s_cselect_b32 s3, -1, 0
	s_delay_alu instid0(SALU_CYCLE_1)
	s_and_b32 vcc_lo, exec_lo, s3
	s_xor_b32 s3, s3, -1
	s_cbranch_vccnz .LBB12_2
; %bb.1:
	s_load_b32 s12, s[12:13], 0x0
.LBB12_2:
	s_and_not1_b32 vcc_lo, exec_lo, s3
	s_cbranch_vccnz .LBB12_4
; %bb.3:
	s_load_b32 s16, s[16:17], 0x0
.LBB12_4:
	s_wait_kmcnt 0x0
	s_cmp_neq_f32 s12, 0
	s_cselect_b32 s3, -1, 0
	s_cmp_neq_f32 s16, 1.0
	s_cselect_b32 s4, -1, 0
	s_delay_alu instid0(SALU_CYCLE_1) | instskip(NEXT) | instid1(SALU_CYCLE_1)
	s_or_b32 s3, s3, s4
	s_and_not1_b32 vcc_lo, exec_lo, s3
	s_cbranch_vccnz .LBB12_16
; %bb.5:
	s_bfe_u32 s3, ttmp6, 0x4000c
	s_load_b32 s13, s[0:1], 0x4
	s_add_co_i32 s3, s3, 1
	s_and_b32 s4, ttmp6, 15
	s_mul_i32 s3, ttmp9, s3
	s_getreg_b32 s5, hwreg(HW_REG_IB_STS2, 6, 4)
	s_add_co_i32 s4, s4, s3
	s_cmp_eq_u32 s5, 0
	s_cselect_b32 s3, ttmp9, s4
	s_delay_alu instid0(SALU_CYCLE_1) | instskip(SKIP_1) | instid1(VALU_DEP_1)
	v_lshl_or_b32 v1, s3, 8, v0
	s_mov_b32 s3, exec_lo
	v_lshrrev_b32_e32 v2, 2, v1
	s_wait_kmcnt 0x0
	s_delay_alu instid0(VALU_DEP_1)
	v_cmpx_gt_i32_e64 s13, v2
	s_cbranch_execz .LBB12_16
; %bb.6:
	v_mbcnt_lo_u32_b32 v3, -1, 0
	s_clause 0x2
	s_load_b32 s17, s[0:1], 0x50
	s_load_b64 s[18:19], s[0:1], 0x40
	s_load_b256 s[4:11], s[0:1], 0x18
	v_dual_mov_b32 v5, 0 :: v_dual_bitop2_b32 v4, 3, v0 bitop3:0x40
	s_mov_b32 s3, 0
	v_xor_b32_e32 v6, 2, v3
	s_wait_xcnt 0x0
	s_ashr_i32 s1, s2, 31
	s_mov_b32 s0, s2
	v_sub_nc_u64_e64 v[0:1], v[4:5], s[2:3]
	s_lshl_b64 s[20:21], s[0:1], 2
	v_cmp_gt_i32_e32 vcc_lo, 32, v6
	v_xor_b32_e32 v7, 1, v3
	v_cmp_eq_u32_e64 s0, 3, v4
	v_cndmask_b32_e32 v5, v3, v6, vcc_lo
	s_delay_alu instid0(VALU_DEP_3)
	v_cmp_gt_i32_e32 vcc_lo, 32, v7
	s_wait_kmcnt 0x0
	s_lshl_b32 s1, s17, 6
	s_cmp_neq_f32 s16, 0
	v_dual_cndmask_b32 v3, v3, v7 :: v_dual_lshlrev_b32 v12, 2, v5
	s_sub_nc_u64 s[10:11], s[10:11], s[20:21]
	s_cselect_b32 s17, -1, 0
	s_mov_b32 s20, s3
	s_delay_alu instid0(VALU_DEP_1)
	v_lshlrev_b32_e32 v13, 2, v3
	s_branch .LBB12_9
.LBB12_7:                               ;   in Loop: Header=BB12_9 Depth=1
	global_store_b32 v[4:5], v6, off
.LBB12_8:                               ;   in Loop: Header=BB12_9 Depth=1
	s_wait_xcnt 0x0
	s_or_b32 exec_lo, exec_lo, s21
	v_add_nc_u32_e32 v2, s1, v2
	s_delay_alu instid0(VALU_DEP_1) | instskip(SKIP_1) | instid1(SALU_CYCLE_1)
	v_cmp_le_i32_e32 vcc_lo, s13, v2
	s_or_b32 s20, vcc_lo, s20
	s_and_not1_b32 exec_lo, exec_lo, s20
	s_cbranch_execz .LBB12_16
.LBB12_9:                               ; =>This Loop Header: Depth=1
                                        ;     Child Loop BB12_11 Depth 2
	s_wait_dscnt 0x0
	s_clause 0x1
	global_load_b64 v[4:5], v2, s[4:5] scale_offset
	global_load_b64 v[6:7], v2, s[14:15] scale_offset
	v_mov_b32_e32 v14, 0
	s_mov_b32 s21, exec_lo
	s_wait_loadcnt 0x1
	v_sub_nc_u64_e64 v[4:5], v[4:5], s[2:3]
	s_wait_loadcnt 0x0
	v_add_nc_u64_e32 v[6:7], v[6:7], v[0:1]
	s_wait_xcnt 0x0
	s_delay_alu instid0(VALU_DEP_1)
	v_cmpx_lt_i64_e64 v[6:7], v[4:5]
	s_cbranch_execz .LBB12_13
; %bb.10:                               ;   in Loop: Header=BB12_9 Depth=1
	v_lshlrev_b64_e32 v[10:11], 2, v[6:7]
	v_mov_b32_e32 v14, 0
	s_mov_b32 s22, 0
	s_delay_alu instid0(VALU_DEP_2)
	v_add_nc_u64_e32 v[8:9], s[8:9], v[10:11]
	v_add_nc_u64_e32 v[10:11], s[6:7], v[10:11]
.LBB12_11:                              ;   Parent Loop BB12_9 Depth=1
                                        ; =>  This Inner Loop Header: Depth=2
	global_load_b32 v3, v[10:11], off
	global_load_b32 v15, v[8:9], off
	v_add_nc_u64_e32 v[6:7], 4, v[6:7]
	s_wait_xcnt 0x0
	v_add_nc_u64_e32 v[8:9], 16, v[8:9]
	v_add_nc_u64_e32 v[10:11], 16, v[10:11]
	s_delay_alu instid0(VALU_DEP_3)
	v_cmp_ge_i64_e32 vcc_lo, v[6:7], v[4:5]
	s_or_b32 s22, vcc_lo, s22
	s_wait_loadcnt 0x1
	global_load_b32 v3, v3, s[10:11] scale_offset
	s_wait_loadcnt 0x1
	v_mul_f32_e32 v15, s12, v15
	s_wait_loadcnt 0x0
	s_delay_alu instid0(VALU_DEP_1)
	v_fmac_f32_e32 v14, v15, v3
	s_wait_xcnt 0x0
	s_and_not1_b32 exec_lo, exec_lo, s22
	s_cbranch_execnz .LBB12_11
; %bb.12:                               ;   in Loop: Header=BB12_9 Depth=1
	s_or_b32 exec_lo, exec_lo, s22
.LBB12_13:                              ;   in Loop: Header=BB12_9 Depth=1
	s_delay_alu instid0(SALU_CYCLE_1)
	s_or_b32 exec_lo, exec_lo, s21
	ds_bpermute_b32 v4, v12, v14
	s_wait_dscnt 0x0
	v_dual_add_f32 v4, v14, v4 :: v_dual_ashrrev_i32 v3, 31, v2
	ds_bpermute_b32 v5, v13, v4
	s_and_saveexec_b32 s21, s0
	s_cbranch_execz .LBB12_8
; %bb.14:                               ;   in Loop: Header=BB12_9 Depth=1
	s_wait_dscnt 0x0
	v_add_f32_e32 v6, v4, v5
	v_lshl_add_u64 v[4:5], v[2:3], 2, s[18:19]
	s_and_not1_b32 vcc_lo, exec_lo, s17
	s_cbranch_vccnz .LBB12_7
; %bb.15:                               ;   in Loop: Header=BB12_9 Depth=1
	global_load_b32 v3, v[4:5], off
	s_wait_loadcnt 0x0
	v_fmac_f32_e32 v6, s16, v3
	s_branch .LBB12_7
.LBB12_16:
	s_endpgm
	.section	.rodata,"a",@progbits
	.p2align	6, 0x0
	.amdhsa_kernel _ZN9rocsparseL21csrmvn_general_kernelILj256ELj4EliffffEEvbT2_NS_24const_host_device_scalarIT6_EEPKT1_S7_PKS1_PKT3_PKT4_S4_PT5_21rocsparse_index_base_b
		.amdhsa_group_segment_fixed_size 0
		.amdhsa_private_segment_fixed_size 0
		.amdhsa_kernarg_size 336
		.amdhsa_user_sgpr_count 2
		.amdhsa_user_sgpr_dispatch_ptr 0
		.amdhsa_user_sgpr_queue_ptr 0
		.amdhsa_user_sgpr_kernarg_segment_ptr 1
		.amdhsa_user_sgpr_dispatch_id 0
		.amdhsa_user_sgpr_kernarg_preload_length 0
		.amdhsa_user_sgpr_kernarg_preload_offset 0
		.amdhsa_user_sgpr_private_segment_size 0
		.amdhsa_wavefront_size32 1
		.amdhsa_uses_dynamic_stack 0
		.amdhsa_enable_private_segment 0
		.amdhsa_system_sgpr_workgroup_id_x 1
		.amdhsa_system_sgpr_workgroup_id_y 0
		.amdhsa_system_sgpr_workgroup_id_z 0
		.amdhsa_system_sgpr_workgroup_info 0
		.amdhsa_system_vgpr_workitem_id 0
		.amdhsa_next_free_vgpr 16
		.amdhsa_next_free_sgpr 23
		.amdhsa_named_barrier_count 0
		.amdhsa_reserve_vcc 1
		.amdhsa_float_round_mode_32 0
		.amdhsa_float_round_mode_16_64 0
		.amdhsa_float_denorm_mode_32 3
		.amdhsa_float_denorm_mode_16_64 3
		.amdhsa_fp16_overflow 0
		.amdhsa_memory_ordered 1
		.amdhsa_forward_progress 1
		.amdhsa_inst_pref_size 6
		.amdhsa_round_robin_scheduling 0
		.amdhsa_exception_fp_ieee_invalid_op 0
		.amdhsa_exception_fp_denorm_src 0
		.amdhsa_exception_fp_ieee_div_zero 0
		.amdhsa_exception_fp_ieee_overflow 0
		.amdhsa_exception_fp_ieee_underflow 0
		.amdhsa_exception_fp_ieee_inexact 0
		.amdhsa_exception_int_div_zero 0
	.end_amdhsa_kernel
	.section	.text._ZN9rocsparseL21csrmvn_general_kernelILj256ELj4EliffffEEvbT2_NS_24const_host_device_scalarIT6_EEPKT1_S7_PKS1_PKT3_PKT4_S4_PT5_21rocsparse_index_base_b,"axG",@progbits,_ZN9rocsparseL21csrmvn_general_kernelILj256ELj4EliffffEEvbT2_NS_24const_host_device_scalarIT6_EEPKT1_S7_PKS1_PKT3_PKT4_S4_PT5_21rocsparse_index_base_b,comdat
.Lfunc_end12:
	.size	_ZN9rocsparseL21csrmvn_general_kernelILj256ELj4EliffffEEvbT2_NS_24const_host_device_scalarIT6_EEPKT1_S7_PKS1_PKT3_PKT4_S4_PT5_21rocsparse_index_base_b, .Lfunc_end12-_ZN9rocsparseL21csrmvn_general_kernelILj256ELj4EliffffEEvbT2_NS_24const_host_device_scalarIT6_EEPKT1_S7_PKS1_PKT3_PKT4_S4_PT5_21rocsparse_index_base_b
                                        ; -- End function
	.set _ZN9rocsparseL21csrmvn_general_kernelILj256ELj4EliffffEEvbT2_NS_24const_host_device_scalarIT6_EEPKT1_S7_PKS1_PKT3_PKT4_S4_PT5_21rocsparse_index_base_b.num_vgpr, 16
	.set _ZN9rocsparseL21csrmvn_general_kernelILj256ELj4EliffffEEvbT2_NS_24const_host_device_scalarIT6_EEPKT1_S7_PKS1_PKT3_PKT4_S4_PT5_21rocsparse_index_base_b.num_agpr, 0
	.set _ZN9rocsparseL21csrmvn_general_kernelILj256ELj4EliffffEEvbT2_NS_24const_host_device_scalarIT6_EEPKT1_S7_PKS1_PKT3_PKT4_S4_PT5_21rocsparse_index_base_b.numbered_sgpr, 23
	.set _ZN9rocsparseL21csrmvn_general_kernelILj256ELj4EliffffEEvbT2_NS_24const_host_device_scalarIT6_EEPKT1_S7_PKS1_PKT3_PKT4_S4_PT5_21rocsparse_index_base_b.num_named_barrier, 0
	.set _ZN9rocsparseL21csrmvn_general_kernelILj256ELj4EliffffEEvbT2_NS_24const_host_device_scalarIT6_EEPKT1_S7_PKS1_PKT3_PKT4_S4_PT5_21rocsparse_index_base_b.private_seg_size, 0
	.set _ZN9rocsparseL21csrmvn_general_kernelILj256ELj4EliffffEEvbT2_NS_24const_host_device_scalarIT6_EEPKT1_S7_PKS1_PKT3_PKT4_S4_PT5_21rocsparse_index_base_b.uses_vcc, 1
	.set _ZN9rocsparseL21csrmvn_general_kernelILj256ELj4EliffffEEvbT2_NS_24const_host_device_scalarIT6_EEPKT1_S7_PKS1_PKT3_PKT4_S4_PT5_21rocsparse_index_base_b.uses_flat_scratch, 0
	.set _ZN9rocsparseL21csrmvn_general_kernelILj256ELj4EliffffEEvbT2_NS_24const_host_device_scalarIT6_EEPKT1_S7_PKS1_PKT3_PKT4_S4_PT5_21rocsparse_index_base_b.has_dyn_sized_stack, 0
	.set _ZN9rocsparseL21csrmvn_general_kernelILj256ELj4EliffffEEvbT2_NS_24const_host_device_scalarIT6_EEPKT1_S7_PKS1_PKT3_PKT4_S4_PT5_21rocsparse_index_base_b.has_recursion, 0
	.set _ZN9rocsparseL21csrmvn_general_kernelILj256ELj4EliffffEEvbT2_NS_24const_host_device_scalarIT6_EEPKT1_S7_PKS1_PKT3_PKT4_S4_PT5_21rocsparse_index_base_b.has_indirect_call, 0
	.section	.AMDGPU.csdata,"",@progbits
; Kernel info:
; codeLenInByte = 700
; TotalNumSgprs: 25
; NumVgprs: 16
; ScratchSize: 0
; MemoryBound: 0
; FloatMode: 240
; IeeeMode: 1
; LDSByteSize: 0 bytes/workgroup (compile time only)
; SGPRBlocks: 0
; VGPRBlocks: 0
; NumSGPRsForWavesPerEU: 25
; NumVGPRsForWavesPerEU: 16
; NamedBarCnt: 0
; Occupancy: 16
; WaveLimiterHint : 1
; COMPUTE_PGM_RSRC2:SCRATCH_EN: 0
; COMPUTE_PGM_RSRC2:USER_SGPR: 2
; COMPUTE_PGM_RSRC2:TRAP_HANDLER: 0
; COMPUTE_PGM_RSRC2:TGID_X_EN: 1
; COMPUTE_PGM_RSRC2:TGID_Y_EN: 0
; COMPUTE_PGM_RSRC2:TGID_Z_EN: 0
; COMPUTE_PGM_RSRC2:TIDIG_COMP_CNT: 0
	.section	.text._ZN9rocsparseL21csrmvn_general_kernelILj256ELj8EliffffEEvbT2_NS_24const_host_device_scalarIT6_EEPKT1_S7_PKS1_PKT3_PKT4_S4_PT5_21rocsparse_index_base_b,"axG",@progbits,_ZN9rocsparseL21csrmvn_general_kernelILj256ELj8EliffffEEvbT2_NS_24const_host_device_scalarIT6_EEPKT1_S7_PKS1_PKT3_PKT4_S4_PT5_21rocsparse_index_base_b,comdat
	.globl	_ZN9rocsparseL21csrmvn_general_kernelILj256ELj8EliffffEEvbT2_NS_24const_host_device_scalarIT6_EEPKT1_S7_PKS1_PKT3_PKT4_S4_PT5_21rocsparse_index_base_b ; -- Begin function _ZN9rocsparseL21csrmvn_general_kernelILj256ELj8EliffffEEvbT2_NS_24const_host_device_scalarIT6_EEPKT1_S7_PKS1_PKT3_PKT4_S4_PT5_21rocsparse_index_base_b
	.p2align	8
	.type	_ZN9rocsparseL21csrmvn_general_kernelILj256ELj8EliffffEEvbT2_NS_24const_host_device_scalarIT6_EEPKT1_S7_PKS1_PKT3_PKT4_S4_PT5_21rocsparse_index_base_b,@function
_ZN9rocsparseL21csrmvn_general_kernelILj256ELj8EliffffEEvbT2_NS_24const_host_device_scalarIT6_EEPKT1_S7_PKS1_PKT3_PKT4_S4_PT5_21rocsparse_index_base_b: ; @_ZN9rocsparseL21csrmvn_general_kernelILj256ELj8EliffffEEvbT2_NS_24const_host_device_scalarIT6_EEPKT1_S7_PKS1_PKT3_PKT4_S4_PT5_21rocsparse_index_base_b
; %bb.0:
	s_clause 0x2
	s_load_b64 s[2:3], s[0:1], 0x48
	s_load_b128 s[12:15], s[0:1], 0x8
	s_load_b64 s[16:17], s[0:1], 0x38
	s_wait_kmcnt 0x0
	s_bitcmp1_b32 s3, 0
	s_cselect_b32 s3, -1, 0
	s_delay_alu instid0(SALU_CYCLE_1)
	s_and_b32 vcc_lo, exec_lo, s3
	s_xor_b32 s3, s3, -1
	s_cbranch_vccnz .LBB13_2
; %bb.1:
	s_load_b32 s12, s[12:13], 0x0
.LBB13_2:
	s_and_not1_b32 vcc_lo, exec_lo, s3
	s_cbranch_vccnz .LBB13_4
; %bb.3:
	s_load_b32 s16, s[16:17], 0x0
.LBB13_4:
	s_wait_kmcnt 0x0
	s_cmp_neq_f32 s12, 0
	s_cselect_b32 s3, -1, 0
	s_cmp_neq_f32 s16, 1.0
	s_cselect_b32 s4, -1, 0
	s_delay_alu instid0(SALU_CYCLE_1) | instskip(NEXT) | instid1(SALU_CYCLE_1)
	s_or_b32 s3, s3, s4
	s_and_not1_b32 vcc_lo, exec_lo, s3
	s_cbranch_vccnz .LBB13_16
; %bb.5:
	s_bfe_u32 s3, ttmp6, 0x4000c
	s_load_b32 s13, s[0:1], 0x4
	s_add_co_i32 s3, s3, 1
	s_and_b32 s4, ttmp6, 15
	s_mul_i32 s3, ttmp9, s3
	s_getreg_b32 s5, hwreg(HW_REG_IB_STS2, 6, 4)
	s_add_co_i32 s4, s4, s3
	s_cmp_eq_u32 s5, 0
	s_cselect_b32 s3, ttmp9, s4
	s_delay_alu instid0(SALU_CYCLE_1) | instskip(SKIP_1) | instid1(VALU_DEP_1)
	v_lshl_or_b32 v1, s3, 8, v0
	s_mov_b32 s3, exec_lo
	v_lshrrev_b32_e32 v2, 3, v1
	s_wait_kmcnt 0x0
	s_delay_alu instid0(VALU_DEP_1)
	v_cmpx_gt_i32_e64 s13, v2
	s_cbranch_execz .LBB13_16
; %bb.6:
	v_dual_mov_b32 v5, 0 :: v_dual_bitop2_b32 v4, 7, v0 bitop3:0x40
	v_mbcnt_lo_u32_b32 v3, -1, 0
	s_mov_b32 s3, 0
	s_clause 0x2
	s_load_b32 s17, s[0:1], 0x50
	s_load_b64 s[18:19], s[0:1], 0x40
	s_load_b256 s[4:11], s[0:1], 0x18
	s_wait_xcnt 0x0
	s_ashr_i32 s1, s2, 31
	v_sub_nc_u64_e64 v[0:1], v[4:5], s[2:3]
	v_xor_b32_e32 v5, 1, v3
	v_xor_b32_e32 v6, 4, v3
	s_mov_b32 s0, s2
	s_delay_alu instid0(SALU_CYCLE_1) | instskip(SKIP_1) | instid1(VALU_DEP_2)
	s_lshl_b64 s[20:21], s[0:1], 2
	v_cmp_eq_u32_e64 s0, 7, v4
	v_cmp_gt_i32_e32 vcc_lo, 32, v6
	v_dual_cndmask_b32 v6, v3, v6, vcc_lo :: v_dual_bitop2_b32 v7, 2, v3 bitop3:0x14
	s_delay_alu instid0(VALU_DEP_1) | instskip(SKIP_2) | instid1(VALU_DEP_2)
	v_cmp_gt_i32_e32 vcc_lo, 32, v7
	s_wait_kmcnt 0x0
	s_lshl_b32 s1, s17, 5
	v_dual_cndmask_b32 v7, v3, v7 :: v_dual_lshlrev_b32 v12, 2, v6
	v_cmp_gt_i32_e32 vcc_lo, 32, v5
	s_cmp_neq_f32 s16, 0
	s_sub_nc_u64 s[10:11], s[10:11], s[20:21]
	s_mov_b32 s20, s3
	v_dual_lshlrev_b32 v13, 2, v7 :: v_dual_cndmask_b32 v3, v3, v5, vcc_lo
	s_cselect_b32 s17, -1, 0
	s_delay_alu instid0(VALU_DEP_1)
	v_lshlrev_b32_e32 v14, 2, v3
	s_branch .LBB13_9
.LBB13_7:                               ;   in Loop: Header=BB13_9 Depth=1
	global_store_b32 v[4:5], v6, off
.LBB13_8:                               ;   in Loop: Header=BB13_9 Depth=1
	s_wait_xcnt 0x0
	s_or_b32 exec_lo, exec_lo, s21
	v_add_nc_u32_e32 v2, s1, v2
	s_delay_alu instid0(VALU_DEP_1) | instskip(SKIP_1) | instid1(SALU_CYCLE_1)
	v_cmp_le_i32_e32 vcc_lo, s13, v2
	s_or_b32 s20, vcc_lo, s20
	s_and_not1_b32 exec_lo, exec_lo, s20
	s_cbranch_execz .LBB13_16
.LBB13_9:                               ; =>This Loop Header: Depth=1
                                        ;     Child Loop BB13_11 Depth 2
	s_wait_dscnt 0x0
	s_clause 0x1
	global_load_b64 v[4:5], v2, s[4:5] scale_offset
	global_load_b64 v[6:7], v2, s[14:15] scale_offset
	v_mov_b32_e32 v15, 0
	s_mov_b32 s21, exec_lo
	s_wait_loadcnt 0x1
	v_sub_nc_u64_e64 v[4:5], v[4:5], s[2:3]
	s_wait_loadcnt 0x0
	v_add_nc_u64_e32 v[6:7], v[6:7], v[0:1]
	s_wait_xcnt 0x0
	s_delay_alu instid0(VALU_DEP_1)
	v_cmpx_lt_i64_e64 v[6:7], v[4:5]
	s_cbranch_execz .LBB13_13
; %bb.10:                               ;   in Loop: Header=BB13_9 Depth=1
	v_lshlrev_b64_e32 v[10:11], 2, v[6:7]
	v_mov_b32_e32 v15, 0
	s_mov_b32 s22, 0
	s_delay_alu instid0(VALU_DEP_2)
	v_add_nc_u64_e32 v[8:9], s[8:9], v[10:11]
	v_add_nc_u64_e32 v[10:11], s[6:7], v[10:11]
.LBB13_11:                              ;   Parent Loop BB13_9 Depth=1
                                        ; =>  This Inner Loop Header: Depth=2
	global_load_b32 v3, v[10:11], off
	global_load_b32 v16, v[8:9], off
	v_add_nc_u64_e32 v[6:7], 8, v[6:7]
	s_wait_xcnt 0x0
	v_add_nc_u64_e32 v[8:9], 32, v[8:9]
	v_add_nc_u64_e32 v[10:11], 32, v[10:11]
	s_delay_alu instid0(VALU_DEP_3)
	v_cmp_ge_i64_e32 vcc_lo, v[6:7], v[4:5]
	s_or_b32 s22, vcc_lo, s22
	s_wait_loadcnt 0x1
	global_load_b32 v3, v3, s[10:11] scale_offset
	s_wait_loadcnt 0x1
	v_mul_f32_e32 v16, s12, v16
	s_wait_loadcnt 0x0
	s_delay_alu instid0(VALU_DEP_1)
	v_fmac_f32_e32 v15, v16, v3
	s_wait_xcnt 0x0
	s_and_not1_b32 exec_lo, exec_lo, s22
	s_cbranch_execnz .LBB13_11
; %bb.12:                               ;   in Loop: Header=BB13_9 Depth=1
	s_or_b32 exec_lo, exec_lo, s22
.LBB13_13:                              ;   in Loop: Header=BB13_9 Depth=1
	s_delay_alu instid0(SALU_CYCLE_1)
	s_or_b32 exec_lo, exec_lo, s21
	ds_bpermute_b32 v4, v12, v15
	s_wait_dscnt 0x0
	v_dual_add_f32 v4, v15, v4 :: v_dual_ashrrev_i32 v3, 31, v2
	ds_bpermute_b32 v5, v13, v4
	s_wait_dscnt 0x0
	v_add_f32_e32 v4, v4, v5
	ds_bpermute_b32 v5, v14, v4
	s_and_saveexec_b32 s21, s0
	s_cbranch_execz .LBB13_8
; %bb.14:                               ;   in Loop: Header=BB13_9 Depth=1
	s_wait_dscnt 0x0
	v_add_f32_e32 v6, v4, v5
	v_lshl_add_u64 v[4:5], v[2:3], 2, s[18:19]
	s_and_not1_b32 vcc_lo, exec_lo, s17
	s_cbranch_vccnz .LBB13_7
; %bb.15:                               ;   in Loop: Header=BB13_9 Depth=1
	global_load_b32 v3, v[4:5], off
	s_wait_loadcnt 0x0
	v_fmac_f32_e32 v6, s16, v3
	s_branch .LBB13_7
.LBB13_16:
	s_endpgm
	.section	.rodata,"a",@progbits
	.p2align	6, 0x0
	.amdhsa_kernel _ZN9rocsparseL21csrmvn_general_kernelILj256ELj8EliffffEEvbT2_NS_24const_host_device_scalarIT6_EEPKT1_S7_PKS1_PKT3_PKT4_S4_PT5_21rocsparse_index_base_b
		.amdhsa_group_segment_fixed_size 0
		.amdhsa_private_segment_fixed_size 0
		.amdhsa_kernarg_size 336
		.amdhsa_user_sgpr_count 2
		.amdhsa_user_sgpr_dispatch_ptr 0
		.amdhsa_user_sgpr_queue_ptr 0
		.amdhsa_user_sgpr_kernarg_segment_ptr 1
		.amdhsa_user_sgpr_dispatch_id 0
		.amdhsa_user_sgpr_kernarg_preload_length 0
		.amdhsa_user_sgpr_kernarg_preload_offset 0
		.amdhsa_user_sgpr_private_segment_size 0
		.amdhsa_wavefront_size32 1
		.amdhsa_uses_dynamic_stack 0
		.amdhsa_enable_private_segment 0
		.amdhsa_system_sgpr_workgroup_id_x 1
		.amdhsa_system_sgpr_workgroup_id_y 0
		.amdhsa_system_sgpr_workgroup_id_z 0
		.amdhsa_system_sgpr_workgroup_info 0
		.amdhsa_system_vgpr_workitem_id 0
		.amdhsa_next_free_vgpr 17
		.amdhsa_next_free_sgpr 23
		.amdhsa_named_barrier_count 0
		.amdhsa_reserve_vcc 1
		.amdhsa_float_round_mode_32 0
		.amdhsa_float_round_mode_16_64 0
		.amdhsa_float_denorm_mode_32 3
		.amdhsa_float_denorm_mode_16_64 3
		.amdhsa_fp16_overflow 0
		.amdhsa_memory_ordered 1
		.amdhsa_forward_progress 1
		.amdhsa_inst_pref_size 6
		.amdhsa_round_robin_scheduling 0
		.amdhsa_exception_fp_ieee_invalid_op 0
		.amdhsa_exception_fp_denorm_src 0
		.amdhsa_exception_fp_ieee_div_zero 0
		.amdhsa_exception_fp_ieee_overflow 0
		.amdhsa_exception_fp_ieee_underflow 0
		.amdhsa_exception_fp_ieee_inexact 0
		.amdhsa_exception_int_div_zero 0
	.end_amdhsa_kernel
	.section	.text._ZN9rocsparseL21csrmvn_general_kernelILj256ELj8EliffffEEvbT2_NS_24const_host_device_scalarIT6_EEPKT1_S7_PKS1_PKT3_PKT4_S4_PT5_21rocsparse_index_base_b,"axG",@progbits,_ZN9rocsparseL21csrmvn_general_kernelILj256ELj8EliffffEEvbT2_NS_24const_host_device_scalarIT6_EEPKT1_S7_PKS1_PKT3_PKT4_S4_PT5_21rocsparse_index_base_b,comdat
.Lfunc_end13:
	.size	_ZN9rocsparseL21csrmvn_general_kernelILj256ELj8EliffffEEvbT2_NS_24const_host_device_scalarIT6_EEPKT1_S7_PKS1_PKT3_PKT4_S4_PT5_21rocsparse_index_base_b, .Lfunc_end13-_ZN9rocsparseL21csrmvn_general_kernelILj256ELj8EliffffEEvbT2_NS_24const_host_device_scalarIT6_EEPKT1_S7_PKS1_PKT3_PKT4_S4_PT5_21rocsparse_index_base_b
                                        ; -- End function
	.set _ZN9rocsparseL21csrmvn_general_kernelILj256ELj8EliffffEEvbT2_NS_24const_host_device_scalarIT6_EEPKT1_S7_PKS1_PKT3_PKT4_S4_PT5_21rocsparse_index_base_b.num_vgpr, 17
	.set _ZN9rocsparseL21csrmvn_general_kernelILj256ELj8EliffffEEvbT2_NS_24const_host_device_scalarIT6_EEPKT1_S7_PKS1_PKT3_PKT4_S4_PT5_21rocsparse_index_base_b.num_agpr, 0
	.set _ZN9rocsparseL21csrmvn_general_kernelILj256ELj8EliffffEEvbT2_NS_24const_host_device_scalarIT6_EEPKT1_S7_PKS1_PKT3_PKT4_S4_PT5_21rocsparse_index_base_b.numbered_sgpr, 23
	.set _ZN9rocsparseL21csrmvn_general_kernelILj256ELj8EliffffEEvbT2_NS_24const_host_device_scalarIT6_EEPKT1_S7_PKS1_PKT3_PKT4_S4_PT5_21rocsparse_index_base_b.num_named_barrier, 0
	.set _ZN9rocsparseL21csrmvn_general_kernelILj256ELj8EliffffEEvbT2_NS_24const_host_device_scalarIT6_EEPKT1_S7_PKS1_PKT3_PKT4_S4_PT5_21rocsparse_index_base_b.private_seg_size, 0
	.set _ZN9rocsparseL21csrmvn_general_kernelILj256ELj8EliffffEEvbT2_NS_24const_host_device_scalarIT6_EEPKT1_S7_PKS1_PKT3_PKT4_S4_PT5_21rocsparse_index_base_b.uses_vcc, 1
	.set _ZN9rocsparseL21csrmvn_general_kernelILj256ELj8EliffffEEvbT2_NS_24const_host_device_scalarIT6_EEPKT1_S7_PKS1_PKT3_PKT4_S4_PT5_21rocsparse_index_base_b.uses_flat_scratch, 0
	.set _ZN9rocsparseL21csrmvn_general_kernelILj256ELj8EliffffEEvbT2_NS_24const_host_device_scalarIT6_EEPKT1_S7_PKS1_PKT3_PKT4_S4_PT5_21rocsparse_index_base_b.has_dyn_sized_stack, 0
	.set _ZN9rocsparseL21csrmvn_general_kernelILj256ELj8EliffffEEvbT2_NS_24const_host_device_scalarIT6_EEPKT1_S7_PKS1_PKT3_PKT4_S4_PT5_21rocsparse_index_base_b.has_recursion, 0
	.set _ZN9rocsparseL21csrmvn_general_kernelILj256ELj8EliffffEEvbT2_NS_24const_host_device_scalarIT6_EEPKT1_S7_PKS1_PKT3_PKT4_S4_PT5_21rocsparse_index_base_b.has_indirect_call, 0
	.section	.AMDGPU.csdata,"",@progbits
; Kernel info:
; codeLenInByte = 744
; TotalNumSgprs: 25
; NumVgprs: 17
; ScratchSize: 0
; MemoryBound: 0
; FloatMode: 240
; IeeeMode: 1
; LDSByteSize: 0 bytes/workgroup (compile time only)
; SGPRBlocks: 0
; VGPRBlocks: 1
; NumSGPRsForWavesPerEU: 25
; NumVGPRsForWavesPerEU: 17
; NamedBarCnt: 0
; Occupancy: 16
; WaveLimiterHint : 1
; COMPUTE_PGM_RSRC2:SCRATCH_EN: 0
; COMPUTE_PGM_RSRC2:USER_SGPR: 2
; COMPUTE_PGM_RSRC2:TRAP_HANDLER: 0
; COMPUTE_PGM_RSRC2:TGID_X_EN: 1
; COMPUTE_PGM_RSRC2:TGID_Y_EN: 0
; COMPUTE_PGM_RSRC2:TGID_Z_EN: 0
; COMPUTE_PGM_RSRC2:TIDIG_COMP_CNT: 0
	.section	.text._ZN9rocsparseL21csrmvn_general_kernelILj256ELj16EliffffEEvbT2_NS_24const_host_device_scalarIT6_EEPKT1_S7_PKS1_PKT3_PKT4_S4_PT5_21rocsparse_index_base_b,"axG",@progbits,_ZN9rocsparseL21csrmvn_general_kernelILj256ELj16EliffffEEvbT2_NS_24const_host_device_scalarIT6_EEPKT1_S7_PKS1_PKT3_PKT4_S4_PT5_21rocsparse_index_base_b,comdat
	.globl	_ZN9rocsparseL21csrmvn_general_kernelILj256ELj16EliffffEEvbT2_NS_24const_host_device_scalarIT6_EEPKT1_S7_PKS1_PKT3_PKT4_S4_PT5_21rocsparse_index_base_b ; -- Begin function _ZN9rocsparseL21csrmvn_general_kernelILj256ELj16EliffffEEvbT2_NS_24const_host_device_scalarIT6_EEPKT1_S7_PKS1_PKT3_PKT4_S4_PT5_21rocsparse_index_base_b
	.p2align	8
	.type	_ZN9rocsparseL21csrmvn_general_kernelILj256ELj16EliffffEEvbT2_NS_24const_host_device_scalarIT6_EEPKT1_S7_PKS1_PKT3_PKT4_S4_PT5_21rocsparse_index_base_b,@function
_ZN9rocsparseL21csrmvn_general_kernelILj256ELj16EliffffEEvbT2_NS_24const_host_device_scalarIT6_EEPKT1_S7_PKS1_PKT3_PKT4_S4_PT5_21rocsparse_index_base_b: ; @_ZN9rocsparseL21csrmvn_general_kernelILj256ELj16EliffffEEvbT2_NS_24const_host_device_scalarIT6_EEPKT1_S7_PKS1_PKT3_PKT4_S4_PT5_21rocsparse_index_base_b
; %bb.0:
	s_clause 0x2
	s_load_b64 s[2:3], s[0:1], 0x48
	s_load_b128 s[12:15], s[0:1], 0x8
	s_load_b64 s[16:17], s[0:1], 0x38
	s_wait_kmcnt 0x0
	s_bitcmp1_b32 s3, 0
	s_cselect_b32 s3, -1, 0
	s_delay_alu instid0(SALU_CYCLE_1)
	s_and_b32 vcc_lo, exec_lo, s3
	s_xor_b32 s3, s3, -1
	s_cbranch_vccnz .LBB14_2
; %bb.1:
	s_load_b32 s12, s[12:13], 0x0
.LBB14_2:
	s_and_not1_b32 vcc_lo, exec_lo, s3
	s_cbranch_vccnz .LBB14_4
; %bb.3:
	s_load_b32 s16, s[16:17], 0x0
.LBB14_4:
	s_wait_kmcnt 0x0
	s_cmp_neq_f32 s12, 0
	s_cselect_b32 s3, -1, 0
	s_cmp_neq_f32 s16, 1.0
	s_cselect_b32 s4, -1, 0
	s_delay_alu instid0(SALU_CYCLE_1) | instskip(NEXT) | instid1(SALU_CYCLE_1)
	s_or_b32 s3, s3, s4
	s_and_not1_b32 vcc_lo, exec_lo, s3
	s_cbranch_vccnz .LBB14_16
; %bb.5:
	s_bfe_u32 s3, ttmp6, 0x4000c
	s_load_b32 s13, s[0:1], 0x4
	s_add_co_i32 s3, s3, 1
	s_and_b32 s4, ttmp6, 15
	s_mul_i32 s3, ttmp9, s3
	s_getreg_b32 s5, hwreg(HW_REG_IB_STS2, 6, 4)
	s_add_co_i32 s4, s4, s3
	s_cmp_eq_u32 s5, 0
	s_cselect_b32 s3, ttmp9, s4
	s_delay_alu instid0(SALU_CYCLE_1) | instskip(SKIP_1) | instid1(VALU_DEP_1)
	v_lshl_or_b32 v1, s3, 8, v0
	s_mov_b32 s3, exec_lo
	v_lshrrev_b32_e32 v2, 4, v1
	s_wait_kmcnt 0x0
	s_delay_alu instid0(VALU_DEP_1)
	v_cmpx_gt_i32_e64 s13, v2
	s_cbranch_execz .LBB14_16
; %bb.6:
	v_dual_mov_b32 v5, 0 :: v_dual_bitop2_b32 v4, 15, v0 bitop3:0x40
	v_mbcnt_lo_u32_b32 v3, -1, 0
	s_mov_b32 s3, 0
	s_clause 0x2
	s_load_b32 s17, s[0:1], 0x50
	s_load_b64 s[18:19], s[0:1], 0x40
	s_load_b256 s[4:11], s[0:1], 0x18
	s_wait_xcnt 0x0
	s_ashr_i32 s1, s2, 31
	v_sub_nc_u64_e64 v[0:1], v[4:5], s[2:3]
	v_xor_b32_e32 v5, 4, v3
	v_xor_b32_e32 v6, 8, v3
	s_mov_b32 s0, s2
	s_delay_alu instid0(SALU_CYCLE_1) | instskip(SKIP_1) | instid1(VALU_DEP_2)
	s_lshl_b64 s[20:21], s[0:1], 2
	v_cmp_eq_u32_e64 s0, 15, v4
	v_cmp_gt_i32_e32 vcc_lo, 32, v6
	v_dual_cndmask_b32 v6, v3, v6, vcc_lo :: v_dual_bitop2_b32 v8, 1, v3 bitop3:0x14
	v_cmp_gt_i32_e32 vcc_lo, 32, v5
	s_wait_kmcnt 0x0
	s_lshl_b32 s1, s17, 4
	s_delay_alu instid0(VALU_DEP_2)
	v_dual_lshlrev_b32 v12, 2, v6 :: v_dual_bitop2_b32 v7, 2, v3 bitop3:0x14
	v_cndmask_b32_e32 v5, v3, v5, vcc_lo
	s_cmp_neq_f32 s16, 0
	s_sub_nc_u64 s[10:11], s[10:11], s[20:21]
	s_mov_b32 s20, s3
	v_cmp_gt_i32_e32 vcc_lo, 32, v7
	v_lshlrev_b32_e32 v13, 2, v5
	s_cselect_b32 s17, -1, 0
	v_cndmask_b32_e32 v7, v3, v7, vcc_lo
	v_cmp_gt_i32_e32 vcc_lo, 32, v8
	s_delay_alu instid0(VALU_DEP_2) | instskip(NEXT) | instid1(VALU_DEP_1)
	v_dual_cndmask_b32 v3, v3, v8 :: v_dual_lshlrev_b32 v14, 2, v7
	v_lshlrev_b32_e32 v15, 2, v3
	s_branch .LBB14_9
.LBB14_7:                               ;   in Loop: Header=BB14_9 Depth=1
	global_store_b32 v[4:5], v6, off
.LBB14_8:                               ;   in Loop: Header=BB14_9 Depth=1
	s_wait_xcnt 0x0
	s_or_b32 exec_lo, exec_lo, s21
	v_add_nc_u32_e32 v2, s1, v2
	s_delay_alu instid0(VALU_DEP_1) | instskip(SKIP_1) | instid1(SALU_CYCLE_1)
	v_cmp_le_i32_e32 vcc_lo, s13, v2
	s_or_b32 s20, vcc_lo, s20
	s_and_not1_b32 exec_lo, exec_lo, s20
	s_cbranch_execz .LBB14_16
.LBB14_9:                               ; =>This Loop Header: Depth=1
                                        ;     Child Loop BB14_11 Depth 2
	s_wait_dscnt 0x0
	s_clause 0x1
	global_load_b64 v[4:5], v2, s[4:5] scale_offset
	global_load_b64 v[6:7], v2, s[14:15] scale_offset
	v_mov_b32_e32 v16, 0
	s_mov_b32 s21, exec_lo
	s_wait_loadcnt 0x1
	v_sub_nc_u64_e64 v[4:5], v[4:5], s[2:3]
	s_wait_loadcnt 0x0
	v_add_nc_u64_e32 v[6:7], v[6:7], v[0:1]
	s_wait_xcnt 0x0
	s_delay_alu instid0(VALU_DEP_1)
	v_cmpx_lt_i64_e64 v[6:7], v[4:5]
	s_cbranch_execz .LBB14_13
; %bb.10:                               ;   in Loop: Header=BB14_9 Depth=1
	v_lshlrev_b64_e32 v[10:11], 2, v[6:7]
	v_mov_b32_e32 v16, 0
	s_mov_b32 s22, 0
	s_delay_alu instid0(VALU_DEP_2)
	v_add_nc_u64_e32 v[8:9], s[8:9], v[10:11]
	v_add_nc_u64_e32 v[10:11], s[6:7], v[10:11]
.LBB14_11:                              ;   Parent Loop BB14_9 Depth=1
                                        ; =>  This Inner Loop Header: Depth=2
	global_load_b32 v3, v[10:11], off
	global_load_b32 v17, v[8:9], off
	v_add_nc_u64_e32 v[6:7], 16, v[6:7]
	s_wait_xcnt 0x0
	v_add_nc_u64_e32 v[8:9], 64, v[8:9]
	v_add_nc_u64_e32 v[10:11], 64, v[10:11]
	s_delay_alu instid0(VALU_DEP_3)
	v_cmp_ge_i64_e32 vcc_lo, v[6:7], v[4:5]
	s_or_b32 s22, vcc_lo, s22
	s_wait_loadcnt 0x1
	global_load_b32 v3, v3, s[10:11] scale_offset
	s_wait_loadcnt 0x1
	v_mul_f32_e32 v17, s12, v17
	s_wait_loadcnt 0x0
	s_delay_alu instid0(VALU_DEP_1)
	v_fmac_f32_e32 v16, v17, v3
	s_wait_xcnt 0x0
	s_and_not1_b32 exec_lo, exec_lo, s22
	s_cbranch_execnz .LBB14_11
; %bb.12:                               ;   in Loop: Header=BB14_9 Depth=1
	s_or_b32 exec_lo, exec_lo, s22
.LBB14_13:                              ;   in Loop: Header=BB14_9 Depth=1
	s_delay_alu instid0(SALU_CYCLE_1)
	s_or_b32 exec_lo, exec_lo, s21
	ds_bpermute_b32 v4, v12, v16
	s_wait_dscnt 0x0
	v_dual_add_f32 v4, v16, v4 :: v_dual_ashrrev_i32 v3, 31, v2
	ds_bpermute_b32 v5, v13, v4
	s_wait_dscnt 0x0
	v_add_f32_e32 v4, v4, v5
	ds_bpermute_b32 v5, v14, v4
	s_wait_dscnt 0x0
	v_add_f32_e32 v4, v4, v5
	ds_bpermute_b32 v5, v15, v4
	s_and_saveexec_b32 s21, s0
	s_cbranch_execz .LBB14_8
; %bb.14:                               ;   in Loop: Header=BB14_9 Depth=1
	s_wait_dscnt 0x0
	v_add_f32_e32 v6, v4, v5
	v_lshl_add_u64 v[4:5], v[2:3], 2, s[18:19]
	s_and_not1_b32 vcc_lo, exec_lo, s17
	s_cbranch_vccnz .LBB14_7
; %bb.15:                               ;   in Loop: Header=BB14_9 Depth=1
	global_load_b32 v3, v[4:5], off
	s_wait_loadcnt 0x0
	v_fmac_f32_e32 v6, s16, v3
	s_branch .LBB14_7
.LBB14_16:
	s_endpgm
	.section	.rodata,"a",@progbits
	.p2align	6, 0x0
	.amdhsa_kernel _ZN9rocsparseL21csrmvn_general_kernelILj256ELj16EliffffEEvbT2_NS_24const_host_device_scalarIT6_EEPKT1_S7_PKS1_PKT3_PKT4_S4_PT5_21rocsparse_index_base_b
		.amdhsa_group_segment_fixed_size 0
		.amdhsa_private_segment_fixed_size 0
		.amdhsa_kernarg_size 336
		.amdhsa_user_sgpr_count 2
		.amdhsa_user_sgpr_dispatch_ptr 0
		.amdhsa_user_sgpr_queue_ptr 0
		.amdhsa_user_sgpr_kernarg_segment_ptr 1
		.amdhsa_user_sgpr_dispatch_id 0
		.amdhsa_user_sgpr_kernarg_preload_length 0
		.amdhsa_user_sgpr_kernarg_preload_offset 0
		.amdhsa_user_sgpr_private_segment_size 0
		.amdhsa_wavefront_size32 1
		.amdhsa_uses_dynamic_stack 0
		.amdhsa_enable_private_segment 0
		.amdhsa_system_sgpr_workgroup_id_x 1
		.amdhsa_system_sgpr_workgroup_id_y 0
		.amdhsa_system_sgpr_workgroup_id_z 0
		.amdhsa_system_sgpr_workgroup_info 0
		.amdhsa_system_vgpr_workitem_id 0
		.amdhsa_next_free_vgpr 18
		.amdhsa_next_free_sgpr 23
		.amdhsa_named_barrier_count 0
		.amdhsa_reserve_vcc 1
		.amdhsa_float_round_mode_32 0
		.amdhsa_float_round_mode_16_64 0
		.amdhsa_float_denorm_mode_32 3
		.amdhsa_float_denorm_mode_16_64 3
		.amdhsa_fp16_overflow 0
		.amdhsa_memory_ordered 1
		.amdhsa_forward_progress 1
		.amdhsa_inst_pref_size 7
		.amdhsa_round_robin_scheduling 0
		.amdhsa_exception_fp_ieee_invalid_op 0
		.amdhsa_exception_fp_denorm_src 0
		.amdhsa_exception_fp_ieee_div_zero 0
		.amdhsa_exception_fp_ieee_overflow 0
		.amdhsa_exception_fp_ieee_underflow 0
		.amdhsa_exception_fp_ieee_inexact 0
		.amdhsa_exception_int_div_zero 0
	.end_amdhsa_kernel
	.section	.text._ZN9rocsparseL21csrmvn_general_kernelILj256ELj16EliffffEEvbT2_NS_24const_host_device_scalarIT6_EEPKT1_S7_PKS1_PKT3_PKT4_S4_PT5_21rocsparse_index_base_b,"axG",@progbits,_ZN9rocsparseL21csrmvn_general_kernelILj256ELj16EliffffEEvbT2_NS_24const_host_device_scalarIT6_EEPKT1_S7_PKS1_PKT3_PKT4_S4_PT5_21rocsparse_index_base_b,comdat
.Lfunc_end14:
	.size	_ZN9rocsparseL21csrmvn_general_kernelILj256ELj16EliffffEEvbT2_NS_24const_host_device_scalarIT6_EEPKT1_S7_PKS1_PKT3_PKT4_S4_PT5_21rocsparse_index_base_b, .Lfunc_end14-_ZN9rocsparseL21csrmvn_general_kernelILj256ELj16EliffffEEvbT2_NS_24const_host_device_scalarIT6_EEPKT1_S7_PKS1_PKT3_PKT4_S4_PT5_21rocsparse_index_base_b
                                        ; -- End function
	.set _ZN9rocsparseL21csrmvn_general_kernelILj256ELj16EliffffEEvbT2_NS_24const_host_device_scalarIT6_EEPKT1_S7_PKS1_PKT3_PKT4_S4_PT5_21rocsparse_index_base_b.num_vgpr, 18
	.set _ZN9rocsparseL21csrmvn_general_kernelILj256ELj16EliffffEEvbT2_NS_24const_host_device_scalarIT6_EEPKT1_S7_PKS1_PKT3_PKT4_S4_PT5_21rocsparse_index_base_b.num_agpr, 0
	.set _ZN9rocsparseL21csrmvn_general_kernelILj256ELj16EliffffEEvbT2_NS_24const_host_device_scalarIT6_EEPKT1_S7_PKS1_PKT3_PKT4_S4_PT5_21rocsparse_index_base_b.numbered_sgpr, 23
	.set _ZN9rocsparseL21csrmvn_general_kernelILj256ELj16EliffffEEvbT2_NS_24const_host_device_scalarIT6_EEPKT1_S7_PKS1_PKT3_PKT4_S4_PT5_21rocsparse_index_base_b.num_named_barrier, 0
	.set _ZN9rocsparseL21csrmvn_general_kernelILj256ELj16EliffffEEvbT2_NS_24const_host_device_scalarIT6_EEPKT1_S7_PKS1_PKT3_PKT4_S4_PT5_21rocsparse_index_base_b.private_seg_size, 0
	.set _ZN9rocsparseL21csrmvn_general_kernelILj256ELj16EliffffEEvbT2_NS_24const_host_device_scalarIT6_EEPKT1_S7_PKS1_PKT3_PKT4_S4_PT5_21rocsparse_index_base_b.uses_vcc, 1
	.set _ZN9rocsparseL21csrmvn_general_kernelILj256ELj16EliffffEEvbT2_NS_24const_host_device_scalarIT6_EEPKT1_S7_PKS1_PKT3_PKT4_S4_PT5_21rocsparse_index_base_b.uses_flat_scratch, 0
	.set _ZN9rocsparseL21csrmvn_general_kernelILj256ELj16EliffffEEvbT2_NS_24const_host_device_scalarIT6_EEPKT1_S7_PKS1_PKT3_PKT4_S4_PT5_21rocsparse_index_base_b.has_dyn_sized_stack, 0
	.set _ZN9rocsparseL21csrmvn_general_kernelILj256ELj16EliffffEEvbT2_NS_24const_host_device_scalarIT6_EEPKT1_S7_PKS1_PKT3_PKT4_S4_PT5_21rocsparse_index_base_b.has_recursion, 0
	.set _ZN9rocsparseL21csrmvn_general_kernelILj256ELj16EliffffEEvbT2_NS_24const_host_device_scalarIT6_EEPKT1_S7_PKS1_PKT3_PKT4_S4_PT5_21rocsparse_index_base_b.has_indirect_call, 0
	.section	.AMDGPU.csdata,"",@progbits
; Kernel info:
; codeLenInByte = 776
; TotalNumSgprs: 25
; NumVgprs: 18
; ScratchSize: 0
; MemoryBound: 0
; FloatMode: 240
; IeeeMode: 1
; LDSByteSize: 0 bytes/workgroup (compile time only)
; SGPRBlocks: 0
; VGPRBlocks: 1
; NumSGPRsForWavesPerEU: 25
; NumVGPRsForWavesPerEU: 18
; NamedBarCnt: 0
; Occupancy: 16
; WaveLimiterHint : 1
; COMPUTE_PGM_RSRC2:SCRATCH_EN: 0
; COMPUTE_PGM_RSRC2:USER_SGPR: 2
; COMPUTE_PGM_RSRC2:TRAP_HANDLER: 0
; COMPUTE_PGM_RSRC2:TGID_X_EN: 1
; COMPUTE_PGM_RSRC2:TGID_Y_EN: 0
; COMPUTE_PGM_RSRC2:TGID_Z_EN: 0
; COMPUTE_PGM_RSRC2:TIDIG_COMP_CNT: 0
	.section	.text._ZN9rocsparseL21csrmvn_general_kernelILj256ELj32EliffffEEvbT2_NS_24const_host_device_scalarIT6_EEPKT1_S7_PKS1_PKT3_PKT4_S4_PT5_21rocsparse_index_base_b,"axG",@progbits,_ZN9rocsparseL21csrmvn_general_kernelILj256ELj32EliffffEEvbT2_NS_24const_host_device_scalarIT6_EEPKT1_S7_PKS1_PKT3_PKT4_S4_PT5_21rocsparse_index_base_b,comdat
	.globl	_ZN9rocsparseL21csrmvn_general_kernelILj256ELj32EliffffEEvbT2_NS_24const_host_device_scalarIT6_EEPKT1_S7_PKS1_PKT3_PKT4_S4_PT5_21rocsparse_index_base_b ; -- Begin function _ZN9rocsparseL21csrmvn_general_kernelILj256ELj32EliffffEEvbT2_NS_24const_host_device_scalarIT6_EEPKT1_S7_PKS1_PKT3_PKT4_S4_PT5_21rocsparse_index_base_b
	.p2align	8
	.type	_ZN9rocsparseL21csrmvn_general_kernelILj256ELj32EliffffEEvbT2_NS_24const_host_device_scalarIT6_EEPKT1_S7_PKS1_PKT3_PKT4_S4_PT5_21rocsparse_index_base_b,@function
_ZN9rocsparseL21csrmvn_general_kernelILj256ELj32EliffffEEvbT2_NS_24const_host_device_scalarIT6_EEPKT1_S7_PKS1_PKT3_PKT4_S4_PT5_21rocsparse_index_base_b: ; @_ZN9rocsparseL21csrmvn_general_kernelILj256ELj32EliffffEEvbT2_NS_24const_host_device_scalarIT6_EEPKT1_S7_PKS1_PKT3_PKT4_S4_PT5_21rocsparse_index_base_b
; %bb.0:
	s_clause 0x2
	s_load_b64 s[2:3], s[0:1], 0x48
	s_load_b128 s[12:15], s[0:1], 0x8
	s_load_b64 s[16:17], s[0:1], 0x38
	s_wait_kmcnt 0x0
	s_bitcmp1_b32 s3, 0
	s_cselect_b32 s3, -1, 0
	s_delay_alu instid0(SALU_CYCLE_1)
	s_and_b32 vcc_lo, exec_lo, s3
	s_xor_b32 s3, s3, -1
	s_cbranch_vccnz .LBB15_2
; %bb.1:
	s_load_b32 s12, s[12:13], 0x0
.LBB15_2:
	s_and_not1_b32 vcc_lo, exec_lo, s3
	s_cbranch_vccnz .LBB15_4
; %bb.3:
	s_load_b32 s16, s[16:17], 0x0
.LBB15_4:
	s_wait_kmcnt 0x0
	s_cmp_neq_f32 s12, 0
	s_cselect_b32 s3, -1, 0
	s_cmp_neq_f32 s16, 1.0
	s_cselect_b32 s4, -1, 0
	s_delay_alu instid0(SALU_CYCLE_1) | instskip(NEXT) | instid1(SALU_CYCLE_1)
	s_or_b32 s3, s3, s4
	s_and_not1_b32 vcc_lo, exec_lo, s3
	s_cbranch_vccnz .LBB15_16
; %bb.5:
	s_bfe_u32 s3, ttmp6, 0x4000c
	s_load_b32 s13, s[0:1], 0x4
	s_add_co_i32 s3, s3, 1
	s_and_b32 s4, ttmp6, 15
	s_mul_i32 s3, ttmp9, s3
	s_getreg_b32 s5, hwreg(HW_REG_IB_STS2, 6, 4)
	s_add_co_i32 s4, s4, s3
	s_cmp_eq_u32 s5, 0
	s_cselect_b32 s3, ttmp9, s4
	s_delay_alu instid0(SALU_CYCLE_1) | instskip(SKIP_1) | instid1(VALU_DEP_1)
	v_lshl_or_b32 v1, s3, 8, v0
	s_mov_b32 s3, exec_lo
	v_lshrrev_b32_e32 v2, 5, v1
	s_wait_kmcnt 0x0
	s_delay_alu instid0(VALU_DEP_1)
	v_cmpx_gt_i32_e64 s13, v2
	s_cbranch_execz .LBB15_16
; %bb.6:
	v_mbcnt_lo_u32_b32 v3, -1, 0
	v_dual_mov_b32 v5, 0 :: v_dual_bitop2_b32 v4, 31, v0 bitop3:0x40
	s_mov_b32 s3, 0
	s_clause 0x2
	s_load_b32 s17, s[0:1], 0x50
	s_load_b64 s[18:19], s[0:1], 0x40
	s_load_b256 s[4:11], s[0:1], 0x18
	s_wait_xcnt 0x0
	s_ashr_i32 s1, s2, 31
	s_mov_b32 s0, s2
	v_sub_nc_u64_e64 v[0:1], v[4:5], s[2:3]
	v_xor_b32_e32 v5, 8, v3
	v_xor_b32_e32 v6, 16, v3
	s_lshl_b64 s[20:21], s[0:1], 2
	v_cmp_eq_u32_e64 s0, 31, v4
	s_delay_alu instid0(VALU_DEP_2)
	v_cmp_gt_i32_e32 vcc_lo, 32, v6
	v_dual_cndmask_b32 v6, v3, v6, vcc_lo :: v_dual_bitop2_b32 v7, 4, v3 bitop3:0x14
	v_cmp_gt_i32_e32 vcc_lo, 32, v5
	s_wait_kmcnt 0x0
	s_lshl_b32 s1, s17, 3
	s_cmp_neq_f32 s16, 0
	v_dual_lshlrev_b32 v12, 2, v6 :: v_dual_bitop2_b32 v6, 1, v3 bitop3:0x14
	v_dual_cndmask_b32 v5, v3, v5, vcc_lo :: v_dual_bitop2_b32 v8, 2, v3 bitop3:0x14
	v_cmp_gt_i32_e32 vcc_lo, 32, v7
	s_cselect_b32 s17, -1, 0
	s_sub_nc_u64 s[10:11], s[10:11], s[20:21]
	s_mov_b32 s20, s3
	v_dual_lshlrev_b32 v13, 2, v5 :: v_dual_cndmask_b32 v7, v3, v7, vcc_lo
	v_cmp_gt_i32_e32 vcc_lo, 32, v8
	v_cndmask_b32_e32 v8, v3, v8, vcc_lo
	v_cmp_gt_i32_e32 vcc_lo, 32, v6
	s_delay_alu instid0(VALU_DEP_2) | instskip(SKIP_1) | instid1(VALU_DEP_1)
	v_dual_lshlrev_b32 v14, 2, v7 :: v_dual_lshlrev_b32 v15, 2, v8
	v_cndmask_b32_e32 v3, v3, v6, vcc_lo
	v_lshlrev_b32_e32 v16, 2, v3
	s_branch .LBB15_9
.LBB15_7:                               ;   in Loop: Header=BB15_9 Depth=1
	global_store_b32 v[4:5], v6, off
.LBB15_8:                               ;   in Loop: Header=BB15_9 Depth=1
	s_wait_xcnt 0x0
	s_or_b32 exec_lo, exec_lo, s21
	v_add_nc_u32_e32 v2, s1, v2
	s_delay_alu instid0(VALU_DEP_1) | instskip(SKIP_1) | instid1(SALU_CYCLE_1)
	v_cmp_le_i32_e32 vcc_lo, s13, v2
	s_or_b32 s20, vcc_lo, s20
	s_and_not1_b32 exec_lo, exec_lo, s20
	s_cbranch_execz .LBB15_16
.LBB15_9:                               ; =>This Loop Header: Depth=1
                                        ;     Child Loop BB15_11 Depth 2
	s_wait_dscnt 0x0
	s_clause 0x1
	global_load_b64 v[4:5], v2, s[4:5] scale_offset
	global_load_b64 v[6:7], v2, s[14:15] scale_offset
	v_mov_b32_e32 v17, 0
	s_mov_b32 s21, exec_lo
	s_wait_loadcnt 0x1
	v_sub_nc_u64_e64 v[4:5], v[4:5], s[2:3]
	s_wait_loadcnt 0x0
	v_add_nc_u64_e32 v[6:7], v[6:7], v[0:1]
	s_wait_xcnt 0x0
	s_delay_alu instid0(VALU_DEP_1)
	v_cmpx_lt_i64_e64 v[6:7], v[4:5]
	s_cbranch_execz .LBB15_13
; %bb.10:                               ;   in Loop: Header=BB15_9 Depth=1
	v_lshlrev_b64_e32 v[10:11], 2, v[6:7]
	v_mov_b32_e32 v17, 0
	s_mov_b32 s22, 0
	s_delay_alu instid0(VALU_DEP_2)
	v_add_nc_u64_e32 v[8:9], s[8:9], v[10:11]
	v_add_nc_u64_e32 v[10:11], s[6:7], v[10:11]
.LBB15_11:                              ;   Parent Loop BB15_9 Depth=1
                                        ; =>  This Inner Loop Header: Depth=2
	global_load_b32 v3, v[10:11], off
	global_load_b32 v18, v[8:9], off
	v_add_nc_u64_e32 v[6:7], 32, v[6:7]
	s_wait_xcnt 0x0
	v_add_nc_u64_e32 v[8:9], 0x80, v[8:9]
	v_add_nc_u64_e32 v[10:11], 0x80, v[10:11]
	s_delay_alu instid0(VALU_DEP_3)
	v_cmp_ge_i64_e32 vcc_lo, v[6:7], v[4:5]
	s_or_b32 s22, vcc_lo, s22
	s_wait_loadcnt 0x1
	global_load_b32 v3, v3, s[10:11] scale_offset
	s_wait_loadcnt 0x1
	v_mul_f32_e32 v18, s12, v18
	s_wait_loadcnt 0x0
	s_delay_alu instid0(VALU_DEP_1)
	v_fmac_f32_e32 v17, v18, v3
	s_wait_xcnt 0x0
	s_and_not1_b32 exec_lo, exec_lo, s22
	s_cbranch_execnz .LBB15_11
; %bb.12:                               ;   in Loop: Header=BB15_9 Depth=1
	s_or_b32 exec_lo, exec_lo, s22
.LBB15_13:                              ;   in Loop: Header=BB15_9 Depth=1
	s_delay_alu instid0(SALU_CYCLE_1)
	s_or_b32 exec_lo, exec_lo, s21
	ds_bpermute_b32 v4, v12, v17
	s_wait_dscnt 0x0
	v_dual_add_f32 v4, v17, v4 :: v_dual_ashrrev_i32 v3, 31, v2
	ds_bpermute_b32 v5, v13, v4
	s_wait_dscnt 0x0
	v_add_f32_e32 v4, v4, v5
	ds_bpermute_b32 v5, v14, v4
	s_wait_dscnt 0x0
	v_add_f32_e32 v4, v4, v5
	;; [unrolled: 3-line block ×3, first 2 shown]
	ds_bpermute_b32 v5, v16, v4
	s_and_saveexec_b32 s21, s0
	s_cbranch_execz .LBB15_8
; %bb.14:                               ;   in Loop: Header=BB15_9 Depth=1
	s_wait_dscnt 0x0
	v_add_f32_e32 v6, v4, v5
	v_lshl_add_u64 v[4:5], v[2:3], 2, s[18:19]
	s_and_not1_b32 vcc_lo, exec_lo, s17
	s_cbranch_vccnz .LBB15_7
; %bb.15:                               ;   in Loop: Header=BB15_9 Depth=1
	global_load_b32 v3, v[4:5], off
	s_wait_loadcnt 0x0
	v_fmac_f32_e32 v6, s16, v3
	s_branch .LBB15_7
.LBB15_16:
	s_endpgm
	.section	.rodata,"a",@progbits
	.p2align	6, 0x0
	.amdhsa_kernel _ZN9rocsparseL21csrmvn_general_kernelILj256ELj32EliffffEEvbT2_NS_24const_host_device_scalarIT6_EEPKT1_S7_PKS1_PKT3_PKT4_S4_PT5_21rocsparse_index_base_b
		.amdhsa_group_segment_fixed_size 0
		.amdhsa_private_segment_fixed_size 0
		.amdhsa_kernarg_size 336
		.amdhsa_user_sgpr_count 2
		.amdhsa_user_sgpr_dispatch_ptr 0
		.amdhsa_user_sgpr_queue_ptr 0
		.amdhsa_user_sgpr_kernarg_segment_ptr 1
		.amdhsa_user_sgpr_dispatch_id 0
		.amdhsa_user_sgpr_kernarg_preload_length 0
		.amdhsa_user_sgpr_kernarg_preload_offset 0
		.amdhsa_user_sgpr_private_segment_size 0
		.amdhsa_wavefront_size32 1
		.amdhsa_uses_dynamic_stack 0
		.amdhsa_enable_private_segment 0
		.amdhsa_system_sgpr_workgroup_id_x 1
		.amdhsa_system_sgpr_workgroup_id_y 0
		.amdhsa_system_sgpr_workgroup_id_z 0
		.amdhsa_system_sgpr_workgroup_info 0
		.amdhsa_system_vgpr_workitem_id 0
		.amdhsa_next_free_vgpr 19
		.amdhsa_next_free_sgpr 23
		.amdhsa_named_barrier_count 0
		.amdhsa_reserve_vcc 1
		.amdhsa_float_round_mode_32 0
		.amdhsa_float_round_mode_16_64 0
		.amdhsa_float_denorm_mode_32 3
		.amdhsa_float_denorm_mode_16_64 3
		.amdhsa_fp16_overflow 0
		.amdhsa_memory_ordered 1
		.amdhsa_forward_progress 1
		.amdhsa_inst_pref_size 7
		.amdhsa_round_robin_scheduling 0
		.amdhsa_exception_fp_ieee_invalid_op 0
		.amdhsa_exception_fp_denorm_src 0
		.amdhsa_exception_fp_ieee_div_zero 0
		.amdhsa_exception_fp_ieee_overflow 0
		.amdhsa_exception_fp_ieee_underflow 0
		.amdhsa_exception_fp_ieee_inexact 0
		.amdhsa_exception_int_div_zero 0
	.end_amdhsa_kernel
	.section	.text._ZN9rocsparseL21csrmvn_general_kernelILj256ELj32EliffffEEvbT2_NS_24const_host_device_scalarIT6_EEPKT1_S7_PKS1_PKT3_PKT4_S4_PT5_21rocsparse_index_base_b,"axG",@progbits,_ZN9rocsparseL21csrmvn_general_kernelILj256ELj32EliffffEEvbT2_NS_24const_host_device_scalarIT6_EEPKT1_S7_PKS1_PKT3_PKT4_S4_PT5_21rocsparse_index_base_b,comdat
.Lfunc_end15:
	.size	_ZN9rocsparseL21csrmvn_general_kernelILj256ELj32EliffffEEvbT2_NS_24const_host_device_scalarIT6_EEPKT1_S7_PKS1_PKT3_PKT4_S4_PT5_21rocsparse_index_base_b, .Lfunc_end15-_ZN9rocsparseL21csrmvn_general_kernelILj256ELj32EliffffEEvbT2_NS_24const_host_device_scalarIT6_EEPKT1_S7_PKS1_PKT3_PKT4_S4_PT5_21rocsparse_index_base_b
                                        ; -- End function
	.set _ZN9rocsparseL21csrmvn_general_kernelILj256ELj32EliffffEEvbT2_NS_24const_host_device_scalarIT6_EEPKT1_S7_PKS1_PKT3_PKT4_S4_PT5_21rocsparse_index_base_b.num_vgpr, 19
	.set _ZN9rocsparseL21csrmvn_general_kernelILj256ELj32EliffffEEvbT2_NS_24const_host_device_scalarIT6_EEPKT1_S7_PKS1_PKT3_PKT4_S4_PT5_21rocsparse_index_base_b.num_agpr, 0
	.set _ZN9rocsparseL21csrmvn_general_kernelILj256ELj32EliffffEEvbT2_NS_24const_host_device_scalarIT6_EEPKT1_S7_PKS1_PKT3_PKT4_S4_PT5_21rocsparse_index_base_b.numbered_sgpr, 23
	.set _ZN9rocsparseL21csrmvn_general_kernelILj256ELj32EliffffEEvbT2_NS_24const_host_device_scalarIT6_EEPKT1_S7_PKS1_PKT3_PKT4_S4_PT5_21rocsparse_index_base_b.num_named_barrier, 0
	.set _ZN9rocsparseL21csrmvn_general_kernelILj256ELj32EliffffEEvbT2_NS_24const_host_device_scalarIT6_EEPKT1_S7_PKS1_PKT3_PKT4_S4_PT5_21rocsparse_index_base_b.private_seg_size, 0
	.set _ZN9rocsparseL21csrmvn_general_kernelILj256ELj32EliffffEEvbT2_NS_24const_host_device_scalarIT6_EEPKT1_S7_PKS1_PKT3_PKT4_S4_PT5_21rocsparse_index_base_b.uses_vcc, 1
	.set _ZN9rocsparseL21csrmvn_general_kernelILj256ELj32EliffffEEvbT2_NS_24const_host_device_scalarIT6_EEPKT1_S7_PKS1_PKT3_PKT4_S4_PT5_21rocsparse_index_base_b.uses_flat_scratch, 0
	.set _ZN9rocsparseL21csrmvn_general_kernelILj256ELj32EliffffEEvbT2_NS_24const_host_device_scalarIT6_EEPKT1_S7_PKS1_PKT3_PKT4_S4_PT5_21rocsparse_index_base_b.has_dyn_sized_stack, 0
	.set _ZN9rocsparseL21csrmvn_general_kernelILj256ELj32EliffffEEvbT2_NS_24const_host_device_scalarIT6_EEPKT1_S7_PKS1_PKT3_PKT4_S4_PT5_21rocsparse_index_base_b.has_recursion, 0
	.set _ZN9rocsparseL21csrmvn_general_kernelILj256ELj32EliffffEEvbT2_NS_24const_host_device_scalarIT6_EEPKT1_S7_PKS1_PKT3_PKT4_S4_PT5_21rocsparse_index_base_b.has_indirect_call, 0
	.section	.AMDGPU.csdata,"",@progbits
; Kernel info:
; codeLenInByte = 824
; TotalNumSgprs: 25
; NumVgprs: 19
; ScratchSize: 0
; MemoryBound: 0
; FloatMode: 240
; IeeeMode: 1
; LDSByteSize: 0 bytes/workgroup (compile time only)
; SGPRBlocks: 0
; VGPRBlocks: 1
; NumSGPRsForWavesPerEU: 25
; NumVGPRsForWavesPerEU: 19
; NamedBarCnt: 0
; Occupancy: 16
; WaveLimiterHint : 1
; COMPUTE_PGM_RSRC2:SCRATCH_EN: 0
; COMPUTE_PGM_RSRC2:USER_SGPR: 2
; COMPUTE_PGM_RSRC2:TRAP_HANDLER: 0
; COMPUTE_PGM_RSRC2:TGID_X_EN: 1
; COMPUTE_PGM_RSRC2:TGID_Y_EN: 0
; COMPUTE_PGM_RSRC2:TGID_Z_EN: 0
; COMPUTE_PGM_RSRC2:TIDIG_COMP_CNT: 0
	.section	.text._ZN9rocsparseL21csrmvn_general_kernelILj256ELj64EliffffEEvbT2_NS_24const_host_device_scalarIT6_EEPKT1_S7_PKS1_PKT3_PKT4_S4_PT5_21rocsparse_index_base_b,"axG",@progbits,_ZN9rocsparseL21csrmvn_general_kernelILj256ELj64EliffffEEvbT2_NS_24const_host_device_scalarIT6_EEPKT1_S7_PKS1_PKT3_PKT4_S4_PT5_21rocsparse_index_base_b,comdat
	.globl	_ZN9rocsparseL21csrmvn_general_kernelILj256ELj64EliffffEEvbT2_NS_24const_host_device_scalarIT6_EEPKT1_S7_PKS1_PKT3_PKT4_S4_PT5_21rocsparse_index_base_b ; -- Begin function _ZN9rocsparseL21csrmvn_general_kernelILj256ELj64EliffffEEvbT2_NS_24const_host_device_scalarIT6_EEPKT1_S7_PKS1_PKT3_PKT4_S4_PT5_21rocsparse_index_base_b
	.p2align	8
	.type	_ZN9rocsparseL21csrmvn_general_kernelILj256ELj64EliffffEEvbT2_NS_24const_host_device_scalarIT6_EEPKT1_S7_PKS1_PKT3_PKT4_S4_PT5_21rocsparse_index_base_b,@function
_ZN9rocsparseL21csrmvn_general_kernelILj256ELj64EliffffEEvbT2_NS_24const_host_device_scalarIT6_EEPKT1_S7_PKS1_PKT3_PKT4_S4_PT5_21rocsparse_index_base_b: ; @_ZN9rocsparseL21csrmvn_general_kernelILj256ELj64EliffffEEvbT2_NS_24const_host_device_scalarIT6_EEPKT1_S7_PKS1_PKT3_PKT4_S4_PT5_21rocsparse_index_base_b
; %bb.0:
	s_clause 0x2
	s_load_b64 s[2:3], s[0:1], 0x48
	s_load_b128 s[12:15], s[0:1], 0x8
	s_load_b64 s[16:17], s[0:1], 0x38
	s_wait_kmcnt 0x0
	s_bitcmp1_b32 s3, 0
	s_cselect_b32 s3, -1, 0
	s_delay_alu instid0(SALU_CYCLE_1)
	s_and_b32 vcc_lo, exec_lo, s3
	s_xor_b32 s3, s3, -1
	s_cbranch_vccnz .LBB16_2
; %bb.1:
	s_load_b32 s12, s[12:13], 0x0
.LBB16_2:
	s_and_not1_b32 vcc_lo, exec_lo, s3
	s_cbranch_vccnz .LBB16_4
; %bb.3:
	s_load_b32 s16, s[16:17], 0x0
.LBB16_4:
	s_wait_kmcnt 0x0
	s_cmp_neq_f32 s12, 0
	s_cselect_b32 s3, -1, 0
	s_cmp_neq_f32 s16, 1.0
	s_cselect_b32 s4, -1, 0
	s_delay_alu instid0(SALU_CYCLE_1) | instskip(NEXT) | instid1(SALU_CYCLE_1)
	s_or_b32 s3, s3, s4
	s_and_not1_b32 vcc_lo, exec_lo, s3
	s_cbranch_vccnz .LBB16_16
; %bb.5:
	s_bfe_u32 s3, ttmp6, 0x4000c
	s_load_b32 s13, s[0:1], 0x4
	s_add_co_i32 s3, s3, 1
	s_and_b32 s4, ttmp6, 15
	s_mul_i32 s3, ttmp9, s3
	s_getreg_b32 s5, hwreg(HW_REG_IB_STS2, 6, 4)
	s_add_co_i32 s4, s4, s3
	s_cmp_eq_u32 s5, 0
	s_cselect_b32 s3, ttmp9, s4
	s_delay_alu instid0(SALU_CYCLE_1) | instskip(SKIP_1) | instid1(VALU_DEP_1)
	v_lshl_or_b32 v1, s3, 8, v0
	s_mov_b32 s3, exec_lo
	v_lshrrev_b32_e32 v2, 6, v1
	s_wait_kmcnt 0x0
	s_delay_alu instid0(VALU_DEP_1)
	v_cmpx_gt_i32_e64 s13, v2
	s_cbranch_execz .LBB16_16
; %bb.6:
	v_mbcnt_lo_u32_b32 v3, -1, 0
	v_dual_mov_b32 v5, 0 :: v_dual_bitop2_b32 v4, 63, v0 bitop3:0x40
	s_mov_b32 s3, 0
	s_load_b32 s17, s[0:1], 0x50
	s_delay_alu instid0(VALU_DEP_2)
	v_xor_b32_e32 v1, 16, v3
	v_or_b32_e32 v0, 32, v3
	s_clause 0x1
	s_load_b64 s[18:19], s[0:1], 0x40
	s_load_b256 s[4:11], s[0:1], 0x18
	s_wait_xcnt 0x0
	s_ashr_i32 s1, s2, 31
	s_mov_b32 s0, s2
	v_cmp_gt_i32_e32 vcc_lo, 32, v0
	s_lshl_b64 s[20:21], s[0:1], 2
	v_cmp_eq_u32_e64 s0, 63, v4
	v_cndmask_b32_e32 v6, v3, v0, vcc_lo
	v_cmp_gt_i32_e32 vcc_lo, 32, v1
	s_delay_alu instid0(VALU_DEP_2)
	v_dual_cndmask_b32 v7, v3, v1 :: v_dual_lshlrev_b32 v12, 2, v6
	v_sub_nc_u64_e64 v[0:1], v[4:5], s[2:3]
	v_xor_b32_e32 v5, 8, v3
	s_wait_kmcnt 0x0
	s_lshl_b32 s1, s17, 2
	s_cmp_neq_f32 s16, 0
	s_sub_nc_u64 s[10:11], s[10:11], s[20:21]
	s_mov_b32 s20, s3
	v_cmp_gt_i32_e32 vcc_lo, 32, v5
	v_lshlrev_b32_e32 v13, 2, v7
	s_cselect_b32 s17, -1, 0
	v_dual_cndmask_b32 v5, v3, v5, vcc_lo :: v_dual_bitop2_b32 v8, 1, v3 bitop3:0x14
	s_delay_alu instid0(VALU_DEP_1) | instskip(NEXT) | instid1(VALU_DEP_1)
	v_dual_lshlrev_b32 v14, 2, v5 :: v_dual_bitop2_b32 v6, 4, v3 bitop3:0x14
	v_cmp_gt_i32_e32 vcc_lo, 32, v6
	v_dual_cndmask_b32 v6, v3, v6, vcc_lo :: v_dual_bitop2_b32 v7, 2, v3 bitop3:0x14
	s_delay_alu instid0(VALU_DEP_1) | instskip(NEXT) | instid1(VALU_DEP_2)
	v_cmp_gt_i32_e32 vcc_lo, 32, v7
	v_dual_lshlrev_b32 v15, 2, v6 :: v_dual_cndmask_b32 v7, v3, v7, vcc_lo
	v_cmp_gt_i32_e32 vcc_lo, 32, v8
	s_delay_alu instid0(VALU_DEP_2) | instskip(NEXT) | instid1(VALU_DEP_1)
	v_dual_cndmask_b32 v3, v3, v8 :: v_dual_lshlrev_b32 v16, 2, v7
	v_lshlrev_b32_e32 v17, 2, v3
	s_branch .LBB16_9
.LBB16_7:                               ;   in Loop: Header=BB16_9 Depth=1
	global_store_b32 v[4:5], v6, off
.LBB16_8:                               ;   in Loop: Header=BB16_9 Depth=1
	s_wait_xcnt 0x0
	s_or_b32 exec_lo, exec_lo, s21
	v_add_nc_u32_e32 v2, s1, v2
	s_delay_alu instid0(VALU_DEP_1) | instskip(SKIP_1) | instid1(SALU_CYCLE_1)
	v_cmp_le_i32_e32 vcc_lo, s13, v2
	s_or_b32 s20, vcc_lo, s20
	s_and_not1_b32 exec_lo, exec_lo, s20
	s_cbranch_execz .LBB16_16
.LBB16_9:                               ; =>This Loop Header: Depth=1
                                        ;     Child Loop BB16_11 Depth 2
	s_wait_dscnt 0x0
	s_clause 0x1
	global_load_b64 v[4:5], v2, s[4:5] scale_offset
	global_load_b64 v[6:7], v2, s[14:15] scale_offset
	v_mov_b32_e32 v18, 0
	s_mov_b32 s21, exec_lo
	s_wait_loadcnt 0x1
	v_sub_nc_u64_e64 v[4:5], v[4:5], s[2:3]
	s_wait_loadcnt 0x0
	v_add_nc_u64_e32 v[6:7], v[6:7], v[0:1]
	s_wait_xcnt 0x0
	s_delay_alu instid0(VALU_DEP_1)
	v_cmpx_lt_i64_e64 v[6:7], v[4:5]
	s_cbranch_execz .LBB16_13
; %bb.10:                               ;   in Loop: Header=BB16_9 Depth=1
	v_lshlrev_b64_e32 v[10:11], 2, v[6:7]
	v_mov_b32_e32 v18, 0
	s_mov_b32 s22, 0
	s_delay_alu instid0(VALU_DEP_2)
	v_add_nc_u64_e32 v[8:9], s[8:9], v[10:11]
	v_add_nc_u64_e32 v[10:11], s[6:7], v[10:11]
.LBB16_11:                              ;   Parent Loop BB16_9 Depth=1
                                        ; =>  This Inner Loop Header: Depth=2
	global_load_b32 v3, v[10:11], off
	global_load_b32 v19, v[8:9], off
	v_add_nc_u64_e32 v[6:7], 64, v[6:7]
	s_wait_xcnt 0x0
	v_add_nc_u64_e32 v[8:9], 0x100, v[8:9]
	v_add_nc_u64_e32 v[10:11], 0x100, v[10:11]
	s_delay_alu instid0(VALU_DEP_3)
	v_cmp_ge_i64_e32 vcc_lo, v[6:7], v[4:5]
	s_or_b32 s22, vcc_lo, s22
	s_wait_loadcnt 0x1
	global_load_b32 v3, v3, s[10:11] scale_offset
	s_wait_loadcnt 0x1
	v_mul_f32_e32 v19, s12, v19
	s_wait_loadcnt 0x0
	s_delay_alu instid0(VALU_DEP_1)
	v_fmac_f32_e32 v18, v19, v3
	s_wait_xcnt 0x0
	s_and_not1_b32 exec_lo, exec_lo, s22
	s_cbranch_execnz .LBB16_11
; %bb.12:                               ;   in Loop: Header=BB16_9 Depth=1
	s_or_b32 exec_lo, exec_lo, s22
.LBB16_13:                              ;   in Loop: Header=BB16_9 Depth=1
	s_delay_alu instid0(SALU_CYCLE_1)
	s_or_b32 exec_lo, exec_lo, s21
	ds_bpermute_b32 v4, v12, v18
	s_wait_dscnt 0x0
	v_dual_add_f32 v4, v18, v4 :: v_dual_ashrrev_i32 v3, 31, v2
	ds_bpermute_b32 v5, v13, v4
	s_wait_dscnt 0x0
	v_add_f32_e32 v4, v4, v5
	ds_bpermute_b32 v5, v14, v4
	s_wait_dscnt 0x0
	v_add_f32_e32 v4, v4, v5
	;; [unrolled: 3-line block ×4, first 2 shown]
	ds_bpermute_b32 v5, v17, v4
	s_and_saveexec_b32 s21, s0
	s_cbranch_execz .LBB16_8
; %bb.14:                               ;   in Loop: Header=BB16_9 Depth=1
	s_wait_dscnt 0x0
	v_add_f32_e32 v6, v4, v5
	v_lshl_add_u64 v[4:5], v[2:3], 2, s[18:19]
	s_and_not1_b32 vcc_lo, exec_lo, s17
	s_cbranch_vccnz .LBB16_7
; %bb.15:                               ;   in Loop: Header=BB16_9 Depth=1
	global_load_b32 v3, v[4:5], off
	s_wait_loadcnt 0x0
	v_fmac_f32_e32 v6, s16, v3
	s_branch .LBB16_7
.LBB16_16:
	s_endpgm
	.section	.rodata,"a",@progbits
	.p2align	6, 0x0
	.amdhsa_kernel _ZN9rocsparseL21csrmvn_general_kernelILj256ELj64EliffffEEvbT2_NS_24const_host_device_scalarIT6_EEPKT1_S7_PKS1_PKT3_PKT4_S4_PT5_21rocsparse_index_base_b
		.amdhsa_group_segment_fixed_size 0
		.amdhsa_private_segment_fixed_size 0
		.amdhsa_kernarg_size 336
		.amdhsa_user_sgpr_count 2
		.amdhsa_user_sgpr_dispatch_ptr 0
		.amdhsa_user_sgpr_queue_ptr 0
		.amdhsa_user_sgpr_kernarg_segment_ptr 1
		.amdhsa_user_sgpr_dispatch_id 0
		.amdhsa_user_sgpr_kernarg_preload_length 0
		.amdhsa_user_sgpr_kernarg_preload_offset 0
		.amdhsa_user_sgpr_private_segment_size 0
		.amdhsa_wavefront_size32 1
		.amdhsa_uses_dynamic_stack 0
		.amdhsa_enable_private_segment 0
		.amdhsa_system_sgpr_workgroup_id_x 1
		.amdhsa_system_sgpr_workgroup_id_y 0
		.amdhsa_system_sgpr_workgroup_id_z 0
		.amdhsa_system_sgpr_workgroup_info 0
		.amdhsa_system_vgpr_workitem_id 0
		.amdhsa_next_free_vgpr 20
		.amdhsa_next_free_sgpr 23
		.amdhsa_named_barrier_count 0
		.amdhsa_reserve_vcc 1
		.amdhsa_float_round_mode_32 0
		.amdhsa_float_round_mode_16_64 0
		.amdhsa_float_denorm_mode_32 3
		.amdhsa_float_denorm_mode_16_64 3
		.amdhsa_fp16_overflow 0
		.amdhsa_memory_ordered 1
		.amdhsa_forward_progress 1
		.amdhsa_inst_pref_size 7
		.amdhsa_round_robin_scheduling 0
		.amdhsa_exception_fp_ieee_invalid_op 0
		.amdhsa_exception_fp_denorm_src 0
		.amdhsa_exception_fp_ieee_div_zero 0
		.amdhsa_exception_fp_ieee_overflow 0
		.amdhsa_exception_fp_ieee_underflow 0
		.amdhsa_exception_fp_ieee_inexact 0
		.amdhsa_exception_int_div_zero 0
	.end_amdhsa_kernel
	.section	.text._ZN9rocsparseL21csrmvn_general_kernelILj256ELj64EliffffEEvbT2_NS_24const_host_device_scalarIT6_EEPKT1_S7_PKS1_PKT3_PKT4_S4_PT5_21rocsparse_index_base_b,"axG",@progbits,_ZN9rocsparseL21csrmvn_general_kernelILj256ELj64EliffffEEvbT2_NS_24const_host_device_scalarIT6_EEPKT1_S7_PKS1_PKT3_PKT4_S4_PT5_21rocsparse_index_base_b,comdat
.Lfunc_end16:
	.size	_ZN9rocsparseL21csrmvn_general_kernelILj256ELj64EliffffEEvbT2_NS_24const_host_device_scalarIT6_EEPKT1_S7_PKS1_PKT3_PKT4_S4_PT5_21rocsparse_index_base_b, .Lfunc_end16-_ZN9rocsparseL21csrmvn_general_kernelILj256ELj64EliffffEEvbT2_NS_24const_host_device_scalarIT6_EEPKT1_S7_PKS1_PKT3_PKT4_S4_PT5_21rocsparse_index_base_b
                                        ; -- End function
	.set _ZN9rocsparseL21csrmvn_general_kernelILj256ELj64EliffffEEvbT2_NS_24const_host_device_scalarIT6_EEPKT1_S7_PKS1_PKT3_PKT4_S4_PT5_21rocsparse_index_base_b.num_vgpr, 20
	.set _ZN9rocsparseL21csrmvn_general_kernelILj256ELj64EliffffEEvbT2_NS_24const_host_device_scalarIT6_EEPKT1_S7_PKS1_PKT3_PKT4_S4_PT5_21rocsparse_index_base_b.num_agpr, 0
	.set _ZN9rocsparseL21csrmvn_general_kernelILj256ELj64EliffffEEvbT2_NS_24const_host_device_scalarIT6_EEPKT1_S7_PKS1_PKT3_PKT4_S4_PT5_21rocsparse_index_base_b.numbered_sgpr, 23
	.set _ZN9rocsparseL21csrmvn_general_kernelILj256ELj64EliffffEEvbT2_NS_24const_host_device_scalarIT6_EEPKT1_S7_PKS1_PKT3_PKT4_S4_PT5_21rocsparse_index_base_b.num_named_barrier, 0
	.set _ZN9rocsparseL21csrmvn_general_kernelILj256ELj64EliffffEEvbT2_NS_24const_host_device_scalarIT6_EEPKT1_S7_PKS1_PKT3_PKT4_S4_PT5_21rocsparse_index_base_b.private_seg_size, 0
	.set _ZN9rocsparseL21csrmvn_general_kernelILj256ELj64EliffffEEvbT2_NS_24const_host_device_scalarIT6_EEPKT1_S7_PKS1_PKT3_PKT4_S4_PT5_21rocsparse_index_base_b.uses_vcc, 1
	.set _ZN9rocsparseL21csrmvn_general_kernelILj256ELj64EliffffEEvbT2_NS_24const_host_device_scalarIT6_EEPKT1_S7_PKS1_PKT3_PKT4_S4_PT5_21rocsparse_index_base_b.uses_flat_scratch, 0
	.set _ZN9rocsparseL21csrmvn_general_kernelILj256ELj64EliffffEEvbT2_NS_24const_host_device_scalarIT6_EEPKT1_S7_PKS1_PKT3_PKT4_S4_PT5_21rocsparse_index_base_b.has_dyn_sized_stack, 0
	.set _ZN9rocsparseL21csrmvn_general_kernelILj256ELj64EliffffEEvbT2_NS_24const_host_device_scalarIT6_EEPKT1_S7_PKS1_PKT3_PKT4_S4_PT5_21rocsparse_index_base_b.has_recursion, 0
	.set _ZN9rocsparseL21csrmvn_general_kernelILj256ELj64EliffffEEvbT2_NS_24const_host_device_scalarIT6_EEPKT1_S7_PKS1_PKT3_PKT4_S4_PT5_21rocsparse_index_base_b.has_indirect_call, 0
	.section	.AMDGPU.csdata,"",@progbits
; Kernel info:
; codeLenInByte = 864
; TotalNumSgprs: 25
; NumVgprs: 20
; ScratchSize: 0
; MemoryBound: 0
; FloatMode: 240
; IeeeMode: 1
; LDSByteSize: 0 bytes/workgroup (compile time only)
; SGPRBlocks: 0
; VGPRBlocks: 1
; NumSGPRsForWavesPerEU: 25
; NumVGPRsForWavesPerEU: 20
; NamedBarCnt: 0
; Occupancy: 16
; WaveLimiterHint : 1
; COMPUTE_PGM_RSRC2:SCRATCH_EN: 0
; COMPUTE_PGM_RSRC2:USER_SGPR: 2
; COMPUTE_PGM_RSRC2:TRAP_HANDLER: 0
; COMPUTE_PGM_RSRC2:TGID_X_EN: 1
; COMPUTE_PGM_RSRC2:TGID_Y_EN: 0
; COMPUTE_PGM_RSRC2:TGID_Z_EN: 0
; COMPUTE_PGM_RSRC2:TIDIG_COMP_CNT: 0
	.section	.text._ZN9rocsparseL21csrmvt_general_kernelILj256ELj4EliffffEEvbbT2_NS_24const_host_device_scalarIT6_EEPKT1_S7_PKS1_PKT3_PKT4_PT5_21rocsparse_index_base_b,"axG",@progbits,_ZN9rocsparseL21csrmvt_general_kernelILj256ELj4EliffffEEvbbT2_NS_24const_host_device_scalarIT6_EEPKT1_S7_PKS1_PKT3_PKT4_PT5_21rocsparse_index_base_b,comdat
	.globl	_ZN9rocsparseL21csrmvt_general_kernelILj256ELj4EliffffEEvbbT2_NS_24const_host_device_scalarIT6_EEPKT1_S7_PKS1_PKT3_PKT4_PT5_21rocsparse_index_base_b ; -- Begin function _ZN9rocsparseL21csrmvt_general_kernelILj256ELj4EliffffEEvbbT2_NS_24const_host_device_scalarIT6_EEPKT1_S7_PKS1_PKT3_PKT4_PT5_21rocsparse_index_base_b
	.p2align	8
	.type	_ZN9rocsparseL21csrmvt_general_kernelILj256ELj4EliffffEEvbbT2_NS_24const_host_device_scalarIT6_EEPKT1_S7_PKS1_PKT3_PKT4_PT5_21rocsparse_index_base_b,@function
_ZN9rocsparseL21csrmvt_general_kernelILj256ELj4EliffffEEvbbT2_NS_24const_host_device_scalarIT6_EEPKT1_S7_PKS1_PKT3_PKT4_PT5_21rocsparse_index_base_b: ; @_ZN9rocsparseL21csrmvt_general_kernelILj256ELj4EliffffEEvbbT2_NS_24const_host_device_scalarIT6_EEPKT1_S7_PKS1_PKT3_PKT4_PT5_21rocsparse_index_base_b
; %bb.0:
	s_clause 0x1
	s_load_b64 s[2:3], s[0:1], 0x40
	s_load_b128 s[12:15], s[0:1], 0x8
	s_wait_kmcnt 0x0
	s_bitcmp1_b32 s3, 0
	s_cselect_b32 s3, -1, 0
	s_delay_alu instid0(SALU_CYCLE_1)
	s_and_b32 vcc_lo, exec_lo, s3
	s_cbranch_vccnz .LBB17_2
; %bb.1:
	s_load_b32 s12, s[12:13], 0x0
.LBB17_2:
	s_wait_kmcnt 0x0
	s_cmp_eq_f32 s12, 0
	s_cbranch_scc1 .LBB17_20
; %bb.3:
	s_clause 0x3
	s_load_b64 s[16:17], s[0:1], 0x0
	s_load_b32 s3, s[0:1], 0x48
	s_load_b64 s[18:19], s[0:1], 0x38
	s_load_b256 s[4:11], s[0:1], 0x18
	s_wait_xcnt 0x0
	s_bfe_u32 s0, ttmp6, 0x4000c
	s_and_b32 s13, ttmp6, 15
	s_add_co_i32 s0, s0, 1
	s_getreg_b32 s20, hwreg(HW_REG_IB_STS2, 6, 4)
	s_mul_i32 s0, ttmp9, s0
	s_delay_alu instid0(SALU_CYCLE_1)
	s_add_co_i32 s13, s13, s0
	s_wait_kmcnt 0x0
	s_and_b32 s16, s16, 1
	s_lshl_b32 s1, s3, 6
	s_cmp_eq_u32 s20, 0
	s_mov_b32 s3, -1
	s_cselect_b32 s0, ttmp9, s13
	s_cmp_eq_u32 s16, 0
	v_lshl_or_b32 v1, s0, 8, v0
	s_delay_alu instid0(VALU_DEP_1) | instskip(NEXT) | instid1(VALU_DEP_1)
	v_dual_lshrrev_b32 v2, 2, v1 :: v_dual_bitop2_b32 v0, 3, v0 bitop3:0x40
	v_cmp_gt_i32_e64 s0, s17, v2
	s_cbranch_scc0 .LBB17_11
; %bb.4:
	s_and_saveexec_b32 s13, s0
	s_cbranch_execz .LBB17_10
; %bb.5:
	v_dual_mov_b32 v1, 0 :: v_dual_mov_b32 v6, v2
	s_mov_b32 s3, 0
	s_delay_alu instid0(SALU_CYCLE_1) | instskip(NEXT) | instid1(VALU_DEP_1)
	s_mov_b32 s16, s3
	v_sub_nc_u64_e64 v[4:5], v[0:1], s[2:3]
	s_branch .LBB17_7
.LBB17_6:                               ;   in Loop: Header=BB17_7 Depth=1
	s_or_b32 exec_lo, exec_lo, s20
	v_add_nc_u32_e32 v6, s1, v6
	s_delay_alu instid0(VALU_DEP_1) | instskip(SKIP_1) | instid1(SALU_CYCLE_1)
	v_cmp_le_i32_e32 vcc_lo, s17, v6
	s_or_b32 s16, vcc_lo, s16
	s_and_not1_b32 exec_lo, exec_lo, s16
	s_cbranch_execz .LBB17_10
.LBB17_7:                               ; =>This Loop Header: Depth=1
                                        ;     Child Loop BB17_9 Depth 2
	s_clause 0x1
	global_load_b64 v[8:9], v6, s[4:5] scale_offset
	global_load_b64 v[10:11], v6, s[14:15] scale_offset
	s_mov_b32 s20, exec_lo
	s_wait_loadcnt 0x1
	v_sub_nc_u64_e64 v[8:9], v[8:9], s[2:3]
	s_wait_loadcnt 0x0
	v_add_nc_u64_e32 v[10:11], v[10:11], v[4:5]
	s_wait_xcnt 0x0
	s_delay_alu instid0(VALU_DEP_1)
	v_cmpx_lt_i64_e64 v[10:11], v[8:9]
	s_cbranch_execz .LBB17_6
; %bb.8:                                ;   in Loop: Header=BB17_7 Depth=1
	v_ashrrev_i32_e32 v7, 31, v6
	v_lshlrev_b64_e32 v[14:15], 2, v[10:11]
	s_mov_b32 s21, 0
	s_delay_alu instid0(VALU_DEP_2)
	v_lshl_add_u64 v[12:13], v[6:7], 2, s[10:11]
	global_load_b32 v1, v[12:13], off
	s_wait_xcnt 0x0
	v_add_nc_u64_e32 v[12:13], s[6:7], v[14:15]
	v_add_nc_u64_e32 v[14:15], s[8:9], v[14:15]
	s_wait_loadcnt 0x0
	v_mul_f32_e32 v1, s12, v1
.LBB17_9:                               ;   Parent Loop BB17_7 Depth=1
                                        ; =>  This Inner Loop Header: Depth=2
	global_load_b32 v3, v[12:13], off
	global_load_b32 v7, v[14:15], off
	v_add_nc_u64_e32 v[10:11], 4, v[10:11]
	s_wait_xcnt 0x1
	v_add_nc_u64_e32 v[12:13], 16, v[12:13]
	s_wait_xcnt 0x0
	v_add_nc_u64_e32 v[14:15], 16, v[14:15]
	s_delay_alu instid0(VALU_DEP_3)
	v_cmp_ge_i64_e32 vcc_lo, v[10:11], v[8:9]
	s_or_b32 s21, vcc_lo, s21
	s_wait_loadcnt 0x1
	v_subrev_nc_u32_e32 v3, s2, v3
	s_wait_loadcnt 0x0
	v_mul_f32_e32 v7, v1, v7
	global_atomic_add_f32 v3, v7, s[18:19] scale_offset scope:SCOPE_DEV
	s_wait_xcnt 0x0
	s_and_not1_b32 exec_lo, exec_lo, s21
	s_cbranch_execnz .LBB17_9
	s_branch .LBB17_6
.LBB17_10:
	s_or_b32 exec_lo, exec_lo, s13
	s_mov_b32 s3, 0
.LBB17_11:
	s_delay_alu instid0(SALU_CYCLE_1)
	s_and_not1_b32 vcc_lo, exec_lo, s3
	s_cbranch_vccnz .LBB17_20
; %bb.12:
	s_and_saveexec_b32 s3, s0
	s_cbranch_execz .LBB17_20
; %bb.13:
	v_mov_b32_e32 v1, 0
	s_mov_b32 s3, 0
	s_delay_alu instid0(SALU_CYCLE_1) | instskip(NEXT) | instid1(VALU_DEP_1)
	s_mov_b32 s0, s3
	v_sub_nc_u64_e64 v[0:1], v[0:1], s[2:3]
	s_branch .LBB17_15
.LBB17_14:                              ;   in Loop: Header=BB17_15 Depth=1
	s_or_b32 exec_lo, exec_lo, s13
	v_add_nc_u32_e32 v2, s1, v2
	s_delay_alu instid0(VALU_DEP_1) | instskip(SKIP_1) | instid1(SALU_CYCLE_1)
	v_cmp_le_i32_e32 vcc_lo, s17, v2
	s_or_b32 s0, vcc_lo, s0
	s_and_not1_b32 exec_lo, exec_lo, s0
	s_cbranch_execz .LBB17_20
.LBB17_15:                              ; =>This Loop Header: Depth=1
                                        ;     Child Loop BB17_18 Depth 2
	s_clause 0x1
	global_load_b64 v[4:5], v2, s[4:5] scale_offset
	global_load_b64 v[6:7], v2, s[14:15] scale_offset
	s_mov_b32 s13, exec_lo
	s_wait_loadcnt 0x1
	v_sub_nc_u64_e64 v[4:5], v[4:5], s[2:3]
	s_wait_loadcnt 0x0
	v_add_nc_u64_e32 v[6:7], v[6:7], v[0:1]
	s_wait_xcnt 0x0
	s_delay_alu instid0(VALU_DEP_1)
	v_cmpx_lt_i64_e64 v[6:7], v[4:5]
	s_cbranch_execz .LBB17_14
; %bb.16:                               ;   in Loop: Header=BB17_15 Depth=1
	v_ashrrev_i32_e32 v3, 31, v2
	v_lshlrev_b64_e32 v[10:11], 2, v[6:7]
	s_mov_b32 s16, 0
	s_delay_alu instid0(VALU_DEP_2)
	v_lshl_add_u64 v[8:9], v[2:3], 2, s[10:11]
	global_load_b32 v3, v[8:9], off
	s_wait_xcnt 0x0
	v_add_nc_u64_e32 v[8:9], s[6:7], v[10:11]
	v_add_nc_u64_e32 v[10:11], s[8:9], v[10:11]
	s_wait_loadcnt 0x0
	v_mul_f32_e32 v3, s12, v3
	s_branch .LBB17_18
.LBB17_17:                              ;   in Loop: Header=BB17_18 Depth=2
	s_wait_xcnt 0x0
	s_or_b32 exec_lo, exec_lo, s20
	v_add_nc_u64_e32 v[6:7], 4, v[6:7]
	v_add_nc_u64_e32 v[8:9], 16, v[8:9]
	;; [unrolled: 1-line block ×3, first 2 shown]
	s_delay_alu instid0(VALU_DEP_3) | instskip(SKIP_1) | instid1(SALU_CYCLE_1)
	v_cmp_ge_i64_e32 vcc_lo, v[6:7], v[4:5]
	s_or_b32 s16, vcc_lo, s16
	s_and_not1_b32 exec_lo, exec_lo, s16
	s_cbranch_execz .LBB17_14
.LBB17_18:                              ;   Parent Loop BB17_15 Depth=1
                                        ; =>  This Inner Loop Header: Depth=2
	global_load_b32 v12, v[8:9], off
	s_mov_b32 s20, exec_lo
	s_wait_loadcnt 0x0
	v_subrev_nc_u32_e32 v12, s2, v12
	s_wait_xcnt 0x0
	s_delay_alu instid0(VALU_DEP_1)
	v_cmpx_ne_u32_e64 v12, v2
	s_cbranch_execz .LBB17_17
; %bb.19:                               ;   in Loop: Header=BB17_18 Depth=2
	global_load_b32 v13, v[10:11], off
	s_wait_loadcnt 0x0
	v_mul_f32_e32 v13, v3, v13
	s_wait_xcnt 0x0
	global_atomic_add_f32 v12, v13, s[18:19] scale_offset scope:SCOPE_DEV
	s_branch .LBB17_17
.LBB17_20:
	s_endpgm
	.section	.rodata,"a",@progbits
	.p2align	6, 0x0
	.amdhsa_kernel _ZN9rocsparseL21csrmvt_general_kernelILj256ELj4EliffffEEvbbT2_NS_24const_host_device_scalarIT6_EEPKT1_S7_PKS1_PKT3_PKT4_PT5_21rocsparse_index_base_b
		.amdhsa_group_segment_fixed_size 0
		.amdhsa_private_segment_fixed_size 0
		.amdhsa_kernarg_size 328
		.amdhsa_user_sgpr_count 2
		.amdhsa_user_sgpr_dispatch_ptr 0
		.amdhsa_user_sgpr_queue_ptr 0
		.amdhsa_user_sgpr_kernarg_segment_ptr 1
		.amdhsa_user_sgpr_dispatch_id 0
		.amdhsa_user_sgpr_kernarg_preload_length 0
		.amdhsa_user_sgpr_kernarg_preload_offset 0
		.amdhsa_user_sgpr_private_segment_size 0
		.amdhsa_wavefront_size32 1
		.amdhsa_uses_dynamic_stack 0
		.amdhsa_enable_private_segment 0
		.amdhsa_system_sgpr_workgroup_id_x 1
		.amdhsa_system_sgpr_workgroup_id_y 0
		.amdhsa_system_sgpr_workgroup_id_z 0
		.amdhsa_system_sgpr_workgroup_info 0
		.amdhsa_system_vgpr_workitem_id 0
		.amdhsa_next_free_vgpr 16
		.amdhsa_next_free_sgpr 22
		.amdhsa_named_barrier_count 0
		.amdhsa_reserve_vcc 1
		.amdhsa_float_round_mode_32 0
		.amdhsa_float_round_mode_16_64 0
		.amdhsa_float_denorm_mode_32 3
		.amdhsa_float_denorm_mode_16_64 3
		.amdhsa_fp16_overflow 0
		.amdhsa_memory_ordered 1
		.amdhsa_forward_progress 1
		.amdhsa_inst_pref_size 7
		.amdhsa_round_robin_scheduling 0
		.amdhsa_exception_fp_ieee_invalid_op 0
		.amdhsa_exception_fp_denorm_src 0
		.amdhsa_exception_fp_ieee_div_zero 0
		.amdhsa_exception_fp_ieee_overflow 0
		.amdhsa_exception_fp_ieee_underflow 0
		.amdhsa_exception_fp_ieee_inexact 0
		.amdhsa_exception_int_div_zero 0
	.end_amdhsa_kernel
	.section	.text._ZN9rocsparseL21csrmvt_general_kernelILj256ELj4EliffffEEvbbT2_NS_24const_host_device_scalarIT6_EEPKT1_S7_PKS1_PKT3_PKT4_PT5_21rocsparse_index_base_b,"axG",@progbits,_ZN9rocsparseL21csrmvt_general_kernelILj256ELj4EliffffEEvbbT2_NS_24const_host_device_scalarIT6_EEPKT1_S7_PKS1_PKT3_PKT4_PT5_21rocsparse_index_base_b,comdat
.Lfunc_end17:
	.size	_ZN9rocsparseL21csrmvt_general_kernelILj256ELj4EliffffEEvbbT2_NS_24const_host_device_scalarIT6_EEPKT1_S7_PKS1_PKT3_PKT4_PT5_21rocsparse_index_base_b, .Lfunc_end17-_ZN9rocsparseL21csrmvt_general_kernelILj256ELj4EliffffEEvbbT2_NS_24const_host_device_scalarIT6_EEPKT1_S7_PKS1_PKT3_PKT4_PT5_21rocsparse_index_base_b
                                        ; -- End function
	.set _ZN9rocsparseL21csrmvt_general_kernelILj256ELj4EliffffEEvbbT2_NS_24const_host_device_scalarIT6_EEPKT1_S7_PKS1_PKT3_PKT4_PT5_21rocsparse_index_base_b.num_vgpr, 16
	.set _ZN9rocsparseL21csrmvt_general_kernelILj256ELj4EliffffEEvbbT2_NS_24const_host_device_scalarIT6_EEPKT1_S7_PKS1_PKT3_PKT4_PT5_21rocsparse_index_base_b.num_agpr, 0
	.set _ZN9rocsparseL21csrmvt_general_kernelILj256ELj4EliffffEEvbbT2_NS_24const_host_device_scalarIT6_EEPKT1_S7_PKS1_PKT3_PKT4_PT5_21rocsparse_index_base_b.numbered_sgpr, 22
	.set _ZN9rocsparseL21csrmvt_general_kernelILj256ELj4EliffffEEvbbT2_NS_24const_host_device_scalarIT6_EEPKT1_S7_PKS1_PKT3_PKT4_PT5_21rocsparse_index_base_b.num_named_barrier, 0
	.set _ZN9rocsparseL21csrmvt_general_kernelILj256ELj4EliffffEEvbbT2_NS_24const_host_device_scalarIT6_EEPKT1_S7_PKS1_PKT3_PKT4_PT5_21rocsparse_index_base_b.private_seg_size, 0
	.set _ZN9rocsparseL21csrmvt_general_kernelILj256ELj4EliffffEEvbbT2_NS_24const_host_device_scalarIT6_EEPKT1_S7_PKS1_PKT3_PKT4_PT5_21rocsparse_index_base_b.uses_vcc, 1
	.set _ZN9rocsparseL21csrmvt_general_kernelILj256ELj4EliffffEEvbbT2_NS_24const_host_device_scalarIT6_EEPKT1_S7_PKS1_PKT3_PKT4_PT5_21rocsparse_index_base_b.uses_flat_scratch, 0
	.set _ZN9rocsparseL21csrmvt_general_kernelILj256ELj4EliffffEEvbbT2_NS_24const_host_device_scalarIT6_EEPKT1_S7_PKS1_PKT3_PKT4_PT5_21rocsparse_index_base_b.has_dyn_sized_stack, 0
	.set _ZN9rocsparseL21csrmvt_general_kernelILj256ELj4EliffffEEvbbT2_NS_24const_host_device_scalarIT6_EEPKT1_S7_PKS1_PKT3_PKT4_PT5_21rocsparse_index_base_b.has_recursion, 0
	.set _ZN9rocsparseL21csrmvt_general_kernelILj256ELj4EliffffEEvbbT2_NS_24const_host_device_scalarIT6_EEPKT1_S7_PKS1_PKT3_PKT4_PT5_21rocsparse_index_base_b.has_indirect_call, 0
	.section	.AMDGPU.csdata,"",@progbits
; Kernel info:
; codeLenInByte = 840
; TotalNumSgprs: 24
; NumVgprs: 16
; ScratchSize: 0
; MemoryBound: 0
; FloatMode: 240
; IeeeMode: 1
; LDSByteSize: 0 bytes/workgroup (compile time only)
; SGPRBlocks: 0
; VGPRBlocks: 0
; NumSGPRsForWavesPerEU: 24
; NumVGPRsForWavesPerEU: 16
; NamedBarCnt: 0
; Occupancy: 16
; WaveLimiterHint : 1
; COMPUTE_PGM_RSRC2:SCRATCH_EN: 0
; COMPUTE_PGM_RSRC2:USER_SGPR: 2
; COMPUTE_PGM_RSRC2:TRAP_HANDLER: 0
; COMPUTE_PGM_RSRC2:TGID_X_EN: 1
; COMPUTE_PGM_RSRC2:TGID_Y_EN: 0
; COMPUTE_PGM_RSRC2:TGID_Z_EN: 0
; COMPUTE_PGM_RSRC2:TIDIG_COMP_CNT: 0
	.section	.text._ZN9rocsparseL21csrmvt_general_kernelILj256ELj8EliffffEEvbbT2_NS_24const_host_device_scalarIT6_EEPKT1_S7_PKS1_PKT3_PKT4_PT5_21rocsparse_index_base_b,"axG",@progbits,_ZN9rocsparseL21csrmvt_general_kernelILj256ELj8EliffffEEvbbT2_NS_24const_host_device_scalarIT6_EEPKT1_S7_PKS1_PKT3_PKT4_PT5_21rocsparse_index_base_b,comdat
	.globl	_ZN9rocsparseL21csrmvt_general_kernelILj256ELj8EliffffEEvbbT2_NS_24const_host_device_scalarIT6_EEPKT1_S7_PKS1_PKT3_PKT4_PT5_21rocsparse_index_base_b ; -- Begin function _ZN9rocsparseL21csrmvt_general_kernelILj256ELj8EliffffEEvbbT2_NS_24const_host_device_scalarIT6_EEPKT1_S7_PKS1_PKT3_PKT4_PT5_21rocsparse_index_base_b
	.p2align	8
	.type	_ZN9rocsparseL21csrmvt_general_kernelILj256ELj8EliffffEEvbbT2_NS_24const_host_device_scalarIT6_EEPKT1_S7_PKS1_PKT3_PKT4_PT5_21rocsparse_index_base_b,@function
_ZN9rocsparseL21csrmvt_general_kernelILj256ELj8EliffffEEvbbT2_NS_24const_host_device_scalarIT6_EEPKT1_S7_PKS1_PKT3_PKT4_PT5_21rocsparse_index_base_b: ; @_ZN9rocsparseL21csrmvt_general_kernelILj256ELj8EliffffEEvbbT2_NS_24const_host_device_scalarIT6_EEPKT1_S7_PKS1_PKT3_PKT4_PT5_21rocsparse_index_base_b
; %bb.0:
	s_clause 0x1
	s_load_b64 s[2:3], s[0:1], 0x40
	s_load_b128 s[12:15], s[0:1], 0x8
	s_wait_kmcnt 0x0
	s_bitcmp1_b32 s3, 0
	s_cselect_b32 s3, -1, 0
	s_delay_alu instid0(SALU_CYCLE_1)
	s_and_b32 vcc_lo, exec_lo, s3
	s_cbranch_vccnz .LBB18_2
; %bb.1:
	s_load_b32 s12, s[12:13], 0x0
.LBB18_2:
	s_wait_kmcnt 0x0
	s_cmp_eq_f32 s12, 0
	s_cbranch_scc1 .LBB18_20
; %bb.3:
	s_clause 0x3
	s_load_b64 s[16:17], s[0:1], 0x0
	s_load_b32 s3, s[0:1], 0x48
	s_load_b64 s[18:19], s[0:1], 0x38
	s_load_b256 s[4:11], s[0:1], 0x18
	s_wait_xcnt 0x0
	s_bfe_u32 s0, ttmp6, 0x4000c
	s_and_b32 s13, ttmp6, 15
	s_add_co_i32 s0, s0, 1
	s_getreg_b32 s20, hwreg(HW_REG_IB_STS2, 6, 4)
	s_mul_i32 s0, ttmp9, s0
	s_delay_alu instid0(SALU_CYCLE_1)
	s_add_co_i32 s13, s13, s0
	s_wait_kmcnt 0x0
	s_and_b32 s16, s16, 1
	s_lshl_b32 s1, s3, 5
	s_cmp_eq_u32 s20, 0
	s_mov_b32 s3, -1
	s_cselect_b32 s0, ttmp9, s13
	s_cmp_eq_u32 s16, 0
	v_lshl_or_b32 v1, s0, 8, v0
	s_delay_alu instid0(VALU_DEP_1) | instskip(NEXT) | instid1(VALU_DEP_1)
	v_dual_lshrrev_b32 v2, 3, v1 :: v_dual_bitop2_b32 v0, 7, v0 bitop3:0x40
	v_cmp_gt_i32_e64 s0, s17, v2
	s_cbranch_scc0 .LBB18_11
; %bb.4:
	s_and_saveexec_b32 s13, s0
	s_cbranch_execz .LBB18_10
; %bb.5:
	v_dual_mov_b32 v1, 0 :: v_dual_mov_b32 v6, v2
	s_mov_b32 s3, 0
	s_delay_alu instid0(SALU_CYCLE_1) | instskip(NEXT) | instid1(VALU_DEP_1)
	s_mov_b32 s16, s3
	v_sub_nc_u64_e64 v[4:5], v[0:1], s[2:3]
	s_branch .LBB18_7
.LBB18_6:                               ;   in Loop: Header=BB18_7 Depth=1
	s_or_b32 exec_lo, exec_lo, s20
	v_add_nc_u32_e32 v6, s1, v6
	s_delay_alu instid0(VALU_DEP_1) | instskip(SKIP_1) | instid1(SALU_CYCLE_1)
	v_cmp_le_i32_e32 vcc_lo, s17, v6
	s_or_b32 s16, vcc_lo, s16
	s_and_not1_b32 exec_lo, exec_lo, s16
	s_cbranch_execz .LBB18_10
.LBB18_7:                               ; =>This Loop Header: Depth=1
                                        ;     Child Loop BB18_9 Depth 2
	s_clause 0x1
	global_load_b64 v[8:9], v6, s[4:5] scale_offset
	global_load_b64 v[10:11], v6, s[14:15] scale_offset
	s_mov_b32 s20, exec_lo
	s_wait_loadcnt 0x1
	v_sub_nc_u64_e64 v[8:9], v[8:9], s[2:3]
	s_wait_loadcnt 0x0
	v_add_nc_u64_e32 v[10:11], v[10:11], v[4:5]
	s_wait_xcnt 0x0
	s_delay_alu instid0(VALU_DEP_1)
	v_cmpx_lt_i64_e64 v[10:11], v[8:9]
	s_cbranch_execz .LBB18_6
; %bb.8:                                ;   in Loop: Header=BB18_7 Depth=1
	v_ashrrev_i32_e32 v7, 31, v6
	v_lshlrev_b64_e32 v[14:15], 2, v[10:11]
	s_mov_b32 s21, 0
	s_delay_alu instid0(VALU_DEP_2)
	v_lshl_add_u64 v[12:13], v[6:7], 2, s[10:11]
	global_load_b32 v1, v[12:13], off
	s_wait_xcnt 0x0
	v_add_nc_u64_e32 v[12:13], s[6:7], v[14:15]
	v_add_nc_u64_e32 v[14:15], s[8:9], v[14:15]
	s_wait_loadcnt 0x0
	v_mul_f32_e32 v1, s12, v1
.LBB18_9:                               ;   Parent Loop BB18_7 Depth=1
                                        ; =>  This Inner Loop Header: Depth=2
	global_load_b32 v3, v[12:13], off
	global_load_b32 v7, v[14:15], off
	v_add_nc_u64_e32 v[10:11], 8, v[10:11]
	s_wait_xcnt 0x1
	v_add_nc_u64_e32 v[12:13], 32, v[12:13]
	s_wait_xcnt 0x0
	v_add_nc_u64_e32 v[14:15], 32, v[14:15]
	s_delay_alu instid0(VALU_DEP_3)
	v_cmp_ge_i64_e32 vcc_lo, v[10:11], v[8:9]
	s_or_b32 s21, vcc_lo, s21
	s_wait_loadcnt 0x1
	v_subrev_nc_u32_e32 v3, s2, v3
	s_wait_loadcnt 0x0
	v_mul_f32_e32 v7, v1, v7
	global_atomic_add_f32 v3, v7, s[18:19] scale_offset scope:SCOPE_DEV
	s_wait_xcnt 0x0
	s_and_not1_b32 exec_lo, exec_lo, s21
	s_cbranch_execnz .LBB18_9
	s_branch .LBB18_6
.LBB18_10:
	s_or_b32 exec_lo, exec_lo, s13
	s_mov_b32 s3, 0
.LBB18_11:
	s_delay_alu instid0(SALU_CYCLE_1)
	s_and_not1_b32 vcc_lo, exec_lo, s3
	s_cbranch_vccnz .LBB18_20
; %bb.12:
	s_and_saveexec_b32 s3, s0
	s_cbranch_execz .LBB18_20
; %bb.13:
	v_mov_b32_e32 v1, 0
	s_mov_b32 s3, 0
	s_delay_alu instid0(SALU_CYCLE_1) | instskip(NEXT) | instid1(VALU_DEP_1)
	s_mov_b32 s0, s3
	v_sub_nc_u64_e64 v[0:1], v[0:1], s[2:3]
	s_branch .LBB18_15
.LBB18_14:                              ;   in Loop: Header=BB18_15 Depth=1
	s_or_b32 exec_lo, exec_lo, s13
	v_add_nc_u32_e32 v2, s1, v2
	s_delay_alu instid0(VALU_DEP_1) | instskip(SKIP_1) | instid1(SALU_CYCLE_1)
	v_cmp_le_i32_e32 vcc_lo, s17, v2
	s_or_b32 s0, vcc_lo, s0
	s_and_not1_b32 exec_lo, exec_lo, s0
	s_cbranch_execz .LBB18_20
.LBB18_15:                              ; =>This Loop Header: Depth=1
                                        ;     Child Loop BB18_18 Depth 2
	s_clause 0x1
	global_load_b64 v[4:5], v2, s[4:5] scale_offset
	global_load_b64 v[6:7], v2, s[14:15] scale_offset
	s_mov_b32 s13, exec_lo
	s_wait_loadcnt 0x1
	v_sub_nc_u64_e64 v[4:5], v[4:5], s[2:3]
	s_wait_loadcnt 0x0
	v_add_nc_u64_e32 v[6:7], v[6:7], v[0:1]
	s_wait_xcnt 0x0
	s_delay_alu instid0(VALU_DEP_1)
	v_cmpx_lt_i64_e64 v[6:7], v[4:5]
	s_cbranch_execz .LBB18_14
; %bb.16:                               ;   in Loop: Header=BB18_15 Depth=1
	v_ashrrev_i32_e32 v3, 31, v2
	v_lshlrev_b64_e32 v[10:11], 2, v[6:7]
	s_mov_b32 s16, 0
	s_delay_alu instid0(VALU_DEP_2)
	v_lshl_add_u64 v[8:9], v[2:3], 2, s[10:11]
	global_load_b32 v3, v[8:9], off
	s_wait_xcnt 0x0
	v_add_nc_u64_e32 v[8:9], s[6:7], v[10:11]
	v_add_nc_u64_e32 v[10:11], s[8:9], v[10:11]
	s_wait_loadcnt 0x0
	v_mul_f32_e32 v3, s12, v3
	s_branch .LBB18_18
.LBB18_17:                              ;   in Loop: Header=BB18_18 Depth=2
	s_wait_xcnt 0x0
	s_or_b32 exec_lo, exec_lo, s20
	v_add_nc_u64_e32 v[6:7], 8, v[6:7]
	v_add_nc_u64_e32 v[8:9], 32, v[8:9]
	v_add_nc_u64_e32 v[10:11], 32, v[10:11]
	s_delay_alu instid0(VALU_DEP_3) | instskip(SKIP_1) | instid1(SALU_CYCLE_1)
	v_cmp_ge_i64_e32 vcc_lo, v[6:7], v[4:5]
	s_or_b32 s16, vcc_lo, s16
	s_and_not1_b32 exec_lo, exec_lo, s16
	s_cbranch_execz .LBB18_14
.LBB18_18:                              ;   Parent Loop BB18_15 Depth=1
                                        ; =>  This Inner Loop Header: Depth=2
	global_load_b32 v12, v[8:9], off
	s_mov_b32 s20, exec_lo
	s_wait_loadcnt 0x0
	v_subrev_nc_u32_e32 v12, s2, v12
	s_wait_xcnt 0x0
	s_delay_alu instid0(VALU_DEP_1)
	v_cmpx_ne_u32_e64 v12, v2
	s_cbranch_execz .LBB18_17
; %bb.19:                               ;   in Loop: Header=BB18_18 Depth=2
	global_load_b32 v13, v[10:11], off
	s_wait_loadcnt 0x0
	v_mul_f32_e32 v13, v3, v13
	s_wait_xcnt 0x0
	global_atomic_add_f32 v12, v13, s[18:19] scale_offset scope:SCOPE_DEV
	s_branch .LBB18_17
.LBB18_20:
	s_endpgm
	.section	.rodata,"a",@progbits
	.p2align	6, 0x0
	.amdhsa_kernel _ZN9rocsparseL21csrmvt_general_kernelILj256ELj8EliffffEEvbbT2_NS_24const_host_device_scalarIT6_EEPKT1_S7_PKS1_PKT3_PKT4_PT5_21rocsparse_index_base_b
		.amdhsa_group_segment_fixed_size 0
		.amdhsa_private_segment_fixed_size 0
		.amdhsa_kernarg_size 328
		.amdhsa_user_sgpr_count 2
		.amdhsa_user_sgpr_dispatch_ptr 0
		.amdhsa_user_sgpr_queue_ptr 0
		.amdhsa_user_sgpr_kernarg_segment_ptr 1
		.amdhsa_user_sgpr_dispatch_id 0
		.amdhsa_user_sgpr_kernarg_preload_length 0
		.amdhsa_user_sgpr_kernarg_preload_offset 0
		.amdhsa_user_sgpr_private_segment_size 0
		.amdhsa_wavefront_size32 1
		.amdhsa_uses_dynamic_stack 0
		.amdhsa_enable_private_segment 0
		.amdhsa_system_sgpr_workgroup_id_x 1
		.amdhsa_system_sgpr_workgroup_id_y 0
		.amdhsa_system_sgpr_workgroup_id_z 0
		.amdhsa_system_sgpr_workgroup_info 0
		.amdhsa_system_vgpr_workitem_id 0
		.amdhsa_next_free_vgpr 16
		.amdhsa_next_free_sgpr 22
		.amdhsa_named_barrier_count 0
		.amdhsa_reserve_vcc 1
		.amdhsa_float_round_mode_32 0
		.amdhsa_float_round_mode_16_64 0
		.amdhsa_float_denorm_mode_32 3
		.amdhsa_float_denorm_mode_16_64 3
		.amdhsa_fp16_overflow 0
		.amdhsa_memory_ordered 1
		.amdhsa_forward_progress 1
		.amdhsa_inst_pref_size 7
		.amdhsa_round_robin_scheduling 0
		.amdhsa_exception_fp_ieee_invalid_op 0
		.amdhsa_exception_fp_denorm_src 0
		.amdhsa_exception_fp_ieee_div_zero 0
		.amdhsa_exception_fp_ieee_overflow 0
		.amdhsa_exception_fp_ieee_underflow 0
		.amdhsa_exception_fp_ieee_inexact 0
		.amdhsa_exception_int_div_zero 0
	.end_amdhsa_kernel
	.section	.text._ZN9rocsparseL21csrmvt_general_kernelILj256ELj8EliffffEEvbbT2_NS_24const_host_device_scalarIT6_EEPKT1_S7_PKS1_PKT3_PKT4_PT5_21rocsparse_index_base_b,"axG",@progbits,_ZN9rocsparseL21csrmvt_general_kernelILj256ELj8EliffffEEvbbT2_NS_24const_host_device_scalarIT6_EEPKT1_S7_PKS1_PKT3_PKT4_PT5_21rocsparse_index_base_b,comdat
.Lfunc_end18:
	.size	_ZN9rocsparseL21csrmvt_general_kernelILj256ELj8EliffffEEvbbT2_NS_24const_host_device_scalarIT6_EEPKT1_S7_PKS1_PKT3_PKT4_PT5_21rocsparse_index_base_b, .Lfunc_end18-_ZN9rocsparseL21csrmvt_general_kernelILj256ELj8EliffffEEvbbT2_NS_24const_host_device_scalarIT6_EEPKT1_S7_PKS1_PKT3_PKT4_PT5_21rocsparse_index_base_b
                                        ; -- End function
	.set _ZN9rocsparseL21csrmvt_general_kernelILj256ELj8EliffffEEvbbT2_NS_24const_host_device_scalarIT6_EEPKT1_S7_PKS1_PKT3_PKT4_PT5_21rocsparse_index_base_b.num_vgpr, 16
	.set _ZN9rocsparseL21csrmvt_general_kernelILj256ELj8EliffffEEvbbT2_NS_24const_host_device_scalarIT6_EEPKT1_S7_PKS1_PKT3_PKT4_PT5_21rocsparse_index_base_b.num_agpr, 0
	.set _ZN9rocsparseL21csrmvt_general_kernelILj256ELj8EliffffEEvbbT2_NS_24const_host_device_scalarIT6_EEPKT1_S7_PKS1_PKT3_PKT4_PT5_21rocsparse_index_base_b.numbered_sgpr, 22
	.set _ZN9rocsparseL21csrmvt_general_kernelILj256ELj8EliffffEEvbbT2_NS_24const_host_device_scalarIT6_EEPKT1_S7_PKS1_PKT3_PKT4_PT5_21rocsparse_index_base_b.num_named_barrier, 0
	.set _ZN9rocsparseL21csrmvt_general_kernelILj256ELj8EliffffEEvbbT2_NS_24const_host_device_scalarIT6_EEPKT1_S7_PKS1_PKT3_PKT4_PT5_21rocsparse_index_base_b.private_seg_size, 0
	.set _ZN9rocsparseL21csrmvt_general_kernelILj256ELj8EliffffEEvbbT2_NS_24const_host_device_scalarIT6_EEPKT1_S7_PKS1_PKT3_PKT4_PT5_21rocsparse_index_base_b.uses_vcc, 1
	.set _ZN9rocsparseL21csrmvt_general_kernelILj256ELj8EliffffEEvbbT2_NS_24const_host_device_scalarIT6_EEPKT1_S7_PKS1_PKT3_PKT4_PT5_21rocsparse_index_base_b.uses_flat_scratch, 0
	.set _ZN9rocsparseL21csrmvt_general_kernelILj256ELj8EliffffEEvbbT2_NS_24const_host_device_scalarIT6_EEPKT1_S7_PKS1_PKT3_PKT4_PT5_21rocsparse_index_base_b.has_dyn_sized_stack, 0
	.set _ZN9rocsparseL21csrmvt_general_kernelILj256ELj8EliffffEEvbbT2_NS_24const_host_device_scalarIT6_EEPKT1_S7_PKS1_PKT3_PKT4_PT5_21rocsparse_index_base_b.has_recursion, 0
	.set _ZN9rocsparseL21csrmvt_general_kernelILj256ELj8EliffffEEvbbT2_NS_24const_host_device_scalarIT6_EEPKT1_S7_PKS1_PKT3_PKT4_PT5_21rocsparse_index_base_b.has_indirect_call, 0
	.section	.AMDGPU.csdata,"",@progbits
; Kernel info:
; codeLenInByte = 840
; TotalNumSgprs: 24
; NumVgprs: 16
; ScratchSize: 0
; MemoryBound: 0
; FloatMode: 240
; IeeeMode: 1
; LDSByteSize: 0 bytes/workgroup (compile time only)
; SGPRBlocks: 0
; VGPRBlocks: 0
; NumSGPRsForWavesPerEU: 24
; NumVGPRsForWavesPerEU: 16
; NamedBarCnt: 0
; Occupancy: 16
; WaveLimiterHint : 1
; COMPUTE_PGM_RSRC2:SCRATCH_EN: 0
; COMPUTE_PGM_RSRC2:USER_SGPR: 2
; COMPUTE_PGM_RSRC2:TRAP_HANDLER: 0
; COMPUTE_PGM_RSRC2:TGID_X_EN: 1
; COMPUTE_PGM_RSRC2:TGID_Y_EN: 0
; COMPUTE_PGM_RSRC2:TGID_Z_EN: 0
; COMPUTE_PGM_RSRC2:TIDIG_COMP_CNT: 0
	.section	.text._ZN9rocsparseL21csrmvt_general_kernelILj256ELj16EliffffEEvbbT2_NS_24const_host_device_scalarIT6_EEPKT1_S7_PKS1_PKT3_PKT4_PT5_21rocsparse_index_base_b,"axG",@progbits,_ZN9rocsparseL21csrmvt_general_kernelILj256ELj16EliffffEEvbbT2_NS_24const_host_device_scalarIT6_EEPKT1_S7_PKS1_PKT3_PKT4_PT5_21rocsparse_index_base_b,comdat
	.globl	_ZN9rocsparseL21csrmvt_general_kernelILj256ELj16EliffffEEvbbT2_NS_24const_host_device_scalarIT6_EEPKT1_S7_PKS1_PKT3_PKT4_PT5_21rocsparse_index_base_b ; -- Begin function _ZN9rocsparseL21csrmvt_general_kernelILj256ELj16EliffffEEvbbT2_NS_24const_host_device_scalarIT6_EEPKT1_S7_PKS1_PKT3_PKT4_PT5_21rocsparse_index_base_b
	.p2align	8
	.type	_ZN9rocsparseL21csrmvt_general_kernelILj256ELj16EliffffEEvbbT2_NS_24const_host_device_scalarIT6_EEPKT1_S7_PKS1_PKT3_PKT4_PT5_21rocsparse_index_base_b,@function
_ZN9rocsparseL21csrmvt_general_kernelILj256ELj16EliffffEEvbbT2_NS_24const_host_device_scalarIT6_EEPKT1_S7_PKS1_PKT3_PKT4_PT5_21rocsparse_index_base_b: ; @_ZN9rocsparseL21csrmvt_general_kernelILj256ELj16EliffffEEvbbT2_NS_24const_host_device_scalarIT6_EEPKT1_S7_PKS1_PKT3_PKT4_PT5_21rocsparse_index_base_b
; %bb.0:
	s_clause 0x1
	s_load_b64 s[2:3], s[0:1], 0x40
	s_load_b128 s[12:15], s[0:1], 0x8
	s_wait_kmcnt 0x0
	s_bitcmp1_b32 s3, 0
	s_cselect_b32 s3, -1, 0
	s_delay_alu instid0(SALU_CYCLE_1)
	s_and_b32 vcc_lo, exec_lo, s3
	s_cbranch_vccnz .LBB19_2
; %bb.1:
	s_load_b32 s12, s[12:13], 0x0
.LBB19_2:
	s_wait_kmcnt 0x0
	s_cmp_eq_f32 s12, 0
	s_cbranch_scc1 .LBB19_20
; %bb.3:
	s_clause 0x3
	s_load_b64 s[16:17], s[0:1], 0x0
	s_load_b32 s3, s[0:1], 0x48
	s_load_b64 s[18:19], s[0:1], 0x38
	s_load_b256 s[4:11], s[0:1], 0x18
	s_wait_xcnt 0x0
	s_bfe_u32 s0, ttmp6, 0x4000c
	s_and_b32 s13, ttmp6, 15
	s_add_co_i32 s0, s0, 1
	s_getreg_b32 s20, hwreg(HW_REG_IB_STS2, 6, 4)
	s_mul_i32 s0, ttmp9, s0
	s_delay_alu instid0(SALU_CYCLE_1)
	s_add_co_i32 s13, s13, s0
	s_wait_kmcnt 0x0
	s_and_b32 s16, s16, 1
	s_lshl_b32 s1, s3, 4
	s_cmp_eq_u32 s20, 0
	s_mov_b32 s3, -1
	s_cselect_b32 s0, ttmp9, s13
	s_cmp_eq_u32 s16, 0
	v_lshl_or_b32 v1, s0, 8, v0
	s_delay_alu instid0(VALU_DEP_1) | instskip(NEXT) | instid1(VALU_DEP_1)
	v_dual_lshrrev_b32 v2, 4, v1 :: v_dual_bitop2_b32 v0, 15, v0 bitop3:0x40
	v_cmp_gt_i32_e64 s0, s17, v2
	s_cbranch_scc0 .LBB19_11
; %bb.4:
	s_and_saveexec_b32 s13, s0
	s_cbranch_execz .LBB19_10
; %bb.5:
	v_dual_mov_b32 v1, 0 :: v_dual_mov_b32 v6, v2
	s_mov_b32 s3, 0
	s_delay_alu instid0(SALU_CYCLE_1) | instskip(NEXT) | instid1(VALU_DEP_1)
	s_mov_b32 s16, s3
	v_sub_nc_u64_e64 v[4:5], v[0:1], s[2:3]
	s_branch .LBB19_7
.LBB19_6:                               ;   in Loop: Header=BB19_7 Depth=1
	s_or_b32 exec_lo, exec_lo, s20
	v_add_nc_u32_e32 v6, s1, v6
	s_delay_alu instid0(VALU_DEP_1) | instskip(SKIP_1) | instid1(SALU_CYCLE_1)
	v_cmp_le_i32_e32 vcc_lo, s17, v6
	s_or_b32 s16, vcc_lo, s16
	s_and_not1_b32 exec_lo, exec_lo, s16
	s_cbranch_execz .LBB19_10
.LBB19_7:                               ; =>This Loop Header: Depth=1
                                        ;     Child Loop BB19_9 Depth 2
	s_clause 0x1
	global_load_b64 v[8:9], v6, s[4:5] scale_offset
	global_load_b64 v[10:11], v6, s[14:15] scale_offset
	s_mov_b32 s20, exec_lo
	s_wait_loadcnt 0x1
	v_sub_nc_u64_e64 v[8:9], v[8:9], s[2:3]
	s_wait_loadcnt 0x0
	v_add_nc_u64_e32 v[10:11], v[10:11], v[4:5]
	s_wait_xcnt 0x0
	s_delay_alu instid0(VALU_DEP_1)
	v_cmpx_lt_i64_e64 v[10:11], v[8:9]
	s_cbranch_execz .LBB19_6
; %bb.8:                                ;   in Loop: Header=BB19_7 Depth=1
	v_ashrrev_i32_e32 v7, 31, v6
	v_lshlrev_b64_e32 v[14:15], 2, v[10:11]
	s_mov_b32 s21, 0
	s_delay_alu instid0(VALU_DEP_2)
	v_lshl_add_u64 v[12:13], v[6:7], 2, s[10:11]
	global_load_b32 v1, v[12:13], off
	s_wait_xcnt 0x0
	v_add_nc_u64_e32 v[12:13], s[6:7], v[14:15]
	v_add_nc_u64_e32 v[14:15], s[8:9], v[14:15]
	s_wait_loadcnt 0x0
	v_mul_f32_e32 v1, s12, v1
.LBB19_9:                               ;   Parent Loop BB19_7 Depth=1
                                        ; =>  This Inner Loop Header: Depth=2
	global_load_b32 v3, v[12:13], off
	global_load_b32 v7, v[14:15], off
	v_add_nc_u64_e32 v[10:11], 16, v[10:11]
	s_wait_xcnt 0x1
	v_add_nc_u64_e32 v[12:13], 64, v[12:13]
	s_wait_xcnt 0x0
	v_add_nc_u64_e32 v[14:15], 64, v[14:15]
	s_delay_alu instid0(VALU_DEP_3)
	v_cmp_ge_i64_e32 vcc_lo, v[10:11], v[8:9]
	s_or_b32 s21, vcc_lo, s21
	s_wait_loadcnt 0x1
	v_subrev_nc_u32_e32 v3, s2, v3
	s_wait_loadcnt 0x0
	v_mul_f32_e32 v7, v1, v7
	global_atomic_add_f32 v3, v7, s[18:19] scale_offset scope:SCOPE_DEV
	s_wait_xcnt 0x0
	s_and_not1_b32 exec_lo, exec_lo, s21
	s_cbranch_execnz .LBB19_9
	s_branch .LBB19_6
.LBB19_10:
	s_or_b32 exec_lo, exec_lo, s13
	s_mov_b32 s3, 0
.LBB19_11:
	s_delay_alu instid0(SALU_CYCLE_1)
	s_and_not1_b32 vcc_lo, exec_lo, s3
	s_cbranch_vccnz .LBB19_20
; %bb.12:
	s_and_saveexec_b32 s3, s0
	s_cbranch_execz .LBB19_20
; %bb.13:
	v_mov_b32_e32 v1, 0
	s_mov_b32 s3, 0
	s_delay_alu instid0(SALU_CYCLE_1) | instskip(NEXT) | instid1(VALU_DEP_1)
	s_mov_b32 s0, s3
	v_sub_nc_u64_e64 v[0:1], v[0:1], s[2:3]
	s_branch .LBB19_15
.LBB19_14:                              ;   in Loop: Header=BB19_15 Depth=1
	s_or_b32 exec_lo, exec_lo, s13
	v_add_nc_u32_e32 v2, s1, v2
	s_delay_alu instid0(VALU_DEP_1) | instskip(SKIP_1) | instid1(SALU_CYCLE_1)
	v_cmp_le_i32_e32 vcc_lo, s17, v2
	s_or_b32 s0, vcc_lo, s0
	s_and_not1_b32 exec_lo, exec_lo, s0
	s_cbranch_execz .LBB19_20
.LBB19_15:                              ; =>This Loop Header: Depth=1
                                        ;     Child Loop BB19_18 Depth 2
	s_clause 0x1
	global_load_b64 v[4:5], v2, s[4:5] scale_offset
	global_load_b64 v[6:7], v2, s[14:15] scale_offset
	s_mov_b32 s13, exec_lo
	s_wait_loadcnt 0x1
	v_sub_nc_u64_e64 v[4:5], v[4:5], s[2:3]
	s_wait_loadcnt 0x0
	v_add_nc_u64_e32 v[6:7], v[6:7], v[0:1]
	s_wait_xcnt 0x0
	s_delay_alu instid0(VALU_DEP_1)
	v_cmpx_lt_i64_e64 v[6:7], v[4:5]
	s_cbranch_execz .LBB19_14
; %bb.16:                               ;   in Loop: Header=BB19_15 Depth=1
	v_ashrrev_i32_e32 v3, 31, v2
	v_lshlrev_b64_e32 v[10:11], 2, v[6:7]
	s_mov_b32 s16, 0
	s_delay_alu instid0(VALU_DEP_2)
	v_lshl_add_u64 v[8:9], v[2:3], 2, s[10:11]
	global_load_b32 v3, v[8:9], off
	s_wait_xcnt 0x0
	v_add_nc_u64_e32 v[8:9], s[6:7], v[10:11]
	v_add_nc_u64_e32 v[10:11], s[8:9], v[10:11]
	s_wait_loadcnt 0x0
	v_mul_f32_e32 v3, s12, v3
	s_branch .LBB19_18
.LBB19_17:                              ;   in Loop: Header=BB19_18 Depth=2
	s_wait_xcnt 0x0
	s_or_b32 exec_lo, exec_lo, s20
	v_add_nc_u64_e32 v[6:7], 16, v[6:7]
	v_add_nc_u64_e32 v[8:9], 64, v[8:9]
	;; [unrolled: 1-line block ×3, first 2 shown]
	s_delay_alu instid0(VALU_DEP_3) | instskip(SKIP_1) | instid1(SALU_CYCLE_1)
	v_cmp_ge_i64_e32 vcc_lo, v[6:7], v[4:5]
	s_or_b32 s16, vcc_lo, s16
	s_and_not1_b32 exec_lo, exec_lo, s16
	s_cbranch_execz .LBB19_14
.LBB19_18:                              ;   Parent Loop BB19_15 Depth=1
                                        ; =>  This Inner Loop Header: Depth=2
	global_load_b32 v12, v[8:9], off
	s_mov_b32 s20, exec_lo
	s_wait_loadcnt 0x0
	v_subrev_nc_u32_e32 v12, s2, v12
	s_wait_xcnt 0x0
	s_delay_alu instid0(VALU_DEP_1)
	v_cmpx_ne_u32_e64 v12, v2
	s_cbranch_execz .LBB19_17
; %bb.19:                               ;   in Loop: Header=BB19_18 Depth=2
	global_load_b32 v13, v[10:11], off
	s_wait_loadcnt 0x0
	v_mul_f32_e32 v13, v3, v13
	s_wait_xcnt 0x0
	global_atomic_add_f32 v12, v13, s[18:19] scale_offset scope:SCOPE_DEV
	s_branch .LBB19_17
.LBB19_20:
	s_endpgm
	.section	.rodata,"a",@progbits
	.p2align	6, 0x0
	.amdhsa_kernel _ZN9rocsparseL21csrmvt_general_kernelILj256ELj16EliffffEEvbbT2_NS_24const_host_device_scalarIT6_EEPKT1_S7_PKS1_PKT3_PKT4_PT5_21rocsparse_index_base_b
		.amdhsa_group_segment_fixed_size 0
		.amdhsa_private_segment_fixed_size 0
		.amdhsa_kernarg_size 328
		.amdhsa_user_sgpr_count 2
		.amdhsa_user_sgpr_dispatch_ptr 0
		.amdhsa_user_sgpr_queue_ptr 0
		.amdhsa_user_sgpr_kernarg_segment_ptr 1
		.amdhsa_user_sgpr_dispatch_id 0
		.amdhsa_user_sgpr_kernarg_preload_length 0
		.amdhsa_user_sgpr_kernarg_preload_offset 0
		.amdhsa_user_sgpr_private_segment_size 0
		.amdhsa_wavefront_size32 1
		.amdhsa_uses_dynamic_stack 0
		.amdhsa_enable_private_segment 0
		.amdhsa_system_sgpr_workgroup_id_x 1
		.amdhsa_system_sgpr_workgroup_id_y 0
		.amdhsa_system_sgpr_workgroup_id_z 0
		.amdhsa_system_sgpr_workgroup_info 0
		.amdhsa_system_vgpr_workitem_id 0
		.amdhsa_next_free_vgpr 16
		.amdhsa_next_free_sgpr 22
		.amdhsa_named_barrier_count 0
		.amdhsa_reserve_vcc 1
		.amdhsa_float_round_mode_32 0
		.amdhsa_float_round_mode_16_64 0
		.amdhsa_float_denorm_mode_32 3
		.amdhsa_float_denorm_mode_16_64 3
		.amdhsa_fp16_overflow 0
		.amdhsa_memory_ordered 1
		.amdhsa_forward_progress 1
		.amdhsa_inst_pref_size 7
		.amdhsa_round_robin_scheduling 0
		.amdhsa_exception_fp_ieee_invalid_op 0
		.amdhsa_exception_fp_denorm_src 0
		.amdhsa_exception_fp_ieee_div_zero 0
		.amdhsa_exception_fp_ieee_overflow 0
		.amdhsa_exception_fp_ieee_underflow 0
		.amdhsa_exception_fp_ieee_inexact 0
		.amdhsa_exception_int_div_zero 0
	.end_amdhsa_kernel
	.section	.text._ZN9rocsparseL21csrmvt_general_kernelILj256ELj16EliffffEEvbbT2_NS_24const_host_device_scalarIT6_EEPKT1_S7_PKS1_PKT3_PKT4_PT5_21rocsparse_index_base_b,"axG",@progbits,_ZN9rocsparseL21csrmvt_general_kernelILj256ELj16EliffffEEvbbT2_NS_24const_host_device_scalarIT6_EEPKT1_S7_PKS1_PKT3_PKT4_PT5_21rocsparse_index_base_b,comdat
.Lfunc_end19:
	.size	_ZN9rocsparseL21csrmvt_general_kernelILj256ELj16EliffffEEvbbT2_NS_24const_host_device_scalarIT6_EEPKT1_S7_PKS1_PKT3_PKT4_PT5_21rocsparse_index_base_b, .Lfunc_end19-_ZN9rocsparseL21csrmvt_general_kernelILj256ELj16EliffffEEvbbT2_NS_24const_host_device_scalarIT6_EEPKT1_S7_PKS1_PKT3_PKT4_PT5_21rocsparse_index_base_b
                                        ; -- End function
	.set _ZN9rocsparseL21csrmvt_general_kernelILj256ELj16EliffffEEvbbT2_NS_24const_host_device_scalarIT6_EEPKT1_S7_PKS1_PKT3_PKT4_PT5_21rocsparse_index_base_b.num_vgpr, 16
	.set _ZN9rocsparseL21csrmvt_general_kernelILj256ELj16EliffffEEvbbT2_NS_24const_host_device_scalarIT6_EEPKT1_S7_PKS1_PKT3_PKT4_PT5_21rocsparse_index_base_b.num_agpr, 0
	.set _ZN9rocsparseL21csrmvt_general_kernelILj256ELj16EliffffEEvbbT2_NS_24const_host_device_scalarIT6_EEPKT1_S7_PKS1_PKT3_PKT4_PT5_21rocsparse_index_base_b.numbered_sgpr, 22
	.set _ZN9rocsparseL21csrmvt_general_kernelILj256ELj16EliffffEEvbbT2_NS_24const_host_device_scalarIT6_EEPKT1_S7_PKS1_PKT3_PKT4_PT5_21rocsparse_index_base_b.num_named_barrier, 0
	.set _ZN9rocsparseL21csrmvt_general_kernelILj256ELj16EliffffEEvbbT2_NS_24const_host_device_scalarIT6_EEPKT1_S7_PKS1_PKT3_PKT4_PT5_21rocsparse_index_base_b.private_seg_size, 0
	.set _ZN9rocsparseL21csrmvt_general_kernelILj256ELj16EliffffEEvbbT2_NS_24const_host_device_scalarIT6_EEPKT1_S7_PKS1_PKT3_PKT4_PT5_21rocsparse_index_base_b.uses_vcc, 1
	.set _ZN9rocsparseL21csrmvt_general_kernelILj256ELj16EliffffEEvbbT2_NS_24const_host_device_scalarIT6_EEPKT1_S7_PKS1_PKT3_PKT4_PT5_21rocsparse_index_base_b.uses_flat_scratch, 0
	.set _ZN9rocsparseL21csrmvt_general_kernelILj256ELj16EliffffEEvbbT2_NS_24const_host_device_scalarIT6_EEPKT1_S7_PKS1_PKT3_PKT4_PT5_21rocsparse_index_base_b.has_dyn_sized_stack, 0
	.set _ZN9rocsparseL21csrmvt_general_kernelILj256ELj16EliffffEEvbbT2_NS_24const_host_device_scalarIT6_EEPKT1_S7_PKS1_PKT3_PKT4_PT5_21rocsparse_index_base_b.has_recursion, 0
	.set _ZN9rocsparseL21csrmvt_general_kernelILj256ELj16EliffffEEvbbT2_NS_24const_host_device_scalarIT6_EEPKT1_S7_PKS1_PKT3_PKT4_PT5_21rocsparse_index_base_b.has_indirect_call, 0
	.section	.AMDGPU.csdata,"",@progbits
; Kernel info:
; codeLenInByte = 840
; TotalNumSgprs: 24
; NumVgprs: 16
; ScratchSize: 0
; MemoryBound: 0
; FloatMode: 240
; IeeeMode: 1
; LDSByteSize: 0 bytes/workgroup (compile time only)
; SGPRBlocks: 0
; VGPRBlocks: 0
; NumSGPRsForWavesPerEU: 24
; NumVGPRsForWavesPerEU: 16
; NamedBarCnt: 0
; Occupancy: 16
; WaveLimiterHint : 1
; COMPUTE_PGM_RSRC2:SCRATCH_EN: 0
; COMPUTE_PGM_RSRC2:USER_SGPR: 2
; COMPUTE_PGM_RSRC2:TRAP_HANDLER: 0
; COMPUTE_PGM_RSRC2:TGID_X_EN: 1
; COMPUTE_PGM_RSRC2:TGID_Y_EN: 0
; COMPUTE_PGM_RSRC2:TGID_Z_EN: 0
; COMPUTE_PGM_RSRC2:TIDIG_COMP_CNT: 0
	.section	.text._ZN9rocsparseL21csrmvt_general_kernelILj256ELj32EliffffEEvbbT2_NS_24const_host_device_scalarIT6_EEPKT1_S7_PKS1_PKT3_PKT4_PT5_21rocsparse_index_base_b,"axG",@progbits,_ZN9rocsparseL21csrmvt_general_kernelILj256ELj32EliffffEEvbbT2_NS_24const_host_device_scalarIT6_EEPKT1_S7_PKS1_PKT3_PKT4_PT5_21rocsparse_index_base_b,comdat
	.globl	_ZN9rocsparseL21csrmvt_general_kernelILj256ELj32EliffffEEvbbT2_NS_24const_host_device_scalarIT6_EEPKT1_S7_PKS1_PKT3_PKT4_PT5_21rocsparse_index_base_b ; -- Begin function _ZN9rocsparseL21csrmvt_general_kernelILj256ELj32EliffffEEvbbT2_NS_24const_host_device_scalarIT6_EEPKT1_S7_PKS1_PKT3_PKT4_PT5_21rocsparse_index_base_b
	.p2align	8
	.type	_ZN9rocsparseL21csrmvt_general_kernelILj256ELj32EliffffEEvbbT2_NS_24const_host_device_scalarIT6_EEPKT1_S7_PKS1_PKT3_PKT4_PT5_21rocsparse_index_base_b,@function
_ZN9rocsparseL21csrmvt_general_kernelILj256ELj32EliffffEEvbbT2_NS_24const_host_device_scalarIT6_EEPKT1_S7_PKS1_PKT3_PKT4_PT5_21rocsparse_index_base_b: ; @_ZN9rocsparseL21csrmvt_general_kernelILj256ELj32EliffffEEvbbT2_NS_24const_host_device_scalarIT6_EEPKT1_S7_PKS1_PKT3_PKT4_PT5_21rocsparse_index_base_b
; %bb.0:
	s_clause 0x1
	s_load_b64 s[2:3], s[0:1], 0x40
	s_load_b128 s[12:15], s[0:1], 0x8
	s_wait_kmcnt 0x0
	s_bitcmp1_b32 s3, 0
	s_cselect_b32 s3, -1, 0
	s_delay_alu instid0(SALU_CYCLE_1)
	s_and_b32 vcc_lo, exec_lo, s3
	s_cbranch_vccnz .LBB20_2
; %bb.1:
	s_load_b32 s12, s[12:13], 0x0
.LBB20_2:
	s_wait_kmcnt 0x0
	s_cmp_eq_f32 s12, 0
	s_cbranch_scc1 .LBB20_20
; %bb.3:
	s_clause 0x3
	s_load_b64 s[16:17], s[0:1], 0x0
	s_load_b32 s3, s[0:1], 0x48
	s_load_b64 s[18:19], s[0:1], 0x38
	s_load_b256 s[4:11], s[0:1], 0x18
	s_wait_xcnt 0x0
	s_bfe_u32 s0, ttmp6, 0x4000c
	s_and_b32 s13, ttmp6, 15
	s_add_co_i32 s0, s0, 1
	s_getreg_b32 s20, hwreg(HW_REG_IB_STS2, 6, 4)
	s_mul_i32 s0, ttmp9, s0
	s_delay_alu instid0(SALU_CYCLE_1)
	s_add_co_i32 s13, s13, s0
	s_wait_kmcnt 0x0
	s_and_b32 s16, s16, 1
	s_lshl_b32 s1, s3, 3
	s_cmp_eq_u32 s20, 0
	s_mov_b32 s3, -1
	s_cselect_b32 s0, ttmp9, s13
	s_cmp_eq_u32 s16, 0
	v_lshl_or_b32 v1, s0, 8, v0
	s_delay_alu instid0(VALU_DEP_1) | instskip(NEXT) | instid1(VALU_DEP_1)
	v_dual_lshrrev_b32 v2, 5, v1 :: v_dual_bitop2_b32 v0, 31, v0 bitop3:0x40
	v_cmp_gt_i32_e64 s0, s17, v2
	s_cbranch_scc0 .LBB20_11
; %bb.4:
	s_and_saveexec_b32 s13, s0
	s_cbranch_execz .LBB20_10
; %bb.5:
	v_dual_mov_b32 v1, 0 :: v_dual_mov_b32 v6, v2
	s_mov_b32 s3, 0
	s_delay_alu instid0(SALU_CYCLE_1) | instskip(NEXT) | instid1(VALU_DEP_1)
	s_mov_b32 s16, s3
	v_sub_nc_u64_e64 v[4:5], v[0:1], s[2:3]
	s_branch .LBB20_7
.LBB20_6:                               ;   in Loop: Header=BB20_7 Depth=1
	s_or_b32 exec_lo, exec_lo, s20
	v_add_nc_u32_e32 v6, s1, v6
	s_delay_alu instid0(VALU_DEP_1) | instskip(SKIP_1) | instid1(SALU_CYCLE_1)
	v_cmp_le_i32_e32 vcc_lo, s17, v6
	s_or_b32 s16, vcc_lo, s16
	s_and_not1_b32 exec_lo, exec_lo, s16
	s_cbranch_execz .LBB20_10
.LBB20_7:                               ; =>This Loop Header: Depth=1
                                        ;     Child Loop BB20_9 Depth 2
	s_clause 0x1
	global_load_b64 v[8:9], v6, s[4:5] scale_offset
	global_load_b64 v[10:11], v6, s[14:15] scale_offset
	s_mov_b32 s20, exec_lo
	s_wait_loadcnt 0x1
	v_sub_nc_u64_e64 v[8:9], v[8:9], s[2:3]
	s_wait_loadcnt 0x0
	v_add_nc_u64_e32 v[10:11], v[10:11], v[4:5]
	s_wait_xcnt 0x0
	s_delay_alu instid0(VALU_DEP_1)
	v_cmpx_lt_i64_e64 v[10:11], v[8:9]
	s_cbranch_execz .LBB20_6
; %bb.8:                                ;   in Loop: Header=BB20_7 Depth=1
	v_ashrrev_i32_e32 v7, 31, v6
	v_lshlrev_b64_e32 v[14:15], 2, v[10:11]
	s_mov_b32 s21, 0
	s_delay_alu instid0(VALU_DEP_2)
	v_lshl_add_u64 v[12:13], v[6:7], 2, s[10:11]
	global_load_b32 v1, v[12:13], off
	s_wait_xcnt 0x0
	v_add_nc_u64_e32 v[12:13], s[6:7], v[14:15]
	v_add_nc_u64_e32 v[14:15], s[8:9], v[14:15]
	s_wait_loadcnt 0x0
	v_mul_f32_e32 v1, s12, v1
.LBB20_9:                               ;   Parent Loop BB20_7 Depth=1
                                        ; =>  This Inner Loop Header: Depth=2
	global_load_b32 v3, v[12:13], off
	global_load_b32 v7, v[14:15], off
	v_add_nc_u64_e32 v[10:11], 32, v[10:11]
	s_wait_xcnt 0x1
	v_add_nc_u64_e32 v[12:13], 0x80, v[12:13]
	s_wait_xcnt 0x0
	v_add_nc_u64_e32 v[14:15], 0x80, v[14:15]
	s_delay_alu instid0(VALU_DEP_3)
	v_cmp_ge_i64_e32 vcc_lo, v[10:11], v[8:9]
	s_or_b32 s21, vcc_lo, s21
	s_wait_loadcnt 0x1
	v_subrev_nc_u32_e32 v3, s2, v3
	s_wait_loadcnt 0x0
	v_mul_f32_e32 v7, v1, v7
	global_atomic_add_f32 v3, v7, s[18:19] scale_offset scope:SCOPE_DEV
	s_wait_xcnt 0x0
	s_and_not1_b32 exec_lo, exec_lo, s21
	s_cbranch_execnz .LBB20_9
	s_branch .LBB20_6
.LBB20_10:
	s_or_b32 exec_lo, exec_lo, s13
	s_mov_b32 s3, 0
.LBB20_11:
	s_delay_alu instid0(SALU_CYCLE_1)
	s_and_not1_b32 vcc_lo, exec_lo, s3
	s_cbranch_vccnz .LBB20_20
; %bb.12:
	s_and_saveexec_b32 s3, s0
	s_cbranch_execz .LBB20_20
; %bb.13:
	v_mov_b32_e32 v1, 0
	s_mov_b32 s3, 0
	s_delay_alu instid0(SALU_CYCLE_1) | instskip(NEXT) | instid1(VALU_DEP_1)
	s_mov_b32 s0, s3
	v_sub_nc_u64_e64 v[0:1], v[0:1], s[2:3]
	s_branch .LBB20_15
.LBB20_14:                              ;   in Loop: Header=BB20_15 Depth=1
	s_or_b32 exec_lo, exec_lo, s13
	v_add_nc_u32_e32 v2, s1, v2
	s_delay_alu instid0(VALU_DEP_1) | instskip(SKIP_1) | instid1(SALU_CYCLE_1)
	v_cmp_le_i32_e32 vcc_lo, s17, v2
	s_or_b32 s0, vcc_lo, s0
	s_and_not1_b32 exec_lo, exec_lo, s0
	s_cbranch_execz .LBB20_20
.LBB20_15:                              ; =>This Loop Header: Depth=1
                                        ;     Child Loop BB20_18 Depth 2
	s_clause 0x1
	global_load_b64 v[4:5], v2, s[4:5] scale_offset
	global_load_b64 v[6:7], v2, s[14:15] scale_offset
	s_mov_b32 s13, exec_lo
	s_wait_loadcnt 0x1
	v_sub_nc_u64_e64 v[4:5], v[4:5], s[2:3]
	s_wait_loadcnt 0x0
	v_add_nc_u64_e32 v[6:7], v[6:7], v[0:1]
	s_wait_xcnt 0x0
	s_delay_alu instid0(VALU_DEP_1)
	v_cmpx_lt_i64_e64 v[6:7], v[4:5]
	s_cbranch_execz .LBB20_14
; %bb.16:                               ;   in Loop: Header=BB20_15 Depth=1
	v_ashrrev_i32_e32 v3, 31, v2
	v_lshlrev_b64_e32 v[10:11], 2, v[6:7]
	s_mov_b32 s16, 0
	s_delay_alu instid0(VALU_DEP_2)
	v_lshl_add_u64 v[8:9], v[2:3], 2, s[10:11]
	global_load_b32 v3, v[8:9], off
	s_wait_xcnt 0x0
	v_add_nc_u64_e32 v[8:9], s[6:7], v[10:11]
	v_add_nc_u64_e32 v[10:11], s[8:9], v[10:11]
	s_wait_loadcnt 0x0
	v_mul_f32_e32 v3, s12, v3
	s_branch .LBB20_18
.LBB20_17:                              ;   in Loop: Header=BB20_18 Depth=2
	s_wait_xcnt 0x0
	s_or_b32 exec_lo, exec_lo, s20
	v_add_nc_u64_e32 v[6:7], 32, v[6:7]
	v_add_nc_u64_e32 v[8:9], 0x80, v[8:9]
	;; [unrolled: 1-line block ×3, first 2 shown]
	s_delay_alu instid0(VALU_DEP_3) | instskip(SKIP_1) | instid1(SALU_CYCLE_1)
	v_cmp_ge_i64_e32 vcc_lo, v[6:7], v[4:5]
	s_or_b32 s16, vcc_lo, s16
	s_and_not1_b32 exec_lo, exec_lo, s16
	s_cbranch_execz .LBB20_14
.LBB20_18:                              ;   Parent Loop BB20_15 Depth=1
                                        ; =>  This Inner Loop Header: Depth=2
	global_load_b32 v12, v[8:9], off
	s_mov_b32 s20, exec_lo
	s_wait_loadcnt 0x0
	v_subrev_nc_u32_e32 v12, s2, v12
	s_wait_xcnt 0x0
	s_delay_alu instid0(VALU_DEP_1)
	v_cmpx_ne_u32_e64 v12, v2
	s_cbranch_execz .LBB20_17
; %bb.19:                               ;   in Loop: Header=BB20_18 Depth=2
	global_load_b32 v13, v[10:11], off
	s_wait_loadcnt 0x0
	v_mul_f32_e32 v13, v3, v13
	s_wait_xcnt 0x0
	global_atomic_add_f32 v12, v13, s[18:19] scale_offset scope:SCOPE_DEV
	s_branch .LBB20_17
.LBB20_20:
	s_endpgm
	.section	.rodata,"a",@progbits
	.p2align	6, 0x0
	.amdhsa_kernel _ZN9rocsparseL21csrmvt_general_kernelILj256ELj32EliffffEEvbbT2_NS_24const_host_device_scalarIT6_EEPKT1_S7_PKS1_PKT3_PKT4_PT5_21rocsparse_index_base_b
		.amdhsa_group_segment_fixed_size 0
		.amdhsa_private_segment_fixed_size 0
		.amdhsa_kernarg_size 328
		.amdhsa_user_sgpr_count 2
		.amdhsa_user_sgpr_dispatch_ptr 0
		.amdhsa_user_sgpr_queue_ptr 0
		.amdhsa_user_sgpr_kernarg_segment_ptr 1
		.amdhsa_user_sgpr_dispatch_id 0
		.amdhsa_user_sgpr_kernarg_preload_length 0
		.amdhsa_user_sgpr_kernarg_preload_offset 0
		.amdhsa_user_sgpr_private_segment_size 0
		.amdhsa_wavefront_size32 1
		.amdhsa_uses_dynamic_stack 0
		.amdhsa_enable_private_segment 0
		.amdhsa_system_sgpr_workgroup_id_x 1
		.amdhsa_system_sgpr_workgroup_id_y 0
		.amdhsa_system_sgpr_workgroup_id_z 0
		.amdhsa_system_sgpr_workgroup_info 0
		.amdhsa_system_vgpr_workitem_id 0
		.amdhsa_next_free_vgpr 16
		.amdhsa_next_free_sgpr 22
		.amdhsa_named_barrier_count 0
		.amdhsa_reserve_vcc 1
		.amdhsa_float_round_mode_32 0
		.amdhsa_float_round_mode_16_64 0
		.amdhsa_float_denorm_mode_32 3
		.amdhsa_float_denorm_mode_16_64 3
		.amdhsa_fp16_overflow 0
		.amdhsa_memory_ordered 1
		.amdhsa_forward_progress 1
		.amdhsa_inst_pref_size 7
		.amdhsa_round_robin_scheduling 0
		.amdhsa_exception_fp_ieee_invalid_op 0
		.amdhsa_exception_fp_denorm_src 0
		.amdhsa_exception_fp_ieee_div_zero 0
		.amdhsa_exception_fp_ieee_overflow 0
		.amdhsa_exception_fp_ieee_underflow 0
		.amdhsa_exception_fp_ieee_inexact 0
		.amdhsa_exception_int_div_zero 0
	.end_amdhsa_kernel
	.section	.text._ZN9rocsparseL21csrmvt_general_kernelILj256ELj32EliffffEEvbbT2_NS_24const_host_device_scalarIT6_EEPKT1_S7_PKS1_PKT3_PKT4_PT5_21rocsparse_index_base_b,"axG",@progbits,_ZN9rocsparseL21csrmvt_general_kernelILj256ELj32EliffffEEvbbT2_NS_24const_host_device_scalarIT6_EEPKT1_S7_PKS1_PKT3_PKT4_PT5_21rocsparse_index_base_b,comdat
.Lfunc_end20:
	.size	_ZN9rocsparseL21csrmvt_general_kernelILj256ELj32EliffffEEvbbT2_NS_24const_host_device_scalarIT6_EEPKT1_S7_PKS1_PKT3_PKT4_PT5_21rocsparse_index_base_b, .Lfunc_end20-_ZN9rocsparseL21csrmvt_general_kernelILj256ELj32EliffffEEvbbT2_NS_24const_host_device_scalarIT6_EEPKT1_S7_PKS1_PKT3_PKT4_PT5_21rocsparse_index_base_b
                                        ; -- End function
	.set _ZN9rocsparseL21csrmvt_general_kernelILj256ELj32EliffffEEvbbT2_NS_24const_host_device_scalarIT6_EEPKT1_S7_PKS1_PKT3_PKT4_PT5_21rocsparse_index_base_b.num_vgpr, 16
	.set _ZN9rocsparseL21csrmvt_general_kernelILj256ELj32EliffffEEvbbT2_NS_24const_host_device_scalarIT6_EEPKT1_S7_PKS1_PKT3_PKT4_PT5_21rocsparse_index_base_b.num_agpr, 0
	.set _ZN9rocsparseL21csrmvt_general_kernelILj256ELj32EliffffEEvbbT2_NS_24const_host_device_scalarIT6_EEPKT1_S7_PKS1_PKT3_PKT4_PT5_21rocsparse_index_base_b.numbered_sgpr, 22
	.set _ZN9rocsparseL21csrmvt_general_kernelILj256ELj32EliffffEEvbbT2_NS_24const_host_device_scalarIT6_EEPKT1_S7_PKS1_PKT3_PKT4_PT5_21rocsparse_index_base_b.num_named_barrier, 0
	.set _ZN9rocsparseL21csrmvt_general_kernelILj256ELj32EliffffEEvbbT2_NS_24const_host_device_scalarIT6_EEPKT1_S7_PKS1_PKT3_PKT4_PT5_21rocsparse_index_base_b.private_seg_size, 0
	.set _ZN9rocsparseL21csrmvt_general_kernelILj256ELj32EliffffEEvbbT2_NS_24const_host_device_scalarIT6_EEPKT1_S7_PKS1_PKT3_PKT4_PT5_21rocsparse_index_base_b.uses_vcc, 1
	.set _ZN9rocsparseL21csrmvt_general_kernelILj256ELj32EliffffEEvbbT2_NS_24const_host_device_scalarIT6_EEPKT1_S7_PKS1_PKT3_PKT4_PT5_21rocsparse_index_base_b.uses_flat_scratch, 0
	.set _ZN9rocsparseL21csrmvt_general_kernelILj256ELj32EliffffEEvbbT2_NS_24const_host_device_scalarIT6_EEPKT1_S7_PKS1_PKT3_PKT4_PT5_21rocsparse_index_base_b.has_dyn_sized_stack, 0
	.set _ZN9rocsparseL21csrmvt_general_kernelILj256ELj32EliffffEEvbbT2_NS_24const_host_device_scalarIT6_EEPKT1_S7_PKS1_PKT3_PKT4_PT5_21rocsparse_index_base_b.has_recursion, 0
	.set _ZN9rocsparseL21csrmvt_general_kernelILj256ELj32EliffffEEvbbT2_NS_24const_host_device_scalarIT6_EEPKT1_S7_PKS1_PKT3_PKT4_PT5_21rocsparse_index_base_b.has_indirect_call, 0
	.section	.AMDGPU.csdata,"",@progbits
; Kernel info:
; codeLenInByte = 856
; TotalNumSgprs: 24
; NumVgprs: 16
; ScratchSize: 0
; MemoryBound: 0
; FloatMode: 240
; IeeeMode: 1
; LDSByteSize: 0 bytes/workgroup (compile time only)
; SGPRBlocks: 0
; VGPRBlocks: 0
; NumSGPRsForWavesPerEU: 24
; NumVGPRsForWavesPerEU: 16
; NamedBarCnt: 0
; Occupancy: 16
; WaveLimiterHint : 1
; COMPUTE_PGM_RSRC2:SCRATCH_EN: 0
; COMPUTE_PGM_RSRC2:USER_SGPR: 2
; COMPUTE_PGM_RSRC2:TRAP_HANDLER: 0
; COMPUTE_PGM_RSRC2:TGID_X_EN: 1
; COMPUTE_PGM_RSRC2:TGID_Y_EN: 0
; COMPUTE_PGM_RSRC2:TGID_Z_EN: 0
; COMPUTE_PGM_RSRC2:TIDIG_COMP_CNT: 0
	.section	.text._ZN9rocsparseL21csrmvt_general_kernelILj256ELj64EliffffEEvbbT2_NS_24const_host_device_scalarIT6_EEPKT1_S7_PKS1_PKT3_PKT4_PT5_21rocsparse_index_base_b,"axG",@progbits,_ZN9rocsparseL21csrmvt_general_kernelILj256ELj64EliffffEEvbbT2_NS_24const_host_device_scalarIT6_EEPKT1_S7_PKS1_PKT3_PKT4_PT5_21rocsparse_index_base_b,comdat
	.globl	_ZN9rocsparseL21csrmvt_general_kernelILj256ELj64EliffffEEvbbT2_NS_24const_host_device_scalarIT6_EEPKT1_S7_PKS1_PKT3_PKT4_PT5_21rocsparse_index_base_b ; -- Begin function _ZN9rocsparseL21csrmvt_general_kernelILj256ELj64EliffffEEvbbT2_NS_24const_host_device_scalarIT6_EEPKT1_S7_PKS1_PKT3_PKT4_PT5_21rocsparse_index_base_b
	.p2align	8
	.type	_ZN9rocsparseL21csrmvt_general_kernelILj256ELj64EliffffEEvbbT2_NS_24const_host_device_scalarIT6_EEPKT1_S7_PKS1_PKT3_PKT4_PT5_21rocsparse_index_base_b,@function
_ZN9rocsparseL21csrmvt_general_kernelILj256ELj64EliffffEEvbbT2_NS_24const_host_device_scalarIT6_EEPKT1_S7_PKS1_PKT3_PKT4_PT5_21rocsparse_index_base_b: ; @_ZN9rocsparseL21csrmvt_general_kernelILj256ELj64EliffffEEvbbT2_NS_24const_host_device_scalarIT6_EEPKT1_S7_PKS1_PKT3_PKT4_PT5_21rocsparse_index_base_b
; %bb.0:
	s_clause 0x1
	s_load_b64 s[2:3], s[0:1], 0x40
	s_load_b128 s[12:15], s[0:1], 0x8
	s_wait_kmcnt 0x0
	s_bitcmp1_b32 s3, 0
	s_cselect_b32 s3, -1, 0
	s_delay_alu instid0(SALU_CYCLE_1)
	s_and_b32 vcc_lo, exec_lo, s3
	s_cbranch_vccnz .LBB21_2
; %bb.1:
	s_load_b32 s12, s[12:13], 0x0
.LBB21_2:
	s_wait_kmcnt 0x0
	s_cmp_eq_f32 s12, 0
	s_cbranch_scc1 .LBB21_20
; %bb.3:
	s_clause 0x3
	s_load_b64 s[16:17], s[0:1], 0x0
	s_load_b32 s3, s[0:1], 0x48
	s_load_b64 s[18:19], s[0:1], 0x38
	s_load_b256 s[4:11], s[0:1], 0x18
	s_wait_xcnt 0x0
	s_bfe_u32 s0, ttmp6, 0x4000c
	s_and_b32 s13, ttmp6, 15
	s_add_co_i32 s0, s0, 1
	s_getreg_b32 s20, hwreg(HW_REG_IB_STS2, 6, 4)
	s_mul_i32 s0, ttmp9, s0
	s_delay_alu instid0(SALU_CYCLE_1)
	s_add_co_i32 s13, s13, s0
	s_wait_kmcnt 0x0
	s_and_b32 s16, s16, 1
	s_lshl_b32 s1, s3, 2
	s_cmp_eq_u32 s20, 0
	s_mov_b32 s3, -1
	s_cselect_b32 s0, ttmp9, s13
	s_cmp_eq_u32 s16, 0
	v_lshl_or_b32 v1, s0, 8, v0
	s_delay_alu instid0(VALU_DEP_1) | instskip(NEXT) | instid1(VALU_DEP_1)
	v_dual_lshrrev_b32 v2, 6, v1 :: v_dual_bitop2_b32 v0, 63, v0 bitop3:0x40
	v_cmp_gt_i32_e64 s0, s17, v2
	s_cbranch_scc0 .LBB21_11
; %bb.4:
	s_and_saveexec_b32 s13, s0
	s_cbranch_execz .LBB21_10
; %bb.5:
	v_dual_mov_b32 v1, 0 :: v_dual_mov_b32 v6, v2
	s_mov_b32 s3, 0
	s_delay_alu instid0(SALU_CYCLE_1) | instskip(NEXT) | instid1(VALU_DEP_1)
	s_mov_b32 s16, s3
	v_sub_nc_u64_e64 v[4:5], v[0:1], s[2:3]
	s_branch .LBB21_7
.LBB21_6:                               ;   in Loop: Header=BB21_7 Depth=1
	s_or_b32 exec_lo, exec_lo, s20
	v_add_nc_u32_e32 v6, s1, v6
	s_delay_alu instid0(VALU_DEP_1) | instskip(SKIP_1) | instid1(SALU_CYCLE_1)
	v_cmp_le_i32_e32 vcc_lo, s17, v6
	s_or_b32 s16, vcc_lo, s16
	s_and_not1_b32 exec_lo, exec_lo, s16
	s_cbranch_execz .LBB21_10
.LBB21_7:                               ; =>This Loop Header: Depth=1
                                        ;     Child Loop BB21_9 Depth 2
	s_clause 0x1
	global_load_b64 v[8:9], v6, s[4:5] scale_offset
	global_load_b64 v[10:11], v6, s[14:15] scale_offset
	s_mov_b32 s20, exec_lo
	s_wait_loadcnt 0x1
	v_sub_nc_u64_e64 v[8:9], v[8:9], s[2:3]
	s_wait_loadcnt 0x0
	v_add_nc_u64_e32 v[10:11], v[10:11], v[4:5]
	s_wait_xcnt 0x0
	s_delay_alu instid0(VALU_DEP_1)
	v_cmpx_lt_i64_e64 v[10:11], v[8:9]
	s_cbranch_execz .LBB21_6
; %bb.8:                                ;   in Loop: Header=BB21_7 Depth=1
	v_ashrrev_i32_e32 v7, 31, v6
	v_lshlrev_b64_e32 v[14:15], 2, v[10:11]
	s_mov_b32 s21, 0
	s_delay_alu instid0(VALU_DEP_2)
	v_lshl_add_u64 v[12:13], v[6:7], 2, s[10:11]
	global_load_b32 v1, v[12:13], off
	s_wait_xcnt 0x0
	v_add_nc_u64_e32 v[12:13], s[6:7], v[14:15]
	v_add_nc_u64_e32 v[14:15], s[8:9], v[14:15]
	s_wait_loadcnt 0x0
	v_mul_f32_e32 v1, s12, v1
.LBB21_9:                               ;   Parent Loop BB21_7 Depth=1
                                        ; =>  This Inner Loop Header: Depth=2
	global_load_b32 v3, v[12:13], off
	global_load_b32 v7, v[14:15], off
	v_add_nc_u64_e32 v[10:11], 64, v[10:11]
	s_wait_xcnt 0x1
	v_add_nc_u64_e32 v[12:13], 0x100, v[12:13]
	s_wait_xcnt 0x0
	v_add_nc_u64_e32 v[14:15], 0x100, v[14:15]
	s_delay_alu instid0(VALU_DEP_3)
	v_cmp_ge_i64_e32 vcc_lo, v[10:11], v[8:9]
	s_or_b32 s21, vcc_lo, s21
	s_wait_loadcnt 0x1
	v_subrev_nc_u32_e32 v3, s2, v3
	s_wait_loadcnt 0x0
	v_mul_f32_e32 v7, v1, v7
	global_atomic_add_f32 v3, v7, s[18:19] scale_offset scope:SCOPE_DEV
	s_wait_xcnt 0x0
	s_and_not1_b32 exec_lo, exec_lo, s21
	s_cbranch_execnz .LBB21_9
	s_branch .LBB21_6
.LBB21_10:
	s_or_b32 exec_lo, exec_lo, s13
	s_mov_b32 s3, 0
.LBB21_11:
	s_delay_alu instid0(SALU_CYCLE_1)
	s_and_not1_b32 vcc_lo, exec_lo, s3
	s_cbranch_vccnz .LBB21_20
; %bb.12:
	s_and_saveexec_b32 s3, s0
	s_cbranch_execz .LBB21_20
; %bb.13:
	v_mov_b32_e32 v1, 0
	s_mov_b32 s3, 0
	s_delay_alu instid0(SALU_CYCLE_1) | instskip(NEXT) | instid1(VALU_DEP_1)
	s_mov_b32 s0, s3
	v_sub_nc_u64_e64 v[0:1], v[0:1], s[2:3]
	s_branch .LBB21_15
.LBB21_14:                              ;   in Loop: Header=BB21_15 Depth=1
	s_or_b32 exec_lo, exec_lo, s13
	v_add_nc_u32_e32 v2, s1, v2
	s_delay_alu instid0(VALU_DEP_1) | instskip(SKIP_1) | instid1(SALU_CYCLE_1)
	v_cmp_le_i32_e32 vcc_lo, s17, v2
	s_or_b32 s0, vcc_lo, s0
	s_and_not1_b32 exec_lo, exec_lo, s0
	s_cbranch_execz .LBB21_20
.LBB21_15:                              ; =>This Loop Header: Depth=1
                                        ;     Child Loop BB21_18 Depth 2
	s_clause 0x1
	global_load_b64 v[4:5], v2, s[4:5] scale_offset
	global_load_b64 v[6:7], v2, s[14:15] scale_offset
	s_mov_b32 s13, exec_lo
	s_wait_loadcnt 0x1
	v_sub_nc_u64_e64 v[4:5], v[4:5], s[2:3]
	s_wait_loadcnt 0x0
	v_add_nc_u64_e32 v[6:7], v[6:7], v[0:1]
	s_wait_xcnt 0x0
	s_delay_alu instid0(VALU_DEP_1)
	v_cmpx_lt_i64_e64 v[6:7], v[4:5]
	s_cbranch_execz .LBB21_14
; %bb.16:                               ;   in Loop: Header=BB21_15 Depth=1
	v_ashrrev_i32_e32 v3, 31, v2
	v_lshlrev_b64_e32 v[10:11], 2, v[6:7]
	s_mov_b32 s16, 0
	s_delay_alu instid0(VALU_DEP_2)
	v_lshl_add_u64 v[8:9], v[2:3], 2, s[10:11]
	global_load_b32 v3, v[8:9], off
	s_wait_xcnt 0x0
	v_add_nc_u64_e32 v[8:9], s[6:7], v[10:11]
	v_add_nc_u64_e32 v[10:11], s[8:9], v[10:11]
	s_wait_loadcnt 0x0
	v_mul_f32_e32 v3, s12, v3
	s_branch .LBB21_18
.LBB21_17:                              ;   in Loop: Header=BB21_18 Depth=2
	s_wait_xcnt 0x0
	s_or_b32 exec_lo, exec_lo, s20
	v_add_nc_u64_e32 v[6:7], 64, v[6:7]
	v_add_nc_u64_e32 v[8:9], 0x100, v[8:9]
	;; [unrolled: 1-line block ×3, first 2 shown]
	s_delay_alu instid0(VALU_DEP_3) | instskip(SKIP_1) | instid1(SALU_CYCLE_1)
	v_cmp_ge_i64_e32 vcc_lo, v[6:7], v[4:5]
	s_or_b32 s16, vcc_lo, s16
	s_and_not1_b32 exec_lo, exec_lo, s16
	s_cbranch_execz .LBB21_14
.LBB21_18:                              ;   Parent Loop BB21_15 Depth=1
                                        ; =>  This Inner Loop Header: Depth=2
	global_load_b32 v12, v[8:9], off
	s_mov_b32 s20, exec_lo
	s_wait_loadcnt 0x0
	v_subrev_nc_u32_e32 v12, s2, v12
	s_wait_xcnt 0x0
	s_delay_alu instid0(VALU_DEP_1)
	v_cmpx_ne_u32_e64 v12, v2
	s_cbranch_execz .LBB21_17
; %bb.19:                               ;   in Loop: Header=BB21_18 Depth=2
	global_load_b32 v13, v[10:11], off
	s_wait_loadcnt 0x0
	v_mul_f32_e32 v13, v3, v13
	s_wait_xcnt 0x0
	global_atomic_add_f32 v12, v13, s[18:19] scale_offset scope:SCOPE_DEV
	s_branch .LBB21_17
.LBB21_20:
	s_endpgm
	.section	.rodata,"a",@progbits
	.p2align	6, 0x0
	.amdhsa_kernel _ZN9rocsparseL21csrmvt_general_kernelILj256ELj64EliffffEEvbbT2_NS_24const_host_device_scalarIT6_EEPKT1_S7_PKS1_PKT3_PKT4_PT5_21rocsparse_index_base_b
		.amdhsa_group_segment_fixed_size 0
		.amdhsa_private_segment_fixed_size 0
		.amdhsa_kernarg_size 328
		.amdhsa_user_sgpr_count 2
		.amdhsa_user_sgpr_dispatch_ptr 0
		.amdhsa_user_sgpr_queue_ptr 0
		.amdhsa_user_sgpr_kernarg_segment_ptr 1
		.amdhsa_user_sgpr_dispatch_id 0
		.amdhsa_user_sgpr_kernarg_preload_length 0
		.amdhsa_user_sgpr_kernarg_preload_offset 0
		.amdhsa_user_sgpr_private_segment_size 0
		.amdhsa_wavefront_size32 1
		.amdhsa_uses_dynamic_stack 0
		.amdhsa_enable_private_segment 0
		.amdhsa_system_sgpr_workgroup_id_x 1
		.amdhsa_system_sgpr_workgroup_id_y 0
		.amdhsa_system_sgpr_workgroup_id_z 0
		.amdhsa_system_sgpr_workgroup_info 0
		.amdhsa_system_vgpr_workitem_id 0
		.amdhsa_next_free_vgpr 16
		.amdhsa_next_free_sgpr 22
		.amdhsa_named_barrier_count 0
		.amdhsa_reserve_vcc 1
		.amdhsa_float_round_mode_32 0
		.amdhsa_float_round_mode_16_64 0
		.amdhsa_float_denorm_mode_32 3
		.amdhsa_float_denorm_mode_16_64 3
		.amdhsa_fp16_overflow 0
		.amdhsa_memory_ordered 1
		.amdhsa_forward_progress 1
		.amdhsa_inst_pref_size 7
		.amdhsa_round_robin_scheduling 0
		.amdhsa_exception_fp_ieee_invalid_op 0
		.amdhsa_exception_fp_denorm_src 0
		.amdhsa_exception_fp_ieee_div_zero 0
		.amdhsa_exception_fp_ieee_overflow 0
		.amdhsa_exception_fp_ieee_underflow 0
		.amdhsa_exception_fp_ieee_inexact 0
		.amdhsa_exception_int_div_zero 0
	.end_amdhsa_kernel
	.section	.text._ZN9rocsparseL21csrmvt_general_kernelILj256ELj64EliffffEEvbbT2_NS_24const_host_device_scalarIT6_EEPKT1_S7_PKS1_PKT3_PKT4_PT5_21rocsparse_index_base_b,"axG",@progbits,_ZN9rocsparseL21csrmvt_general_kernelILj256ELj64EliffffEEvbbT2_NS_24const_host_device_scalarIT6_EEPKT1_S7_PKS1_PKT3_PKT4_PT5_21rocsparse_index_base_b,comdat
.Lfunc_end21:
	.size	_ZN9rocsparseL21csrmvt_general_kernelILj256ELj64EliffffEEvbbT2_NS_24const_host_device_scalarIT6_EEPKT1_S7_PKS1_PKT3_PKT4_PT5_21rocsparse_index_base_b, .Lfunc_end21-_ZN9rocsparseL21csrmvt_general_kernelILj256ELj64EliffffEEvbbT2_NS_24const_host_device_scalarIT6_EEPKT1_S7_PKS1_PKT3_PKT4_PT5_21rocsparse_index_base_b
                                        ; -- End function
	.set _ZN9rocsparseL21csrmvt_general_kernelILj256ELj64EliffffEEvbbT2_NS_24const_host_device_scalarIT6_EEPKT1_S7_PKS1_PKT3_PKT4_PT5_21rocsparse_index_base_b.num_vgpr, 16
	.set _ZN9rocsparseL21csrmvt_general_kernelILj256ELj64EliffffEEvbbT2_NS_24const_host_device_scalarIT6_EEPKT1_S7_PKS1_PKT3_PKT4_PT5_21rocsparse_index_base_b.num_agpr, 0
	.set _ZN9rocsparseL21csrmvt_general_kernelILj256ELj64EliffffEEvbbT2_NS_24const_host_device_scalarIT6_EEPKT1_S7_PKS1_PKT3_PKT4_PT5_21rocsparse_index_base_b.numbered_sgpr, 22
	.set _ZN9rocsparseL21csrmvt_general_kernelILj256ELj64EliffffEEvbbT2_NS_24const_host_device_scalarIT6_EEPKT1_S7_PKS1_PKT3_PKT4_PT5_21rocsparse_index_base_b.num_named_barrier, 0
	.set _ZN9rocsparseL21csrmvt_general_kernelILj256ELj64EliffffEEvbbT2_NS_24const_host_device_scalarIT6_EEPKT1_S7_PKS1_PKT3_PKT4_PT5_21rocsparse_index_base_b.private_seg_size, 0
	.set _ZN9rocsparseL21csrmvt_general_kernelILj256ELj64EliffffEEvbbT2_NS_24const_host_device_scalarIT6_EEPKT1_S7_PKS1_PKT3_PKT4_PT5_21rocsparse_index_base_b.uses_vcc, 1
	.set _ZN9rocsparseL21csrmvt_general_kernelILj256ELj64EliffffEEvbbT2_NS_24const_host_device_scalarIT6_EEPKT1_S7_PKS1_PKT3_PKT4_PT5_21rocsparse_index_base_b.uses_flat_scratch, 0
	.set _ZN9rocsparseL21csrmvt_general_kernelILj256ELj64EliffffEEvbbT2_NS_24const_host_device_scalarIT6_EEPKT1_S7_PKS1_PKT3_PKT4_PT5_21rocsparse_index_base_b.has_dyn_sized_stack, 0
	.set _ZN9rocsparseL21csrmvt_general_kernelILj256ELj64EliffffEEvbbT2_NS_24const_host_device_scalarIT6_EEPKT1_S7_PKS1_PKT3_PKT4_PT5_21rocsparse_index_base_b.has_recursion, 0
	.set _ZN9rocsparseL21csrmvt_general_kernelILj256ELj64EliffffEEvbbT2_NS_24const_host_device_scalarIT6_EEPKT1_S7_PKS1_PKT3_PKT4_PT5_21rocsparse_index_base_b.has_indirect_call, 0
	.section	.AMDGPU.csdata,"",@progbits
; Kernel info:
; codeLenInByte = 856
; TotalNumSgprs: 24
; NumVgprs: 16
; ScratchSize: 0
; MemoryBound: 0
; FloatMode: 240
; IeeeMode: 1
; LDSByteSize: 0 bytes/workgroup (compile time only)
; SGPRBlocks: 0
; VGPRBlocks: 0
; NumSGPRsForWavesPerEU: 24
; NumVGPRsForWavesPerEU: 16
; NamedBarCnt: 0
; Occupancy: 16
; WaveLimiterHint : 1
; COMPUTE_PGM_RSRC2:SCRATCH_EN: 0
; COMPUTE_PGM_RSRC2:USER_SGPR: 2
; COMPUTE_PGM_RSRC2:TRAP_HANDLER: 0
; COMPUTE_PGM_RSRC2:TGID_X_EN: 1
; COMPUTE_PGM_RSRC2:TGID_Y_EN: 0
; COMPUTE_PGM_RSRC2:TGID_Z_EN: 0
; COMPUTE_PGM_RSRC2:TIDIG_COMP_CNT: 0
	.section	.text._ZN9rocsparseL21csrmvn_general_kernelILj256ELj2EllffffEEvbT2_NS_24const_host_device_scalarIT6_EEPKT1_S7_PKS1_PKT3_PKT4_S4_PT5_21rocsparse_index_base_b,"axG",@progbits,_ZN9rocsparseL21csrmvn_general_kernelILj256ELj2EllffffEEvbT2_NS_24const_host_device_scalarIT6_EEPKT1_S7_PKS1_PKT3_PKT4_S4_PT5_21rocsparse_index_base_b,comdat
	.globl	_ZN9rocsparseL21csrmvn_general_kernelILj256ELj2EllffffEEvbT2_NS_24const_host_device_scalarIT6_EEPKT1_S7_PKS1_PKT3_PKT4_S4_PT5_21rocsparse_index_base_b ; -- Begin function _ZN9rocsparseL21csrmvn_general_kernelILj256ELj2EllffffEEvbT2_NS_24const_host_device_scalarIT6_EEPKT1_S7_PKS1_PKT3_PKT4_S4_PT5_21rocsparse_index_base_b
	.p2align	8
	.type	_ZN9rocsparseL21csrmvn_general_kernelILj256ELj2EllffffEEvbT2_NS_24const_host_device_scalarIT6_EEPKT1_S7_PKS1_PKT3_PKT4_S4_PT5_21rocsparse_index_base_b,@function
_ZN9rocsparseL21csrmvn_general_kernelILj256ELj2EllffffEEvbT2_NS_24const_host_device_scalarIT6_EEPKT1_S7_PKS1_PKT3_PKT4_S4_PT5_21rocsparse_index_base_b: ; @_ZN9rocsparseL21csrmvn_general_kernelILj256ELj2EllffffEEvbT2_NS_24const_host_device_scalarIT6_EEPKT1_S7_PKS1_PKT3_PKT4_S4_PT5_21rocsparse_index_base_b
; %bb.0:
	s_clause 0x2
	s_load_b64 s[2:3], s[0:1], 0x50
	s_load_b64 s[16:17], s[0:1], 0x40
	s_load_b256 s[4:11], s[0:1], 0x8
	s_wait_kmcnt 0x0
	s_bitcmp1_b32 s3, 0
	s_cselect_b32 s3, -1, 0
	s_delay_alu instid0(SALU_CYCLE_1)
	s_and_b32 vcc_lo, exec_lo, s3
	s_xor_b32 s3, s3, -1
	s_cbranch_vccnz .LBB22_2
; %bb.1:
	s_load_b32 s6, s[6:7], 0x0
.LBB22_2:
	s_and_not1_b32 vcc_lo, exec_lo, s3
	s_cbranch_vccnz .LBB22_4
; %bb.3:
	s_load_b32 s16, s[16:17], 0x0
.LBB22_4:
	s_wait_kmcnt 0x0
	s_cmp_neq_f32 s6, 0
	s_cselect_b32 s3, -1, 0
	s_cmp_neq_f32 s16, 1.0
	s_cselect_b32 s7, -1, 0
	s_delay_alu instid0(SALU_CYCLE_1) | instskip(NEXT) | instid1(SALU_CYCLE_1)
	s_or_b32 s3, s3, s7
	s_and_not1_b32 vcc_lo, exec_lo, s3
	s_cbranch_vccnz .LBB22_16
; %bb.5:
	s_bfe_u32 s3, ttmp6, 0x4000c
	s_and_b32 s7, ttmp6, 15
	s_add_co_i32 s3, s3, 1
	s_getreg_b32 s12, hwreg(HW_REG_IB_STS2, 6, 4)
	s_mul_i32 s3, ttmp9, s3
	v_mov_b32_e32 v3, 0
	s_add_co_i32 s7, s7, s3
	s_cmp_eq_u32 s12, 0
	s_cselect_b32 s3, ttmp9, s7
	s_delay_alu instid0(SALU_CYCLE_1) | instskip(SKIP_1) | instid1(VALU_DEP_1)
	v_lshl_or_b32 v1, s3, 8, v0
	s_mov_b32 s3, exec_lo
	v_lshrrev_b32_e32 v2, 1, v1
	s_delay_alu instid0(VALU_DEP_1)
	v_cmpx_gt_i64_e64 s[4:5], v[2:3]
	s_cbranch_execz .LBB22_16
; %bb.6:
	s_clause 0x1
	s_load_b32 s7, s[0:1], 0x58
	s_load_b64 s[18:19], s[0:1], 0x48
	v_mbcnt_lo_u32_b32 v1, -1, 0
	s_clause 0x1
	s_load_b64 s[22:23], s[0:1], 0x38
	s_load_b128 s[12:15], s[0:1], 0x28
	v_dual_mov_b32 v5, v3 :: v_dual_bitop2_b32 v4, 1, v0 bitop3:0x40
	s_mov_b32 s21, 0
	v_xor_b32_e32 v0, 1, v1
	s_wait_xcnt 0x0
	s_ashr_i32 s1, s2, 31
	s_mov_b32 s0, s2
	s_mov_b32 s3, s21
	s_lshl_b64 s[24:25], s[0:1], 2
	v_cmp_gt_i32_e32 vcc_lo, 32, v0
	v_cmp_eq_u32_e64 s0, 1, v4
	v_cndmask_b32_e32 v6, v1, v0, vcc_lo
	v_sub_nc_u64_e64 v[0:1], v[4:5], s[2:3]
	s_wait_kmcnt 0x0
	s_lshl_b32 s20, s7, 7
	s_cmp_neq_f32 s16, 0
	v_lshlrev_b32_e32 v12, 2, v6
	s_sub_nc_u64 s[22:23], s[22:23], s[24:25]
	s_mov_b32 s7, s21
	s_cselect_b32 s1, -1, 0
	s_branch .LBB22_9
.LBB22_7:                               ;   in Loop: Header=BB22_9 Depth=1
	global_store_b32 v[4:5], v6, off
.LBB22_8:                               ;   in Loop: Header=BB22_9 Depth=1
	s_wait_xcnt 0x0
	s_or_b32 exec_lo, exec_lo, s17
	v_add_nc_u64_e32 v[2:3], s[20:21], v[2:3]
	s_delay_alu instid0(VALU_DEP_1) | instskip(SKIP_1) | instid1(SALU_CYCLE_1)
	v_cmp_le_i64_e32 vcc_lo, s[4:5], v[2:3]
	s_or_b32 s7, vcc_lo, s7
	s_and_not1_b32 exec_lo, exec_lo, s7
	s_cbranch_execz .LBB22_16
.LBB22_9:                               ; =>This Loop Header: Depth=1
                                        ;     Child Loop BB22_11 Depth 2
	s_wait_dscnt 0x0
	v_lshlrev_b64_e32 v[4:5], 3, v[2:3]
	v_mov_b32_e32 v13, 0
	s_mov_b32 s17, exec_lo
	s_delay_alu instid0(VALU_DEP_2)
	v_add_nc_u64_e32 v[6:7], s[10:11], v[4:5]
	v_add_nc_u64_e32 v[4:5], s[8:9], v[4:5]
	global_load_b64 v[8:9], v[6:7], off
	global_load_b64 v[10:11], v[4:5], off
	s_wait_loadcnt 0x1
	s_wait_xcnt 0x0
	v_sub_nc_u64_e64 v[4:5], v[8:9], s[2:3]
	s_wait_loadcnt 0x0
	v_add_nc_u64_e32 v[6:7], v[10:11], v[0:1]
	s_delay_alu instid0(VALU_DEP_1)
	v_cmpx_lt_i64_e64 v[6:7], v[4:5]
	s_cbranch_execz .LBB22_13
; %bb.10:                               ;   in Loop: Header=BB22_9 Depth=1
	v_lshl_add_u64 v[8:9], v[6:7], 2, s[14:15]
	v_lshl_add_u64 v[10:11], v[6:7], 3, s[12:13]
	v_mov_b32_e32 v13, 0
	s_mov_b32 s24, 0
.LBB22_11:                              ;   Parent Loop BB22_9 Depth=1
                                        ; =>  This Inner Loop Header: Depth=2
	global_load_b64 v[14:15], v[10:11], off
	global_load_b32 v16, v[8:9], off
	v_add_nc_u64_e32 v[6:7], 2, v[6:7]
	s_wait_xcnt 0x0
	v_add_nc_u64_e32 v[8:9], 8, v[8:9]
	v_add_nc_u64_e32 v[10:11], 16, v[10:11]
	s_delay_alu instid0(VALU_DEP_3)
	v_cmp_ge_i64_e32 vcc_lo, v[6:7], v[4:5]
	s_or_b32 s24, vcc_lo, s24
	s_wait_loadcnt 0x1
	v_lshl_add_u64 v[14:15], v[14:15], 2, s[22:23]
	global_load_b32 v14, v[14:15], off
	s_wait_loadcnt 0x1
	s_wait_xcnt 0x0
	v_mul_f32_e32 v15, s6, v16
	s_wait_loadcnt 0x0
	s_delay_alu instid0(VALU_DEP_1)
	v_fmac_f32_e32 v13, v15, v14
	s_and_not1_b32 exec_lo, exec_lo, s24
	s_cbranch_execnz .LBB22_11
; %bb.12:                               ;   in Loop: Header=BB22_9 Depth=1
	s_or_b32 exec_lo, exec_lo, s24
.LBB22_13:                              ;   in Loop: Header=BB22_9 Depth=1
	s_delay_alu instid0(SALU_CYCLE_1)
	s_or_b32 exec_lo, exec_lo, s17
	ds_bpermute_b32 v4, v12, v13
	s_and_saveexec_b32 s17, s0
	s_cbranch_execz .LBB22_8
; %bb.14:                               ;   in Loop: Header=BB22_9 Depth=1
	s_wait_dscnt 0x0
	v_add_f32_e32 v6, v13, v4
	v_lshl_add_u64 v[4:5], v[2:3], 2, s[18:19]
	s_and_not1_b32 vcc_lo, exec_lo, s1
	s_cbranch_vccnz .LBB22_7
; %bb.15:                               ;   in Loop: Header=BB22_9 Depth=1
	global_load_b32 v7, v[4:5], off
	s_wait_loadcnt 0x0
	v_fmac_f32_e32 v6, s16, v7
	s_branch .LBB22_7
.LBB22_16:
	s_endpgm
	.section	.rodata,"a",@progbits
	.p2align	6, 0x0
	.amdhsa_kernel _ZN9rocsparseL21csrmvn_general_kernelILj256ELj2EllffffEEvbT2_NS_24const_host_device_scalarIT6_EEPKT1_S7_PKS1_PKT3_PKT4_S4_PT5_21rocsparse_index_base_b
		.amdhsa_group_segment_fixed_size 0
		.amdhsa_private_segment_fixed_size 0
		.amdhsa_kernarg_size 344
		.amdhsa_user_sgpr_count 2
		.amdhsa_user_sgpr_dispatch_ptr 0
		.amdhsa_user_sgpr_queue_ptr 0
		.amdhsa_user_sgpr_kernarg_segment_ptr 1
		.amdhsa_user_sgpr_dispatch_id 0
		.amdhsa_user_sgpr_kernarg_preload_length 0
		.amdhsa_user_sgpr_kernarg_preload_offset 0
		.amdhsa_user_sgpr_private_segment_size 0
		.amdhsa_wavefront_size32 1
		.amdhsa_uses_dynamic_stack 0
		.amdhsa_enable_private_segment 0
		.amdhsa_system_sgpr_workgroup_id_x 1
		.amdhsa_system_sgpr_workgroup_id_y 0
		.amdhsa_system_sgpr_workgroup_id_z 0
		.amdhsa_system_sgpr_workgroup_info 0
		.amdhsa_system_vgpr_workitem_id 0
		.amdhsa_next_free_vgpr 17
		.amdhsa_next_free_sgpr 26
		.amdhsa_named_barrier_count 0
		.amdhsa_reserve_vcc 1
		.amdhsa_float_round_mode_32 0
		.amdhsa_float_round_mode_16_64 0
		.amdhsa_float_denorm_mode_32 3
		.amdhsa_float_denorm_mode_16_64 3
		.amdhsa_fp16_overflow 0
		.amdhsa_memory_ordered 1
		.amdhsa_forward_progress 1
		.amdhsa_inst_pref_size 6
		.amdhsa_round_robin_scheduling 0
		.amdhsa_exception_fp_ieee_invalid_op 0
		.amdhsa_exception_fp_denorm_src 0
		.amdhsa_exception_fp_ieee_div_zero 0
		.amdhsa_exception_fp_ieee_overflow 0
		.amdhsa_exception_fp_ieee_underflow 0
		.amdhsa_exception_fp_ieee_inexact 0
		.amdhsa_exception_int_div_zero 0
	.end_amdhsa_kernel
	.section	.text._ZN9rocsparseL21csrmvn_general_kernelILj256ELj2EllffffEEvbT2_NS_24const_host_device_scalarIT6_EEPKT1_S7_PKS1_PKT3_PKT4_S4_PT5_21rocsparse_index_base_b,"axG",@progbits,_ZN9rocsparseL21csrmvn_general_kernelILj256ELj2EllffffEEvbT2_NS_24const_host_device_scalarIT6_EEPKT1_S7_PKS1_PKT3_PKT4_S4_PT5_21rocsparse_index_base_b,comdat
.Lfunc_end22:
	.size	_ZN9rocsparseL21csrmvn_general_kernelILj256ELj2EllffffEEvbT2_NS_24const_host_device_scalarIT6_EEPKT1_S7_PKS1_PKT3_PKT4_S4_PT5_21rocsparse_index_base_b, .Lfunc_end22-_ZN9rocsparseL21csrmvn_general_kernelILj256ELj2EllffffEEvbT2_NS_24const_host_device_scalarIT6_EEPKT1_S7_PKS1_PKT3_PKT4_S4_PT5_21rocsparse_index_base_b
                                        ; -- End function
	.set _ZN9rocsparseL21csrmvn_general_kernelILj256ELj2EllffffEEvbT2_NS_24const_host_device_scalarIT6_EEPKT1_S7_PKS1_PKT3_PKT4_S4_PT5_21rocsparse_index_base_b.num_vgpr, 17
	.set _ZN9rocsparseL21csrmvn_general_kernelILj256ELj2EllffffEEvbT2_NS_24const_host_device_scalarIT6_EEPKT1_S7_PKS1_PKT3_PKT4_S4_PT5_21rocsparse_index_base_b.num_agpr, 0
	.set _ZN9rocsparseL21csrmvn_general_kernelILj256ELj2EllffffEEvbT2_NS_24const_host_device_scalarIT6_EEPKT1_S7_PKS1_PKT3_PKT4_S4_PT5_21rocsparse_index_base_b.numbered_sgpr, 26
	.set _ZN9rocsparseL21csrmvn_general_kernelILj256ELj2EllffffEEvbT2_NS_24const_host_device_scalarIT6_EEPKT1_S7_PKS1_PKT3_PKT4_S4_PT5_21rocsparse_index_base_b.num_named_barrier, 0
	.set _ZN9rocsparseL21csrmvn_general_kernelILj256ELj2EllffffEEvbT2_NS_24const_host_device_scalarIT6_EEPKT1_S7_PKS1_PKT3_PKT4_S4_PT5_21rocsparse_index_base_b.private_seg_size, 0
	.set _ZN9rocsparseL21csrmvn_general_kernelILj256ELj2EllffffEEvbT2_NS_24const_host_device_scalarIT6_EEPKT1_S7_PKS1_PKT3_PKT4_S4_PT5_21rocsparse_index_base_b.uses_vcc, 1
	.set _ZN9rocsparseL21csrmvn_general_kernelILj256ELj2EllffffEEvbT2_NS_24const_host_device_scalarIT6_EEPKT1_S7_PKS1_PKT3_PKT4_S4_PT5_21rocsparse_index_base_b.uses_flat_scratch, 0
	.set _ZN9rocsparseL21csrmvn_general_kernelILj256ELj2EllffffEEvbT2_NS_24const_host_device_scalarIT6_EEPKT1_S7_PKS1_PKT3_PKT4_S4_PT5_21rocsparse_index_base_b.has_dyn_sized_stack, 0
	.set _ZN9rocsparseL21csrmvn_general_kernelILj256ELj2EllffffEEvbT2_NS_24const_host_device_scalarIT6_EEPKT1_S7_PKS1_PKT3_PKT4_S4_PT5_21rocsparse_index_base_b.has_recursion, 0
	.set _ZN9rocsparseL21csrmvn_general_kernelILj256ELj2EllffffEEvbT2_NS_24const_host_device_scalarIT6_EEPKT1_S7_PKS1_PKT3_PKT4_S4_PT5_21rocsparse_index_base_b.has_indirect_call, 0
	.section	.AMDGPU.csdata,"",@progbits
; Kernel info:
; codeLenInByte = 684
; TotalNumSgprs: 28
; NumVgprs: 17
; ScratchSize: 0
; MemoryBound: 0
; FloatMode: 240
; IeeeMode: 1
; LDSByteSize: 0 bytes/workgroup (compile time only)
; SGPRBlocks: 0
; VGPRBlocks: 1
; NumSGPRsForWavesPerEU: 28
; NumVGPRsForWavesPerEU: 17
; NamedBarCnt: 0
; Occupancy: 16
; WaveLimiterHint : 1
; COMPUTE_PGM_RSRC2:SCRATCH_EN: 0
; COMPUTE_PGM_RSRC2:USER_SGPR: 2
; COMPUTE_PGM_RSRC2:TRAP_HANDLER: 0
; COMPUTE_PGM_RSRC2:TGID_X_EN: 1
; COMPUTE_PGM_RSRC2:TGID_Y_EN: 0
; COMPUTE_PGM_RSRC2:TGID_Z_EN: 0
; COMPUTE_PGM_RSRC2:TIDIG_COMP_CNT: 0
	.section	.text._ZN9rocsparseL21csrmvn_general_kernelILj256ELj4EllffffEEvbT2_NS_24const_host_device_scalarIT6_EEPKT1_S7_PKS1_PKT3_PKT4_S4_PT5_21rocsparse_index_base_b,"axG",@progbits,_ZN9rocsparseL21csrmvn_general_kernelILj256ELj4EllffffEEvbT2_NS_24const_host_device_scalarIT6_EEPKT1_S7_PKS1_PKT3_PKT4_S4_PT5_21rocsparse_index_base_b,comdat
	.globl	_ZN9rocsparseL21csrmvn_general_kernelILj256ELj4EllffffEEvbT2_NS_24const_host_device_scalarIT6_EEPKT1_S7_PKS1_PKT3_PKT4_S4_PT5_21rocsparse_index_base_b ; -- Begin function _ZN9rocsparseL21csrmvn_general_kernelILj256ELj4EllffffEEvbT2_NS_24const_host_device_scalarIT6_EEPKT1_S7_PKS1_PKT3_PKT4_S4_PT5_21rocsparse_index_base_b
	.p2align	8
	.type	_ZN9rocsparseL21csrmvn_general_kernelILj256ELj4EllffffEEvbT2_NS_24const_host_device_scalarIT6_EEPKT1_S7_PKS1_PKT3_PKT4_S4_PT5_21rocsparse_index_base_b,@function
_ZN9rocsparseL21csrmvn_general_kernelILj256ELj4EllffffEEvbT2_NS_24const_host_device_scalarIT6_EEPKT1_S7_PKS1_PKT3_PKT4_S4_PT5_21rocsparse_index_base_b: ; @_ZN9rocsparseL21csrmvn_general_kernelILj256ELj4EllffffEEvbT2_NS_24const_host_device_scalarIT6_EEPKT1_S7_PKS1_PKT3_PKT4_S4_PT5_21rocsparse_index_base_b
; %bb.0:
	s_clause 0x2
	s_load_b64 s[2:3], s[0:1], 0x50
	s_load_b64 s[16:17], s[0:1], 0x40
	s_load_b256 s[4:11], s[0:1], 0x8
	s_wait_kmcnt 0x0
	s_bitcmp1_b32 s3, 0
	s_cselect_b32 s3, -1, 0
	s_delay_alu instid0(SALU_CYCLE_1)
	s_and_b32 vcc_lo, exec_lo, s3
	s_xor_b32 s3, s3, -1
	s_cbranch_vccnz .LBB23_2
; %bb.1:
	s_load_b32 s6, s[6:7], 0x0
.LBB23_2:
	s_and_not1_b32 vcc_lo, exec_lo, s3
	s_cbranch_vccnz .LBB23_4
; %bb.3:
	s_load_b32 s16, s[16:17], 0x0
.LBB23_4:
	s_wait_kmcnt 0x0
	s_cmp_neq_f32 s6, 0
	s_cselect_b32 s3, -1, 0
	s_cmp_neq_f32 s16, 1.0
	s_cselect_b32 s7, -1, 0
	s_delay_alu instid0(SALU_CYCLE_1) | instskip(NEXT) | instid1(SALU_CYCLE_1)
	s_or_b32 s3, s3, s7
	s_and_not1_b32 vcc_lo, exec_lo, s3
	s_cbranch_vccnz .LBB23_16
; %bb.5:
	s_bfe_u32 s3, ttmp6, 0x4000c
	s_and_b32 s7, ttmp6, 15
	s_add_co_i32 s3, s3, 1
	s_getreg_b32 s12, hwreg(HW_REG_IB_STS2, 6, 4)
	s_mul_i32 s3, ttmp9, s3
	v_mov_b32_e32 v3, 0
	s_add_co_i32 s7, s7, s3
	s_cmp_eq_u32 s12, 0
	s_cselect_b32 s3, ttmp9, s7
	s_delay_alu instid0(SALU_CYCLE_1) | instskip(SKIP_1) | instid1(VALU_DEP_1)
	v_lshl_or_b32 v1, s3, 8, v0
	s_mov_b32 s3, exec_lo
	v_lshrrev_b32_e32 v2, 2, v1
	s_delay_alu instid0(VALU_DEP_1)
	v_cmpx_gt_i64_e64 s[4:5], v[2:3]
	s_cbranch_execz .LBB23_16
; %bb.6:
	v_mbcnt_lo_u32_b32 v6, -1, 0
	s_clause 0x3
	s_load_b32 s7, s[0:1], 0x58
	s_load_b64 s[18:19], s[0:1], 0x48
	s_load_b128 s[12:15], s[0:1], 0x28
	s_load_b64 s[22:23], s[0:1], 0x38
	v_dual_mov_b32 v5, v3 :: v_dual_bitop2_b32 v4, 3, v0 bitop3:0x40
	s_mov_b32 s21, 0
	v_xor_b32_e32 v8, 1, v6
	v_xor_b32_e32 v7, 2, v6
	s_mov_b32 s3, s21
	s_wait_xcnt 0x0
	s_ashr_i32 s1, s2, 31
	v_sub_nc_u64_e64 v[0:1], v[4:5], s[2:3]
	s_mov_b32 s0, s2
	v_cmp_gt_i32_e32 vcc_lo, 32, v7
	s_lshl_b64 s[24:25], s[0:1], 2
	v_cmp_eq_u32_e64 s0, 3, v4
	v_cndmask_b32_e32 v5, v6, v7, vcc_lo
	v_cmp_gt_i32_e32 vcc_lo, 32, v8
	s_wait_kmcnt 0x0
	s_lshl_b32 s20, s7, 6
	s_cmp_neq_f32 s16, 0
	s_mov_b32 s7, s21
	s_sub_nc_u64 s[22:23], s[22:23], s[24:25]
	v_dual_cndmask_b32 v6, v6, v8, vcc_lo :: v_dual_lshlrev_b32 v12, 2, v5
	s_cselect_b32 s1, -1, 0
	s_delay_alu instid0(VALU_DEP_1)
	v_lshlrev_b32_e32 v13, 2, v6
	s_branch .LBB23_9
.LBB23_7:                               ;   in Loop: Header=BB23_9 Depth=1
	global_store_b32 v[4:5], v6, off
.LBB23_8:                               ;   in Loop: Header=BB23_9 Depth=1
	s_wait_xcnt 0x0
	s_or_b32 exec_lo, exec_lo, s17
	v_add_nc_u64_e32 v[2:3], s[20:21], v[2:3]
	s_delay_alu instid0(VALU_DEP_1) | instskip(SKIP_1) | instid1(SALU_CYCLE_1)
	v_cmp_le_i64_e32 vcc_lo, s[4:5], v[2:3]
	s_or_b32 s7, vcc_lo, s7
	s_and_not1_b32 exec_lo, exec_lo, s7
	s_cbranch_execz .LBB23_16
.LBB23_9:                               ; =>This Loop Header: Depth=1
                                        ;     Child Loop BB23_11 Depth 2
	s_wait_dscnt 0x0
	v_lshlrev_b64_e32 v[4:5], 3, v[2:3]
	v_mov_b32_e32 v14, 0
	s_mov_b32 s17, exec_lo
	s_delay_alu instid0(VALU_DEP_2)
	v_add_nc_u64_e32 v[6:7], s[10:11], v[4:5]
	v_add_nc_u64_e32 v[4:5], s[8:9], v[4:5]
	global_load_b64 v[8:9], v[6:7], off
	global_load_b64 v[10:11], v[4:5], off
	s_wait_loadcnt 0x1
	s_wait_xcnt 0x0
	v_sub_nc_u64_e64 v[4:5], v[8:9], s[2:3]
	s_wait_loadcnt 0x0
	v_add_nc_u64_e32 v[6:7], v[10:11], v[0:1]
	s_delay_alu instid0(VALU_DEP_1)
	v_cmpx_lt_i64_e64 v[6:7], v[4:5]
	s_cbranch_execz .LBB23_13
; %bb.10:                               ;   in Loop: Header=BB23_9 Depth=1
	v_lshl_add_u64 v[8:9], v[6:7], 2, s[14:15]
	v_lshl_add_u64 v[10:11], v[6:7], 3, s[12:13]
	v_mov_b32_e32 v14, 0
	s_mov_b32 s24, 0
.LBB23_11:                              ;   Parent Loop BB23_9 Depth=1
                                        ; =>  This Inner Loop Header: Depth=2
	global_load_b64 v[16:17], v[10:11], off
	global_load_b32 v15, v[8:9], off
	v_add_nc_u64_e32 v[6:7], 4, v[6:7]
	s_wait_xcnt 0x0
	v_add_nc_u64_e32 v[8:9], 16, v[8:9]
	v_add_nc_u64_e32 v[10:11], 32, v[10:11]
	s_delay_alu instid0(VALU_DEP_3)
	v_cmp_ge_i64_e32 vcc_lo, v[6:7], v[4:5]
	s_or_b32 s24, vcc_lo, s24
	s_wait_loadcnt 0x1
	v_lshl_add_u64 v[16:17], v[16:17], 2, s[22:23]
	s_wait_loadcnt 0x0
	v_mul_f32_e32 v15, s6, v15
	global_load_b32 v16, v[16:17], off
	s_wait_loadcnt 0x0
	v_fmac_f32_e32 v14, v15, v16
	s_wait_xcnt 0x0
	s_and_not1_b32 exec_lo, exec_lo, s24
	s_cbranch_execnz .LBB23_11
; %bb.12:                               ;   in Loop: Header=BB23_9 Depth=1
	s_or_b32 exec_lo, exec_lo, s24
.LBB23_13:                              ;   in Loop: Header=BB23_9 Depth=1
	s_delay_alu instid0(SALU_CYCLE_1)
	s_or_b32 exec_lo, exec_lo, s17
	ds_bpermute_b32 v4, v12, v14
	s_wait_dscnt 0x0
	v_add_f32_e32 v4, v14, v4
	ds_bpermute_b32 v5, v13, v4
	s_and_saveexec_b32 s17, s0
	s_cbranch_execz .LBB23_8
; %bb.14:                               ;   in Loop: Header=BB23_9 Depth=1
	s_wait_dscnt 0x0
	v_add_f32_e32 v6, v4, v5
	v_lshl_add_u64 v[4:5], v[2:3], 2, s[18:19]
	s_and_not1_b32 vcc_lo, exec_lo, s1
	s_cbranch_vccnz .LBB23_7
; %bb.15:                               ;   in Loop: Header=BB23_9 Depth=1
	global_load_b32 v7, v[4:5], off
	s_wait_loadcnt 0x0
	v_fmac_f32_e32 v6, s16, v7
	s_branch .LBB23_7
.LBB23_16:
	s_endpgm
	.section	.rodata,"a",@progbits
	.p2align	6, 0x0
	.amdhsa_kernel _ZN9rocsparseL21csrmvn_general_kernelILj256ELj4EllffffEEvbT2_NS_24const_host_device_scalarIT6_EEPKT1_S7_PKS1_PKT3_PKT4_S4_PT5_21rocsparse_index_base_b
		.amdhsa_group_segment_fixed_size 0
		.amdhsa_private_segment_fixed_size 0
		.amdhsa_kernarg_size 344
		.amdhsa_user_sgpr_count 2
		.amdhsa_user_sgpr_dispatch_ptr 0
		.amdhsa_user_sgpr_queue_ptr 0
		.amdhsa_user_sgpr_kernarg_segment_ptr 1
		.amdhsa_user_sgpr_dispatch_id 0
		.amdhsa_user_sgpr_kernarg_preload_length 0
		.amdhsa_user_sgpr_kernarg_preload_offset 0
		.amdhsa_user_sgpr_private_segment_size 0
		.amdhsa_wavefront_size32 1
		.amdhsa_uses_dynamic_stack 0
		.amdhsa_enable_private_segment 0
		.amdhsa_system_sgpr_workgroup_id_x 1
		.amdhsa_system_sgpr_workgroup_id_y 0
		.amdhsa_system_sgpr_workgroup_id_z 0
		.amdhsa_system_sgpr_workgroup_info 0
		.amdhsa_system_vgpr_workitem_id 0
		.amdhsa_next_free_vgpr 18
		.amdhsa_next_free_sgpr 26
		.amdhsa_named_barrier_count 0
		.amdhsa_reserve_vcc 1
		.amdhsa_float_round_mode_32 0
		.amdhsa_float_round_mode_16_64 0
		.amdhsa_float_denorm_mode_32 3
		.amdhsa_float_denorm_mode_16_64 3
		.amdhsa_fp16_overflow 0
		.amdhsa_memory_ordered 1
		.amdhsa_forward_progress 1
		.amdhsa_inst_pref_size 6
		.amdhsa_round_robin_scheduling 0
		.amdhsa_exception_fp_ieee_invalid_op 0
		.amdhsa_exception_fp_denorm_src 0
		.amdhsa_exception_fp_ieee_div_zero 0
		.amdhsa_exception_fp_ieee_overflow 0
		.amdhsa_exception_fp_ieee_underflow 0
		.amdhsa_exception_fp_ieee_inexact 0
		.amdhsa_exception_int_div_zero 0
	.end_amdhsa_kernel
	.section	.text._ZN9rocsparseL21csrmvn_general_kernelILj256ELj4EllffffEEvbT2_NS_24const_host_device_scalarIT6_EEPKT1_S7_PKS1_PKT3_PKT4_S4_PT5_21rocsparse_index_base_b,"axG",@progbits,_ZN9rocsparseL21csrmvn_general_kernelILj256ELj4EllffffEEvbT2_NS_24const_host_device_scalarIT6_EEPKT1_S7_PKS1_PKT3_PKT4_S4_PT5_21rocsparse_index_base_b,comdat
.Lfunc_end23:
	.size	_ZN9rocsparseL21csrmvn_general_kernelILj256ELj4EllffffEEvbT2_NS_24const_host_device_scalarIT6_EEPKT1_S7_PKS1_PKT3_PKT4_S4_PT5_21rocsparse_index_base_b, .Lfunc_end23-_ZN9rocsparseL21csrmvn_general_kernelILj256ELj4EllffffEEvbT2_NS_24const_host_device_scalarIT6_EEPKT1_S7_PKS1_PKT3_PKT4_S4_PT5_21rocsparse_index_base_b
                                        ; -- End function
	.set _ZN9rocsparseL21csrmvn_general_kernelILj256ELj4EllffffEEvbT2_NS_24const_host_device_scalarIT6_EEPKT1_S7_PKS1_PKT3_PKT4_S4_PT5_21rocsparse_index_base_b.num_vgpr, 18
	.set _ZN9rocsparseL21csrmvn_general_kernelILj256ELj4EllffffEEvbT2_NS_24const_host_device_scalarIT6_EEPKT1_S7_PKS1_PKT3_PKT4_S4_PT5_21rocsparse_index_base_b.num_agpr, 0
	.set _ZN9rocsparseL21csrmvn_general_kernelILj256ELj4EllffffEEvbT2_NS_24const_host_device_scalarIT6_EEPKT1_S7_PKS1_PKT3_PKT4_S4_PT5_21rocsparse_index_base_b.numbered_sgpr, 26
	.set _ZN9rocsparseL21csrmvn_general_kernelILj256ELj4EllffffEEvbT2_NS_24const_host_device_scalarIT6_EEPKT1_S7_PKS1_PKT3_PKT4_S4_PT5_21rocsparse_index_base_b.num_named_barrier, 0
	.set _ZN9rocsparseL21csrmvn_general_kernelILj256ELj4EllffffEEvbT2_NS_24const_host_device_scalarIT6_EEPKT1_S7_PKS1_PKT3_PKT4_S4_PT5_21rocsparse_index_base_b.private_seg_size, 0
	.set _ZN9rocsparseL21csrmvn_general_kernelILj256ELj4EllffffEEvbT2_NS_24const_host_device_scalarIT6_EEPKT1_S7_PKS1_PKT3_PKT4_S4_PT5_21rocsparse_index_base_b.uses_vcc, 1
	.set _ZN9rocsparseL21csrmvn_general_kernelILj256ELj4EllffffEEvbT2_NS_24const_host_device_scalarIT6_EEPKT1_S7_PKS1_PKT3_PKT4_S4_PT5_21rocsparse_index_base_b.uses_flat_scratch, 0
	.set _ZN9rocsparseL21csrmvn_general_kernelILj256ELj4EllffffEEvbT2_NS_24const_host_device_scalarIT6_EEPKT1_S7_PKS1_PKT3_PKT4_S4_PT5_21rocsparse_index_base_b.has_dyn_sized_stack, 0
	.set _ZN9rocsparseL21csrmvn_general_kernelILj256ELj4EllffffEEvbT2_NS_24const_host_device_scalarIT6_EEPKT1_S7_PKS1_PKT3_PKT4_S4_PT5_21rocsparse_index_base_b.has_recursion, 0
	.set _ZN9rocsparseL21csrmvn_general_kernelILj256ELj4EllffffEEvbT2_NS_24const_host_device_scalarIT6_EEPKT1_S7_PKS1_PKT3_PKT4_S4_PT5_21rocsparse_index_base_b.has_indirect_call, 0
	.section	.AMDGPU.csdata,"",@progbits
; Kernel info:
; codeLenInByte = 716
; TotalNumSgprs: 28
; NumVgprs: 18
; ScratchSize: 0
; MemoryBound: 0
; FloatMode: 240
; IeeeMode: 1
; LDSByteSize: 0 bytes/workgroup (compile time only)
; SGPRBlocks: 0
; VGPRBlocks: 1
; NumSGPRsForWavesPerEU: 28
; NumVGPRsForWavesPerEU: 18
; NamedBarCnt: 0
; Occupancy: 16
; WaveLimiterHint : 1
; COMPUTE_PGM_RSRC2:SCRATCH_EN: 0
; COMPUTE_PGM_RSRC2:USER_SGPR: 2
; COMPUTE_PGM_RSRC2:TRAP_HANDLER: 0
; COMPUTE_PGM_RSRC2:TGID_X_EN: 1
; COMPUTE_PGM_RSRC2:TGID_Y_EN: 0
; COMPUTE_PGM_RSRC2:TGID_Z_EN: 0
; COMPUTE_PGM_RSRC2:TIDIG_COMP_CNT: 0
	.section	.text._ZN9rocsparseL21csrmvn_general_kernelILj256ELj8EllffffEEvbT2_NS_24const_host_device_scalarIT6_EEPKT1_S7_PKS1_PKT3_PKT4_S4_PT5_21rocsparse_index_base_b,"axG",@progbits,_ZN9rocsparseL21csrmvn_general_kernelILj256ELj8EllffffEEvbT2_NS_24const_host_device_scalarIT6_EEPKT1_S7_PKS1_PKT3_PKT4_S4_PT5_21rocsparse_index_base_b,comdat
	.globl	_ZN9rocsparseL21csrmvn_general_kernelILj256ELj8EllffffEEvbT2_NS_24const_host_device_scalarIT6_EEPKT1_S7_PKS1_PKT3_PKT4_S4_PT5_21rocsparse_index_base_b ; -- Begin function _ZN9rocsparseL21csrmvn_general_kernelILj256ELj8EllffffEEvbT2_NS_24const_host_device_scalarIT6_EEPKT1_S7_PKS1_PKT3_PKT4_S4_PT5_21rocsparse_index_base_b
	.p2align	8
	.type	_ZN9rocsparseL21csrmvn_general_kernelILj256ELj8EllffffEEvbT2_NS_24const_host_device_scalarIT6_EEPKT1_S7_PKS1_PKT3_PKT4_S4_PT5_21rocsparse_index_base_b,@function
_ZN9rocsparseL21csrmvn_general_kernelILj256ELj8EllffffEEvbT2_NS_24const_host_device_scalarIT6_EEPKT1_S7_PKS1_PKT3_PKT4_S4_PT5_21rocsparse_index_base_b: ; @_ZN9rocsparseL21csrmvn_general_kernelILj256ELj8EllffffEEvbT2_NS_24const_host_device_scalarIT6_EEPKT1_S7_PKS1_PKT3_PKT4_S4_PT5_21rocsparse_index_base_b
; %bb.0:
	s_clause 0x2
	s_load_b64 s[2:3], s[0:1], 0x50
	s_load_b64 s[16:17], s[0:1], 0x40
	s_load_b256 s[4:11], s[0:1], 0x8
	s_wait_kmcnt 0x0
	s_bitcmp1_b32 s3, 0
	s_cselect_b32 s3, -1, 0
	s_delay_alu instid0(SALU_CYCLE_1)
	s_and_b32 vcc_lo, exec_lo, s3
	s_xor_b32 s3, s3, -1
	s_cbranch_vccnz .LBB24_2
; %bb.1:
	s_load_b32 s6, s[6:7], 0x0
.LBB24_2:
	s_and_not1_b32 vcc_lo, exec_lo, s3
	s_cbranch_vccnz .LBB24_4
; %bb.3:
	s_load_b32 s16, s[16:17], 0x0
.LBB24_4:
	s_wait_kmcnt 0x0
	s_cmp_neq_f32 s6, 0
	s_cselect_b32 s3, -1, 0
	s_cmp_neq_f32 s16, 1.0
	s_cselect_b32 s7, -1, 0
	s_delay_alu instid0(SALU_CYCLE_1) | instskip(NEXT) | instid1(SALU_CYCLE_1)
	s_or_b32 s3, s3, s7
	s_and_not1_b32 vcc_lo, exec_lo, s3
	s_cbranch_vccnz .LBB24_16
; %bb.5:
	s_bfe_u32 s3, ttmp6, 0x4000c
	s_and_b32 s7, ttmp6, 15
	s_add_co_i32 s3, s3, 1
	s_getreg_b32 s12, hwreg(HW_REG_IB_STS2, 6, 4)
	s_mul_i32 s3, ttmp9, s3
	v_mov_b32_e32 v3, 0
	s_add_co_i32 s7, s7, s3
	s_cmp_eq_u32 s12, 0
	s_cselect_b32 s3, ttmp9, s7
	s_delay_alu instid0(SALU_CYCLE_1) | instskip(SKIP_1) | instid1(VALU_DEP_1)
	v_lshl_or_b32 v1, s3, 8, v0
	s_mov_b32 s3, exec_lo
	v_lshrrev_b32_e32 v2, 3, v1
	s_delay_alu instid0(VALU_DEP_1)
	v_cmpx_gt_i64_e64 s[4:5], v[2:3]
	s_cbranch_execz .LBB24_16
; %bb.6:
	v_mbcnt_lo_u32_b32 v6, -1, 0
	v_dual_mov_b32 v5, v3 :: v_dual_bitop2_b32 v4, 7, v0 bitop3:0x40
	s_clause 0x3
	s_load_b32 s7, s[0:1], 0x58
	s_load_b64 s[18:19], s[0:1], 0x48
	s_load_b128 s[12:15], s[0:1], 0x28
	s_load_b64 s[22:23], s[0:1], 0x38
	s_mov_b32 s21, 0
	v_xor_b32_e32 v8, 2, v6
	v_xor_b32_e32 v7, 4, v6
	s_mov_b32 s3, s21
	s_wait_xcnt 0x0
	s_ashr_i32 s1, s2, 31
	v_sub_nc_u64_e64 v[0:1], v[4:5], s[2:3]
	s_mov_b32 s0, s2
	v_cmp_gt_i32_e32 vcc_lo, 32, v7
	s_lshl_b64 s[24:25], s[0:1], 2
	v_cmp_eq_u32_e64 s0, 7, v4
	v_dual_cndmask_b32 v7, v6, v7, vcc_lo :: v_dual_bitop2_b32 v5, 1, v6 bitop3:0x14
	v_cmp_gt_i32_e32 vcc_lo, 32, v8
	s_wait_kmcnt 0x0
	s_lshl_b32 s20, s7, 5
	s_delay_alu instid0(VALU_DEP_2)
	v_lshlrev_b32_e32 v12, 2, v7
	s_cmp_neq_f32 s16, 0
	v_cndmask_b32_e32 v8, v6, v8, vcc_lo
	v_cmp_gt_i32_e32 vcc_lo, 32, v5
	s_sub_nc_u64 s[22:23], s[22:23], s[24:25]
	s_cselect_b32 s1, -1, 0
	s_mov_b32 s7, s21
	v_dual_lshlrev_b32 v13, 2, v8 :: v_dual_cndmask_b32 v5, v6, v5, vcc_lo
	s_delay_alu instid0(VALU_DEP_1)
	v_lshlrev_b32_e32 v14, 2, v5
	s_branch .LBB24_9
.LBB24_7:                               ;   in Loop: Header=BB24_9 Depth=1
	global_store_b32 v[4:5], v6, off
.LBB24_8:                               ;   in Loop: Header=BB24_9 Depth=1
	s_wait_xcnt 0x0
	s_or_b32 exec_lo, exec_lo, s17
	v_add_nc_u64_e32 v[2:3], s[20:21], v[2:3]
	s_delay_alu instid0(VALU_DEP_1) | instskip(SKIP_1) | instid1(SALU_CYCLE_1)
	v_cmp_le_i64_e32 vcc_lo, s[4:5], v[2:3]
	s_or_b32 s7, vcc_lo, s7
	s_and_not1_b32 exec_lo, exec_lo, s7
	s_cbranch_execz .LBB24_16
.LBB24_9:                               ; =>This Loop Header: Depth=1
                                        ;     Child Loop BB24_11 Depth 2
	s_wait_dscnt 0x0
	v_lshlrev_b64_e32 v[4:5], 3, v[2:3]
	v_mov_b32_e32 v15, 0
	s_mov_b32 s17, exec_lo
	s_delay_alu instid0(VALU_DEP_2)
	v_add_nc_u64_e32 v[6:7], s[10:11], v[4:5]
	v_add_nc_u64_e32 v[4:5], s[8:9], v[4:5]
	global_load_b64 v[8:9], v[6:7], off
	global_load_b64 v[10:11], v[4:5], off
	s_wait_loadcnt 0x1
	s_wait_xcnt 0x0
	v_sub_nc_u64_e64 v[4:5], v[8:9], s[2:3]
	s_wait_loadcnt 0x0
	v_add_nc_u64_e32 v[6:7], v[10:11], v[0:1]
	s_delay_alu instid0(VALU_DEP_1)
	v_cmpx_lt_i64_e64 v[6:7], v[4:5]
	s_cbranch_execz .LBB24_13
; %bb.10:                               ;   in Loop: Header=BB24_9 Depth=1
	v_lshl_add_u64 v[8:9], v[6:7], 2, s[14:15]
	v_lshl_add_u64 v[10:11], v[6:7], 3, s[12:13]
	v_mov_b32_e32 v15, 0
	s_mov_b32 s24, 0
.LBB24_11:                              ;   Parent Loop BB24_9 Depth=1
                                        ; =>  This Inner Loop Header: Depth=2
	global_load_b64 v[16:17], v[10:11], off
	global_load_b32 v18, v[8:9], off
	v_add_nc_u64_e32 v[6:7], 8, v[6:7]
	s_wait_xcnt 0x0
	v_add_nc_u64_e32 v[8:9], 32, v[8:9]
	v_add_nc_u64_e32 v[10:11], 64, v[10:11]
	s_delay_alu instid0(VALU_DEP_3)
	v_cmp_ge_i64_e32 vcc_lo, v[6:7], v[4:5]
	s_or_b32 s24, vcc_lo, s24
	s_wait_loadcnt 0x1
	v_lshl_add_u64 v[16:17], v[16:17], 2, s[22:23]
	global_load_b32 v16, v[16:17], off
	s_wait_loadcnt 0x1
	s_wait_xcnt 0x0
	v_mul_f32_e32 v17, s6, v18
	s_wait_loadcnt 0x0
	s_delay_alu instid0(VALU_DEP_1)
	v_fmac_f32_e32 v15, v17, v16
	s_and_not1_b32 exec_lo, exec_lo, s24
	s_cbranch_execnz .LBB24_11
; %bb.12:                               ;   in Loop: Header=BB24_9 Depth=1
	s_or_b32 exec_lo, exec_lo, s24
.LBB24_13:                              ;   in Loop: Header=BB24_9 Depth=1
	s_delay_alu instid0(SALU_CYCLE_1)
	s_or_b32 exec_lo, exec_lo, s17
	ds_bpermute_b32 v4, v12, v15
	s_wait_dscnt 0x0
	v_add_f32_e32 v4, v15, v4
	ds_bpermute_b32 v5, v13, v4
	s_wait_dscnt 0x0
	v_add_f32_e32 v4, v4, v5
	ds_bpermute_b32 v5, v14, v4
	s_and_saveexec_b32 s17, s0
	s_cbranch_execz .LBB24_8
; %bb.14:                               ;   in Loop: Header=BB24_9 Depth=1
	s_wait_dscnt 0x0
	v_add_f32_e32 v6, v4, v5
	v_lshl_add_u64 v[4:5], v[2:3], 2, s[18:19]
	s_and_not1_b32 vcc_lo, exec_lo, s1
	s_cbranch_vccnz .LBB24_7
; %bb.15:                               ;   in Loop: Header=BB24_9 Depth=1
	global_load_b32 v7, v[4:5], off
	s_wait_loadcnt 0x0
	v_fmac_f32_e32 v6, s16, v7
	s_branch .LBB24_7
.LBB24_16:
	s_endpgm
	.section	.rodata,"a",@progbits
	.p2align	6, 0x0
	.amdhsa_kernel _ZN9rocsparseL21csrmvn_general_kernelILj256ELj8EllffffEEvbT2_NS_24const_host_device_scalarIT6_EEPKT1_S7_PKS1_PKT3_PKT4_S4_PT5_21rocsparse_index_base_b
		.amdhsa_group_segment_fixed_size 0
		.amdhsa_private_segment_fixed_size 0
		.amdhsa_kernarg_size 344
		.amdhsa_user_sgpr_count 2
		.amdhsa_user_sgpr_dispatch_ptr 0
		.amdhsa_user_sgpr_queue_ptr 0
		.amdhsa_user_sgpr_kernarg_segment_ptr 1
		.amdhsa_user_sgpr_dispatch_id 0
		.amdhsa_user_sgpr_kernarg_preload_length 0
		.amdhsa_user_sgpr_kernarg_preload_offset 0
		.amdhsa_user_sgpr_private_segment_size 0
		.amdhsa_wavefront_size32 1
		.amdhsa_uses_dynamic_stack 0
		.amdhsa_enable_private_segment 0
		.amdhsa_system_sgpr_workgroup_id_x 1
		.amdhsa_system_sgpr_workgroup_id_y 0
		.amdhsa_system_sgpr_workgroup_id_z 0
		.amdhsa_system_sgpr_workgroup_info 0
		.amdhsa_system_vgpr_workitem_id 0
		.amdhsa_next_free_vgpr 19
		.amdhsa_next_free_sgpr 26
		.amdhsa_named_barrier_count 0
		.amdhsa_reserve_vcc 1
		.amdhsa_float_round_mode_32 0
		.amdhsa_float_round_mode_16_64 0
		.amdhsa_float_denorm_mode_32 3
		.amdhsa_float_denorm_mode_16_64 3
		.amdhsa_fp16_overflow 0
		.amdhsa_memory_ordered 1
		.amdhsa_forward_progress 1
		.amdhsa_inst_pref_size 6
		.amdhsa_round_robin_scheduling 0
		.amdhsa_exception_fp_ieee_invalid_op 0
		.amdhsa_exception_fp_denorm_src 0
		.amdhsa_exception_fp_ieee_div_zero 0
		.amdhsa_exception_fp_ieee_overflow 0
		.amdhsa_exception_fp_ieee_underflow 0
		.amdhsa_exception_fp_ieee_inexact 0
		.amdhsa_exception_int_div_zero 0
	.end_amdhsa_kernel
	.section	.text._ZN9rocsparseL21csrmvn_general_kernelILj256ELj8EllffffEEvbT2_NS_24const_host_device_scalarIT6_EEPKT1_S7_PKS1_PKT3_PKT4_S4_PT5_21rocsparse_index_base_b,"axG",@progbits,_ZN9rocsparseL21csrmvn_general_kernelILj256ELj8EllffffEEvbT2_NS_24const_host_device_scalarIT6_EEPKT1_S7_PKS1_PKT3_PKT4_S4_PT5_21rocsparse_index_base_b,comdat
.Lfunc_end24:
	.size	_ZN9rocsparseL21csrmvn_general_kernelILj256ELj8EllffffEEvbT2_NS_24const_host_device_scalarIT6_EEPKT1_S7_PKS1_PKT3_PKT4_S4_PT5_21rocsparse_index_base_b, .Lfunc_end24-_ZN9rocsparseL21csrmvn_general_kernelILj256ELj8EllffffEEvbT2_NS_24const_host_device_scalarIT6_EEPKT1_S7_PKS1_PKT3_PKT4_S4_PT5_21rocsparse_index_base_b
                                        ; -- End function
	.set _ZN9rocsparseL21csrmvn_general_kernelILj256ELj8EllffffEEvbT2_NS_24const_host_device_scalarIT6_EEPKT1_S7_PKS1_PKT3_PKT4_S4_PT5_21rocsparse_index_base_b.num_vgpr, 19
	.set _ZN9rocsparseL21csrmvn_general_kernelILj256ELj8EllffffEEvbT2_NS_24const_host_device_scalarIT6_EEPKT1_S7_PKS1_PKT3_PKT4_S4_PT5_21rocsparse_index_base_b.num_agpr, 0
	.set _ZN9rocsparseL21csrmvn_general_kernelILj256ELj8EllffffEEvbT2_NS_24const_host_device_scalarIT6_EEPKT1_S7_PKS1_PKT3_PKT4_S4_PT5_21rocsparse_index_base_b.numbered_sgpr, 26
	.set _ZN9rocsparseL21csrmvn_general_kernelILj256ELj8EllffffEEvbT2_NS_24const_host_device_scalarIT6_EEPKT1_S7_PKS1_PKT3_PKT4_S4_PT5_21rocsparse_index_base_b.num_named_barrier, 0
	.set _ZN9rocsparseL21csrmvn_general_kernelILj256ELj8EllffffEEvbT2_NS_24const_host_device_scalarIT6_EEPKT1_S7_PKS1_PKT3_PKT4_S4_PT5_21rocsparse_index_base_b.private_seg_size, 0
	.set _ZN9rocsparseL21csrmvn_general_kernelILj256ELj8EllffffEEvbT2_NS_24const_host_device_scalarIT6_EEPKT1_S7_PKS1_PKT3_PKT4_S4_PT5_21rocsparse_index_base_b.uses_vcc, 1
	.set _ZN9rocsparseL21csrmvn_general_kernelILj256ELj8EllffffEEvbT2_NS_24const_host_device_scalarIT6_EEPKT1_S7_PKS1_PKT3_PKT4_S4_PT5_21rocsparse_index_base_b.uses_flat_scratch, 0
	.set _ZN9rocsparseL21csrmvn_general_kernelILj256ELj8EllffffEEvbT2_NS_24const_host_device_scalarIT6_EEPKT1_S7_PKS1_PKT3_PKT4_S4_PT5_21rocsparse_index_base_b.has_dyn_sized_stack, 0
	.set _ZN9rocsparseL21csrmvn_general_kernelILj256ELj8EllffffEEvbT2_NS_24const_host_device_scalarIT6_EEPKT1_S7_PKS1_PKT3_PKT4_S4_PT5_21rocsparse_index_base_b.has_recursion, 0
	.set _ZN9rocsparseL21csrmvn_general_kernelILj256ELj8EllffffEEvbT2_NS_24const_host_device_scalarIT6_EEPKT1_S7_PKS1_PKT3_PKT4_S4_PT5_21rocsparse_index_base_b.has_indirect_call, 0
	.section	.AMDGPU.csdata,"",@progbits
; Kernel info:
; codeLenInByte = 760
; TotalNumSgprs: 28
; NumVgprs: 19
; ScratchSize: 0
; MemoryBound: 0
; FloatMode: 240
; IeeeMode: 1
; LDSByteSize: 0 bytes/workgroup (compile time only)
; SGPRBlocks: 0
; VGPRBlocks: 1
; NumSGPRsForWavesPerEU: 28
; NumVGPRsForWavesPerEU: 19
; NamedBarCnt: 0
; Occupancy: 16
; WaveLimiterHint : 1
; COMPUTE_PGM_RSRC2:SCRATCH_EN: 0
; COMPUTE_PGM_RSRC2:USER_SGPR: 2
; COMPUTE_PGM_RSRC2:TRAP_HANDLER: 0
; COMPUTE_PGM_RSRC2:TGID_X_EN: 1
; COMPUTE_PGM_RSRC2:TGID_Y_EN: 0
; COMPUTE_PGM_RSRC2:TGID_Z_EN: 0
; COMPUTE_PGM_RSRC2:TIDIG_COMP_CNT: 0
	.section	.text._ZN9rocsparseL21csrmvn_general_kernelILj256ELj16EllffffEEvbT2_NS_24const_host_device_scalarIT6_EEPKT1_S7_PKS1_PKT3_PKT4_S4_PT5_21rocsparse_index_base_b,"axG",@progbits,_ZN9rocsparseL21csrmvn_general_kernelILj256ELj16EllffffEEvbT2_NS_24const_host_device_scalarIT6_EEPKT1_S7_PKS1_PKT3_PKT4_S4_PT5_21rocsparse_index_base_b,comdat
	.globl	_ZN9rocsparseL21csrmvn_general_kernelILj256ELj16EllffffEEvbT2_NS_24const_host_device_scalarIT6_EEPKT1_S7_PKS1_PKT3_PKT4_S4_PT5_21rocsparse_index_base_b ; -- Begin function _ZN9rocsparseL21csrmvn_general_kernelILj256ELj16EllffffEEvbT2_NS_24const_host_device_scalarIT6_EEPKT1_S7_PKS1_PKT3_PKT4_S4_PT5_21rocsparse_index_base_b
	.p2align	8
	.type	_ZN9rocsparseL21csrmvn_general_kernelILj256ELj16EllffffEEvbT2_NS_24const_host_device_scalarIT6_EEPKT1_S7_PKS1_PKT3_PKT4_S4_PT5_21rocsparse_index_base_b,@function
_ZN9rocsparseL21csrmvn_general_kernelILj256ELj16EllffffEEvbT2_NS_24const_host_device_scalarIT6_EEPKT1_S7_PKS1_PKT3_PKT4_S4_PT5_21rocsparse_index_base_b: ; @_ZN9rocsparseL21csrmvn_general_kernelILj256ELj16EllffffEEvbT2_NS_24const_host_device_scalarIT6_EEPKT1_S7_PKS1_PKT3_PKT4_S4_PT5_21rocsparse_index_base_b
; %bb.0:
	s_clause 0x2
	s_load_b64 s[2:3], s[0:1], 0x50
	s_load_b64 s[16:17], s[0:1], 0x40
	s_load_b256 s[4:11], s[0:1], 0x8
	s_wait_kmcnt 0x0
	s_bitcmp1_b32 s3, 0
	s_cselect_b32 s3, -1, 0
	s_delay_alu instid0(SALU_CYCLE_1)
	s_and_b32 vcc_lo, exec_lo, s3
	s_xor_b32 s3, s3, -1
	s_cbranch_vccnz .LBB25_2
; %bb.1:
	s_load_b32 s6, s[6:7], 0x0
.LBB25_2:
	s_and_not1_b32 vcc_lo, exec_lo, s3
	s_cbranch_vccnz .LBB25_4
; %bb.3:
	s_load_b32 s16, s[16:17], 0x0
.LBB25_4:
	s_wait_kmcnt 0x0
	s_cmp_neq_f32 s6, 0
	s_cselect_b32 s3, -1, 0
	s_cmp_neq_f32 s16, 1.0
	s_cselect_b32 s7, -1, 0
	s_delay_alu instid0(SALU_CYCLE_1) | instskip(NEXT) | instid1(SALU_CYCLE_1)
	s_or_b32 s3, s3, s7
	s_and_not1_b32 vcc_lo, exec_lo, s3
	s_cbranch_vccnz .LBB25_16
; %bb.5:
	s_bfe_u32 s3, ttmp6, 0x4000c
	s_and_b32 s7, ttmp6, 15
	s_add_co_i32 s3, s3, 1
	s_getreg_b32 s12, hwreg(HW_REG_IB_STS2, 6, 4)
	s_mul_i32 s3, ttmp9, s3
	v_mov_b32_e32 v3, 0
	s_add_co_i32 s7, s7, s3
	s_cmp_eq_u32 s12, 0
	s_cselect_b32 s3, ttmp9, s7
	s_delay_alu instid0(SALU_CYCLE_1) | instskip(SKIP_1) | instid1(VALU_DEP_1)
	v_lshl_or_b32 v1, s3, 8, v0
	s_mov_b32 s3, exec_lo
	v_lshrrev_b32_e32 v2, 4, v1
	s_delay_alu instid0(VALU_DEP_1)
	v_cmpx_gt_i64_e64 s[4:5], v[2:3]
	s_cbranch_execz .LBB25_16
; %bb.6:
	v_dual_mov_b32 v5, v3 :: v_dual_bitop2_b32 v4, 15, v0 bitop3:0x40
	v_mbcnt_lo_u32_b32 v6, -1, 0
	s_mov_b32 s21, 0
	s_clause 0x3
	s_load_b32 s7, s[0:1], 0x58
	s_load_b64 s[18:19], s[0:1], 0x48
	s_load_b128 s[12:15], s[0:1], 0x28
	s_load_b64 s[22:23], s[0:1], 0x38
	s_mov_b32 s3, s21
	s_wait_xcnt 0x0
	s_ashr_i32 s1, s2, 31
	v_sub_nc_u64_e64 v[0:1], v[4:5], s[2:3]
	v_xor_b32_e32 v5, 4, v6
	v_xor_b32_e32 v7, 8, v6
	;; [unrolled: 1-line block ×4, first 2 shown]
	s_mov_b32 s0, s2
	s_delay_alu instid0(VALU_DEP_3)
	v_cmp_gt_i32_e32 vcc_lo, 32, v7
	s_lshl_b64 s[24:25], s[0:1], 2
	v_cmp_eq_u32_e64 s0, 15, v4
	v_cndmask_b32_e32 v7, v6, v7, vcc_lo
	v_cmp_gt_i32_e32 vcc_lo, 32, v5
	s_wait_kmcnt 0x0
	s_lshl_b32 s20, s7, 4
	s_cmp_neq_f32 s16, 0
	s_mov_b32 s7, s21
	s_sub_nc_u64 s[22:23], s[22:23], s[24:25]
	v_cndmask_b32_e32 v5, v6, v5, vcc_lo
	v_cmp_gt_i32_e32 vcc_lo, 32, v8
	v_lshlrev_b32_e32 v12, 2, v7
	s_cselect_b32 s1, -1, 0
	s_delay_alu instid0(VALU_DEP_3) | instskip(SKIP_1) | instid1(VALU_DEP_2)
	v_dual_cndmask_b32 v8, v6, v8 :: v_dual_lshlrev_b32 v13, 2, v5
	v_cmp_gt_i32_e32 vcc_lo, 32, v9
	v_dual_cndmask_b32 v6, v6, v9, vcc_lo :: v_dual_lshlrev_b32 v14, 2, v8
	s_delay_alu instid0(VALU_DEP_1)
	v_lshlrev_b32_e32 v15, 2, v6
	s_branch .LBB25_9
.LBB25_7:                               ;   in Loop: Header=BB25_9 Depth=1
	global_store_b32 v[4:5], v6, off
.LBB25_8:                               ;   in Loop: Header=BB25_9 Depth=1
	s_wait_xcnt 0x0
	s_or_b32 exec_lo, exec_lo, s17
	v_add_nc_u64_e32 v[2:3], s[20:21], v[2:3]
	s_delay_alu instid0(VALU_DEP_1) | instskip(SKIP_1) | instid1(SALU_CYCLE_1)
	v_cmp_le_i64_e32 vcc_lo, s[4:5], v[2:3]
	s_or_b32 s7, vcc_lo, s7
	s_and_not1_b32 exec_lo, exec_lo, s7
	s_cbranch_execz .LBB25_16
.LBB25_9:                               ; =>This Loop Header: Depth=1
                                        ;     Child Loop BB25_11 Depth 2
	s_wait_dscnt 0x0
	v_lshlrev_b64_e32 v[4:5], 3, v[2:3]
	v_mov_b32_e32 v16, 0
	s_mov_b32 s17, exec_lo
	s_delay_alu instid0(VALU_DEP_2)
	v_add_nc_u64_e32 v[6:7], s[10:11], v[4:5]
	v_add_nc_u64_e32 v[4:5], s[8:9], v[4:5]
	global_load_b64 v[8:9], v[6:7], off
	global_load_b64 v[10:11], v[4:5], off
	s_wait_loadcnt 0x1
	s_wait_xcnt 0x0
	v_sub_nc_u64_e64 v[4:5], v[8:9], s[2:3]
	s_wait_loadcnt 0x0
	v_add_nc_u64_e32 v[6:7], v[10:11], v[0:1]
	s_delay_alu instid0(VALU_DEP_1)
	v_cmpx_lt_i64_e64 v[6:7], v[4:5]
	s_cbranch_execz .LBB25_13
; %bb.10:                               ;   in Loop: Header=BB25_9 Depth=1
	v_lshl_add_u64 v[8:9], v[6:7], 2, s[14:15]
	v_lshl_add_u64 v[10:11], v[6:7], 3, s[12:13]
	v_mov_b32_e32 v16, 0
	s_mov_b32 s24, 0
.LBB25_11:                              ;   Parent Loop BB25_9 Depth=1
                                        ; =>  This Inner Loop Header: Depth=2
	global_load_b64 v[18:19], v[10:11], off
	global_load_b32 v17, v[8:9], off
	v_add_nc_u64_e32 v[6:7], 16, v[6:7]
	s_wait_xcnt 0x0
	v_add_nc_u64_e32 v[8:9], 64, v[8:9]
	v_add_nc_u64_e32 v[10:11], 0x80, v[10:11]
	s_delay_alu instid0(VALU_DEP_3)
	v_cmp_ge_i64_e32 vcc_lo, v[6:7], v[4:5]
	s_or_b32 s24, vcc_lo, s24
	s_wait_loadcnt 0x1
	v_lshl_add_u64 v[18:19], v[18:19], 2, s[22:23]
	s_wait_loadcnt 0x0
	v_mul_f32_e32 v17, s6, v17
	global_load_b32 v18, v[18:19], off
	s_wait_loadcnt 0x0
	v_fmac_f32_e32 v16, v17, v18
	s_wait_xcnt 0x0
	s_and_not1_b32 exec_lo, exec_lo, s24
	s_cbranch_execnz .LBB25_11
; %bb.12:                               ;   in Loop: Header=BB25_9 Depth=1
	s_or_b32 exec_lo, exec_lo, s24
.LBB25_13:                              ;   in Loop: Header=BB25_9 Depth=1
	s_delay_alu instid0(SALU_CYCLE_1)
	s_or_b32 exec_lo, exec_lo, s17
	ds_bpermute_b32 v4, v12, v16
	s_wait_dscnt 0x0
	v_add_f32_e32 v4, v16, v4
	ds_bpermute_b32 v5, v13, v4
	s_wait_dscnt 0x0
	v_add_f32_e32 v4, v4, v5
	;; [unrolled: 3-line block ×3, first 2 shown]
	ds_bpermute_b32 v5, v15, v4
	s_and_saveexec_b32 s17, s0
	s_cbranch_execz .LBB25_8
; %bb.14:                               ;   in Loop: Header=BB25_9 Depth=1
	s_wait_dscnt 0x0
	v_add_f32_e32 v6, v4, v5
	v_lshl_add_u64 v[4:5], v[2:3], 2, s[18:19]
	s_and_not1_b32 vcc_lo, exec_lo, s1
	s_cbranch_vccnz .LBB25_7
; %bb.15:                               ;   in Loop: Header=BB25_9 Depth=1
	global_load_b32 v7, v[4:5], off
	s_wait_loadcnt 0x0
	v_fmac_f32_e32 v6, s16, v7
	s_branch .LBB25_7
.LBB25_16:
	s_endpgm
	.section	.rodata,"a",@progbits
	.p2align	6, 0x0
	.amdhsa_kernel _ZN9rocsparseL21csrmvn_general_kernelILj256ELj16EllffffEEvbT2_NS_24const_host_device_scalarIT6_EEPKT1_S7_PKS1_PKT3_PKT4_S4_PT5_21rocsparse_index_base_b
		.amdhsa_group_segment_fixed_size 0
		.amdhsa_private_segment_fixed_size 0
		.amdhsa_kernarg_size 344
		.amdhsa_user_sgpr_count 2
		.amdhsa_user_sgpr_dispatch_ptr 0
		.amdhsa_user_sgpr_queue_ptr 0
		.amdhsa_user_sgpr_kernarg_segment_ptr 1
		.amdhsa_user_sgpr_dispatch_id 0
		.amdhsa_user_sgpr_kernarg_preload_length 0
		.amdhsa_user_sgpr_kernarg_preload_offset 0
		.amdhsa_user_sgpr_private_segment_size 0
		.amdhsa_wavefront_size32 1
		.amdhsa_uses_dynamic_stack 0
		.amdhsa_enable_private_segment 0
		.amdhsa_system_sgpr_workgroup_id_x 1
		.amdhsa_system_sgpr_workgroup_id_y 0
		.amdhsa_system_sgpr_workgroup_id_z 0
		.amdhsa_system_sgpr_workgroup_info 0
		.amdhsa_system_vgpr_workitem_id 0
		.amdhsa_next_free_vgpr 20
		.amdhsa_next_free_sgpr 26
		.amdhsa_named_barrier_count 0
		.amdhsa_reserve_vcc 1
		.amdhsa_float_round_mode_32 0
		.amdhsa_float_round_mode_16_64 0
		.amdhsa_float_denorm_mode_32 3
		.amdhsa_float_denorm_mode_16_64 3
		.amdhsa_fp16_overflow 0
		.amdhsa_memory_ordered 1
		.amdhsa_forward_progress 1
		.amdhsa_inst_pref_size 7
		.amdhsa_round_robin_scheduling 0
		.amdhsa_exception_fp_ieee_invalid_op 0
		.amdhsa_exception_fp_denorm_src 0
		.amdhsa_exception_fp_ieee_div_zero 0
		.amdhsa_exception_fp_ieee_overflow 0
		.amdhsa_exception_fp_ieee_underflow 0
		.amdhsa_exception_fp_ieee_inexact 0
		.amdhsa_exception_int_div_zero 0
	.end_amdhsa_kernel
	.section	.text._ZN9rocsparseL21csrmvn_general_kernelILj256ELj16EllffffEEvbT2_NS_24const_host_device_scalarIT6_EEPKT1_S7_PKS1_PKT3_PKT4_S4_PT5_21rocsparse_index_base_b,"axG",@progbits,_ZN9rocsparseL21csrmvn_general_kernelILj256ELj16EllffffEEvbT2_NS_24const_host_device_scalarIT6_EEPKT1_S7_PKS1_PKT3_PKT4_S4_PT5_21rocsparse_index_base_b,comdat
.Lfunc_end25:
	.size	_ZN9rocsparseL21csrmvn_general_kernelILj256ELj16EllffffEEvbT2_NS_24const_host_device_scalarIT6_EEPKT1_S7_PKS1_PKT3_PKT4_S4_PT5_21rocsparse_index_base_b, .Lfunc_end25-_ZN9rocsparseL21csrmvn_general_kernelILj256ELj16EllffffEEvbT2_NS_24const_host_device_scalarIT6_EEPKT1_S7_PKS1_PKT3_PKT4_S4_PT5_21rocsparse_index_base_b
                                        ; -- End function
	.set _ZN9rocsparseL21csrmvn_general_kernelILj256ELj16EllffffEEvbT2_NS_24const_host_device_scalarIT6_EEPKT1_S7_PKS1_PKT3_PKT4_S4_PT5_21rocsparse_index_base_b.num_vgpr, 20
	.set _ZN9rocsparseL21csrmvn_general_kernelILj256ELj16EllffffEEvbT2_NS_24const_host_device_scalarIT6_EEPKT1_S7_PKS1_PKT3_PKT4_S4_PT5_21rocsparse_index_base_b.num_agpr, 0
	.set _ZN9rocsparseL21csrmvn_general_kernelILj256ELj16EllffffEEvbT2_NS_24const_host_device_scalarIT6_EEPKT1_S7_PKS1_PKT3_PKT4_S4_PT5_21rocsparse_index_base_b.numbered_sgpr, 26
	.set _ZN9rocsparseL21csrmvn_general_kernelILj256ELj16EllffffEEvbT2_NS_24const_host_device_scalarIT6_EEPKT1_S7_PKS1_PKT3_PKT4_S4_PT5_21rocsparse_index_base_b.num_named_barrier, 0
	.set _ZN9rocsparseL21csrmvn_general_kernelILj256ELj16EllffffEEvbT2_NS_24const_host_device_scalarIT6_EEPKT1_S7_PKS1_PKT3_PKT4_S4_PT5_21rocsparse_index_base_b.private_seg_size, 0
	.set _ZN9rocsparseL21csrmvn_general_kernelILj256ELj16EllffffEEvbT2_NS_24const_host_device_scalarIT6_EEPKT1_S7_PKS1_PKT3_PKT4_S4_PT5_21rocsparse_index_base_b.uses_vcc, 1
	.set _ZN9rocsparseL21csrmvn_general_kernelILj256ELj16EllffffEEvbT2_NS_24const_host_device_scalarIT6_EEPKT1_S7_PKS1_PKT3_PKT4_S4_PT5_21rocsparse_index_base_b.uses_flat_scratch, 0
	.set _ZN9rocsparseL21csrmvn_general_kernelILj256ELj16EllffffEEvbT2_NS_24const_host_device_scalarIT6_EEPKT1_S7_PKS1_PKT3_PKT4_S4_PT5_21rocsparse_index_base_b.has_dyn_sized_stack, 0
	.set _ZN9rocsparseL21csrmvn_general_kernelILj256ELj16EllffffEEvbT2_NS_24const_host_device_scalarIT6_EEPKT1_S7_PKS1_PKT3_PKT4_S4_PT5_21rocsparse_index_base_b.has_recursion, 0
	.set _ZN9rocsparseL21csrmvn_general_kernelILj256ELj16EllffffEEvbT2_NS_24const_host_device_scalarIT6_EEPKT1_S7_PKS1_PKT3_PKT4_S4_PT5_21rocsparse_index_base_b.has_indirect_call, 0
	.section	.AMDGPU.csdata,"",@progbits
; Kernel info:
; codeLenInByte = 792
; TotalNumSgprs: 28
; NumVgprs: 20
; ScratchSize: 0
; MemoryBound: 0
; FloatMode: 240
; IeeeMode: 1
; LDSByteSize: 0 bytes/workgroup (compile time only)
; SGPRBlocks: 0
; VGPRBlocks: 1
; NumSGPRsForWavesPerEU: 28
; NumVGPRsForWavesPerEU: 20
; NamedBarCnt: 0
; Occupancy: 16
; WaveLimiterHint : 1
; COMPUTE_PGM_RSRC2:SCRATCH_EN: 0
; COMPUTE_PGM_RSRC2:USER_SGPR: 2
; COMPUTE_PGM_RSRC2:TRAP_HANDLER: 0
; COMPUTE_PGM_RSRC2:TGID_X_EN: 1
; COMPUTE_PGM_RSRC2:TGID_Y_EN: 0
; COMPUTE_PGM_RSRC2:TGID_Z_EN: 0
; COMPUTE_PGM_RSRC2:TIDIG_COMP_CNT: 0
	.section	.text._ZN9rocsparseL21csrmvn_general_kernelILj256ELj32EllffffEEvbT2_NS_24const_host_device_scalarIT6_EEPKT1_S7_PKS1_PKT3_PKT4_S4_PT5_21rocsparse_index_base_b,"axG",@progbits,_ZN9rocsparseL21csrmvn_general_kernelILj256ELj32EllffffEEvbT2_NS_24const_host_device_scalarIT6_EEPKT1_S7_PKS1_PKT3_PKT4_S4_PT5_21rocsparse_index_base_b,comdat
	.globl	_ZN9rocsparseL21csrmvn_general_kernelILj256ELj32EllffffEEvbT2_NS_24const_host_device_scalarIT6_EEPKT1_S7_PKS1_PKT3_PKT4_S4_PT5_21rocsparse_index_base_b ; -- Begin function _ZN9rocsparseL21csrmvn_general_kernelILj256ELj32EllffffEEvbT2_NS_24const_host_device_scalarIT6_EEPKT1_S7_PKS1_PKT3_PKT4_S4_PT5_21rocsparse_index_base_b
	.p2align	8
	.type	_ZN9rocsparseL21csrmvn_general_kernelILj256ELj32EllffffEEvbT2_NS_24const_host_device_scalarIT6_EEPKT1_S7_PKS1_PKT3_PKT4_S4_PT5_21rocsparse_index_base_b,@function
_ZN9rocsparseL21csrmvn_general_kernelILj256ELj32EllffffEEvbT2_NS_24const_host_device_scalarIT6_EEPKT1_S7_PKS1_PKT3_PKT4_S4_PT5_21rocsparse_index_base_b: ; @_ZN9rocsparseL21csrmvn_general_kernelILj256ELj32EllffffEEvbT2_NS_24const_host_device_scalarIT6_EEPKT1_S7_PKS1_PKT3_PKT4_S4_PT5_21rocsparse_index_base_b
; %bb.0:
	s_clause 0x2
	s_load_b64 s[2:3], s[0:1], 0x50
	s_load_b64 s[16:17], s[0:1], 0x40
	s_load_b256 s[4:11], s[0:1], 0x8
	s_wait_kmcnt 0x0
	s_bitcmp1_b32 s3, 0
	s_cselect_b32 s3, -1, 0
	s_delay_alu instid0(SALU_CYCLE_1)
	s_and_b32 vcc_lo, exec_lo, s3
	s_xor_b32 s3, s3, -1
	s_cbranch_vccnz .LBB26_2
; %bb.1:
	s_load_b32 s6, s[6:7], 0x0
.LBB26_2:
	s_and_not1_b32 vcc_lo, exec_lo, s3
	s_cbranch_vccnz .LBB26_4
; %bb.3:
	s_load_b32 s16, s[16:17], 0x0
.LBB26_4:
	s_wait_kmcnt 0x0
	s_cmp_neq_f32 s6, 0
	s_cselect_b32 s3, -1, 0
	s_cmp_neq_f32 s16, 1.0
	s_cselect_b32 s7, -1, 0
	s_delay_alu instid0(SALU_CYCLE_1) | instskip(NEXT) | instid1(SALU_CYCLE_1)
	s_or_b32 s3, s3, s7
	s_and_not1_b32 vcc_lo, exec_lo, s3
	s_cbranch_vccnz .LBB26_16
; %bb.5:
	s_bfe_u32 s3, ttmp6, 0x4000c
	s_and_b32 s7, ttmp6, 15
	s_add_co_i32 s3, s3, 1
	s_getreg_b32 s12, hwreg(HW_REG_IB_STS2, 6, 4)
	s_mul_i32 s3, ttmp9, s3
	v_mov_b32_e32 v3, 0
	s_add_co_i32 s7, s7, s3
	s_cmp_eq_u32 s12, 0
	s_cselect_b32 s3, ttmp9, s7
	s_delay_alu instid0(SALU_CYCLE_1) | instskip(SKIP_1) | instid1(VALU_DEP_1)
	v_lshl_or_b32 v1, s3, 8, v0
	s_mov_b32 s3, exec_lo
	v_lshrrev_b32_e32 v2, 5, v1
	s_delay_alu instid0(VALU_DEP_1)
	v_cmpx_gt_i64_e64 s[4:5], v[2:3]
	s_cbranch_execz .LBB26_16
; %bb.6:
	v_mbcnt_lo_u32_b32 v6, -1, 0
	v_dual_mov_b32 v5, v3 :: v_dual_bitop2_b32 v4, 31, v0 bitop3:0x40
	s_mov_b32 s21, 0
	s_clause 0x1
	s_load_b32 s7, s[0:1], 0x58
	s_load_b64 s[18:19], s[0:1], 0x48
	v_xor_b32_e32 v0, 16, v6
	s_mov_b32 s3, s21
	s_clause 0x1
	s_load_b128 s[12:15], s[0:1], 0x28
	s_load_b64 s[22:23], s[0:1], 0x38
	s_wait_xcnt 0x0
	s_ashr_i32 s1, s2, 31
	s_mov_b32 s0, s2
	v_cmp_gt_i32_e32 vcc_lo, 32, v0
	s_lshl_b64 s[24:25], s[0:1], 2
	v_cmp_eq_u32_e64 s0, 31, v4
	v_cndmask_b32_e32 v7, v6, v0, vcc_lo
	v_sub_nc_u64_e64 v[0:1], v[4:5], s[2:3]
	s_delay_alu instid0(VALU_DEP_2) | instskip(NEXT) | instid1(VALU_DEP_1)
	v_dual_lshlrev_b32 v12, 2, v7 :: v_dual_bitop2_b32 v5, 8, v6 bitop3:0x14
	v_cmp_gt_i32_e32 vcc_lo, 32, v5
	v_xor_b32_e32 v8, 4, v6
	s_wait_kmcnt 0x0
	s_lshl_b32 s20, s7, 3
	s_cmp_neq_f32 s16, 0
	s_mov_b32 s7, s21
	v_cndmask_b32_e32 v5, v6, v5, vcc_lo
	v_cmp_gt_i32_e32 vcc_lo, 32, v8
	v_xor_b32_e32 v9, 2, v6
	s_cselect_b32 s1, -1, 0
	s_sub_nc_u64 s[22:23], s[22:23], s[24:25]
	v_dual_cndmask_b32 v8, v6, v8 :: v_dual_lshlrev_b32 v13, 2, v5
	s_delay_alu instid0(VALU_DEP_2) | instskip(SKIP_1) | instid1(VALU_DEP_1)
	v_cmp_gt_i32_e32 vcc_lo, 32, v9
	v_dual_cndmask_b32 v9, v6, v9, vcc_lo :: v_dual_bitop2_b32 v7, 1, v6 bitop3:0x14
	v_cmp_gt_i32_e32 vcc_lo, 32, v7
	s_delay_alu instid0(VALU_DEP_2) | instskip(SKIP_1) | instid1(VALU_DEP_1)
	v_dual_lshlrev_b32 v14, 2, v8 :: v_dual_lshlrev_b32 v15, 2, v9
	v_cndmask_b32_e32 v6, v6, v7, vcc_lo
	v_lshlrev_b32_e32 v16, 2, v6
	s_branch .LBB26_9
.LBB26_7:                               ;   in Loop: Header=BB26_9 Depth=1
	global_store_b32 v[4:5], v6, off
.LBB26_8:                               ;   in Loop: Header=BB26_9 Depth=1
	s_wait_xcnt 0x0
	s_or_b32 exec_lo, exec_lo, s17
	v_add_nc_u64_e32 v[2:3], s[20:21], v[2:3]
	s_delay_alu instid0(VALU_DEP_1) | instskip(SKIP_1) | instid1(SALU_CYCLE_1)
	v_cmp_le_i64_e32 vcc_lo, s[4:5], v[2:3]
	s_or_b32 s7, vcc_lo, s7
	s_and_not1_b32 exec_lo, exec_lo, s7
	s_cbranch_execz .LBB26_16
.LBB26_9:                               ; =>This Loop Header: Depth=1
                                        ;     Child Loop BB26_11 Depth 2
	s_wait_dscnt 0x0
	v_lshlrev_b64_e32 v[4:5], 3, v[2:3]
	v_mov_b32_e32 v17, 0
	s_mov_b32 s17, exec_lo
	s_delay_alu instid0(VALU_DEP_2)
	v_add_nc_u64_e32 v[6:7], s[10:11], v[4:5]
	v_add_nc_u64_e32 v[4:5], s[8:9], v[4:5]
	global_load_b64 v[8:9], v[6:7], off
	global_load_b64 v[10:11], v[4:5], off
	s_wait_loadcnt 0x1
	s_wait_xcnt 0x0
	v_sub_nc_u64_e64 v[4:5], v[8:9], s[2:3]
	s_wait_loadcnt 0x0
	v_add_nc_u64_e32 v[6:7], v[10:11], v[0:1]
	s_delay_alu instid0(VALU_DEP_1)
	v_cmpx_lt_i64_e64 v[6:7], v[4:5]
	s_cbranch_execz .LBB26_13
; %bb.10:                               ;   in Loop: Header=BB26_9 Depth=1
	v_lshl_add_u64 v[8:9], v[6:7], 2, s[14:15]
	v_lshl_add_u64 v[10:11], v[6:7], 3, s[12:13]
	v_mov_b32_e32 v17, 0
	s_mov_b32 s24, 0
.LBB26_11:                              ;   Parent Loop BB26_9 Depth=1
                                        ; =>  This Inner Loop Header: Depth=2
	global_load_b64 v[18:19], v[10:11], off
	global_load_b32 v20, v[8:9], off
	v_add_nc_u64_e32 v[6:7], 32, v[6:7]
	s_wait_xcnt 0x0
	v_add_nc_u64_e32 v[8:9], 0x80, v[8:9]
	v_add_nc_u64_e32 v[10:11], 0x100, v[10:11]
	s_delay_alu instid0(VALU_DEP_3)
	v_cmp_ge_i64_e32 vcc_lo, v[6:7], v[4:5]
	s_or_b32 s24, vcc_lo, s24
	s_wait_loadcnt 0x1
	v_lshl_add_u64 v[18:19], v[18:19], 2, s[22:23]
	global_load_b32 v18, v[18:19], off
	s_wait_loadcnt 0x1
	s_wait_xcnt 0x0
	v_mul_f32_e32 v19, s6, v20
	s_wait_loadcnt 0x0
	s_delay_alu instid0(VALU_DEP_1)
	v_fmac_f32_e32 v17, v19, v18
	s_and_not1_b32 exec_lo, exec_lo, s24
	s_cbranch_execnz .LBB26_11
; %bb.12:                               ;   in Loop: Header=BB26_9 Depth=1
	s_or_b32 exec_lo, exec_lo, s24
.LBB26_13:                              ;   in Loop: Header=BB26_9 Depth=1
	s_delay_alu instid0(SALU_CYCLE_1)
	s_or_b32 exec_lo, exec_lo, s17
	ds_bpermute_b32 v4, v12, v17
	s_wait_dscnt 0x0
	v_add_f32_e32 v4, v17, v4
	ds_bpermute_b32 v5, v13, v4
	s_wait_dscnt 0x0
	v_add_f32_e32 v4, v4, v5
	;; [unrolled: 3-line block ×4, first 2 shown]
	ds_bpermute_b32 v5, v16, v4
	s_and_saveexec_b32 s17, s0
	s_cbranch_execz .LBB26_8
; %bb.14:                               ;   in Loop: Header=BB26_9 Depth=1
	s_wait_dscnt 0x0
	v_add_f32_e32 v6, v4, v5
	v_lshl_add_u64 v[4:5], v[2:3], 2, s[18:19]
	s_and_not1_b32 vcc_lo, exec_lo, s1
	s_cbranch_vccnz .LBB26_7
; %bb.15:                               ;   in Loop: Header=BB26_9 Depth=1
	global_load_b32 v7, v[4:5], off
	s_wait_loadcnt 0x0
	v_fmac_f32_e32 v6, s16, v7
	s_branch .LBB26_7
.LBB26_16:
	s_endpgm
	.section	.rodata,"a",@progbits
	.p2align	6, 0x0
	.amdhsa_kernel _ZN9rocsparseL21csrmvn_general_kernelILj256ELj32EllffffEEvbT2_NS_24const_host_device_scalarIT6_EEPKT1_S7_PKS1_PKT3_PKT4_S4_PT5_21rocsparse_index_base_b
		.amdhsa_group_segment_fixed_size 0
		.amdhsa_private_segment_fixed_size 0
		.amdhsa_kernarg_size 344
		.amdhsa_user_sgpr_count 2
		.amdhsa_user_sgpr_dispatch_ptr 0
		.amdhsa_user_sgpr_queue_ptr 0
		.amdhsa_user_sgpr_kernarg_segment_ptr 1
		.amdhsa_user_sgpr_dispatch_id 0
		.amdhsa_user_sgpr_kernarg_preload_length 0
		.amdhsa_user_sgpr_kernarg_preload_offset 0
		.amdhsa_user_sgpr_private_segment_size 0
		.amdhsa_wavefront_size32 1
		.amdhsa_uses_dynamic_stack 0
		.amdhsa_enable_private_segment 0
		.amdhsa_system_sgpr_workgroup_id_x 1
		.amdhsa_system_sgpr_workgroup_id_y 0
		.amdhsa_system_sgpr_workgroup_id_z 0
		.amdhsa_system_sgpr_workgroup_info 0
		.amdhsa_system_vgpr_workitem_id 0
		.amdhsa_next_free_vgpr 21
		.amdhsa_next_free_sgpr 26
		.amdhsa_named_barrier_count 0
		.amdhsa_reserve_vcc 1
		.amdhsa_float_round_mode_32 0
		.amdhsa_float_round_mode_16_64 0
		.amdhsa_float_denorm_mode_32 3
		.amdhsa_float_denorm_mode_16_64 3
		.amdhsa_fp16_overflow 0
		.amdhsa_memory_ordered 1
		.amdhsa_forward_progress 1
		.amdhsa_inst_pref_size 7
		.amdhsa_round_robin_scheduling 0
		.amdhsa_exception_fp_ieee_invalid_op 0
		.amdhsa_exception_fp_denorm_src 0
		.amdhsa_exception_fp_ieee_div_zero 0
		.amdhsa_exception_fp_ieee_overflow 0
		.amdhsa_exception_fp_ieee_underflow 0
		.amdhsa_exception_fp_ieee_inexact 0
		.amdhsa_exception_int_div_zero 0
	.end_amdhsa_kernel
	.section	.text._ZN9rocsparseL21csrmvn_general_kernelILj256ELj32EllffffEEvbT2_NS_24const_host_device_scalarIT6_EEPKT1_S7_PKS1_PKT3_PKT4_S4_PT5_21rocsparse_index_base_b,"axG",@progbits,_ZN9rocsparseL21csrmvn_general_kernelILj256ELj32EllffffEEvbT2_NS_24const_host_device_scalarIT6_EEPKT1_S7_PKS1_PKT3_PKT4_S4_PT5_21rocsparse_index_base_b,comdat
.Lfunc_end26:
	.size	_ZN9rocsparseL21csrmvn_general_kernelILj256ELj32EllffffEEvbT2_NS_24const_host_device_scalarIT6_EEPKT1_S7_PKS1_PKT3_PKT4_S4_PT5_21rocsparse_index_base_b, .Lfunc_end26-_ZN9rocsparseL21csrmvn_general_kernelILj256ELj32EllffffEEvbT2_NS_24const_host_device_scalarIT6_EEPKT1_S7_PKS1_PKT3_PKT4_S4_PT5_21rocsparse_index_base_b
                                        ; -- End function
	.set _ZN9rocsparseL21csrmvn_general_kernelILj256ELj32EllffffEEvbT2_NS_24const_host_device_scalarIT6_EEPKT1_S7_PKS1_PKT3_PKT4_S4_PT5_21rocsparse_index_base_b.num_vgpr, 21
	.set _ZN9rocsparseL21csrmvn_general_kernelILj256ELj32EllffffEEvbT2_NS_24const_host_device_scalarIT6_EEPKT1_S7_PKS1_PKT3_PKT4_S4_PT5_21rocsparse_index_base_b.num_agpr, 0
	.set _ZN9rocsparseL21csrmvn_general_kernelILj256ELj32EllffffEEvbT2_NS_24const_host_device_scalarIT6_EEPKT1_S7_PKS1_PKT3_PKT4_S4_PT5_21rocsparse_index_base_b.numbered_sgpr, 26
	.set _ZN9rocsparseL21csrmvn_general_kernelILj256ELj32EllffffEEvbT2_NS_24const_host_device_scalarIT6_EEPKT1_S7_PKS1_PKT3_PKT4_S4_PT5_21rocsparse_index_base_b.num_named_barrier, 0
	.set _ZN9rocsparseL21csrmvn_general_kernelILj256ELj32EllffffEEvbT2_NS_24const_host_device_scalarIT6_EEPKT1_S7_PKS1_PKT3_PKT4_S4_PT5_21rocsparse_index_base_b.private_seg_size, 0
	.set _ZN9rocsparseL21csrmvn_general_kernelILj256ELj32EllffffEEvbT2_NS_24const_host_device_scalarIT6_EEPKT1_S7_PKS1_PKT3_PKT4_S4_PT5_21rocsparse_index_base_b.uses_vcc, 1
	.set _ZN9rocsparseL21csrmvn_general_kernelILj256ELj32EllffffEEvbT2_NS_24const_host_device_scalarIT6_EEPKT1_S7_PKS1_PKT3_PKT4_S4_PT5_21rocsparse_index_base_b.uses_flat_scratch, 0
	.set _ZN9rocsparseL21csrmvn_general_kernelILj256ELj32EllffffEEvbT2_NS_24const_host_device_scalarIT6_EEPKT1_S7_PKS1_PKT3_PKT4_S4_PT5_21rocsparse_index_base_b.has_dyn_sized_stack, 0
	.set _ZN9rocsparseL21csrmvn_general_kernelILj256ELj32EllffffEEvbT2_NS_24const_host_device_scalarIT6_EEPKT1_S7_PKS1_PKT3_PKT4_S4_PT5_21rocsparse_index_base_b.has_recursion, 0
	.set _ZN9rocsparseL21csrmvn_general_kernelILj256ELj32EllffffEEvbT2_NS_24const_host_device_scalarIT6_EEPKT1_S7_PKS1_PKT3_PKT4_S4_PT5_21rocsparse_index_base_b.has_indirect_call, 0
	.section	.AMDGPU.csdata,"",@progbits
; Kernel info:
; codeLenInByte = 844
; TotalNumSgprs: 28
; NumVgprs: 21
; ScratchSize: 0
; MemoryBound: 0
; FloatMode: 240
; IeeeMode: 1
; LDSByteSize: 0 bytes/workgroup (compile time only)
; SGPRBlocks: 0
; VGPRBlocks: 1
; NumSGPRsForWavesPerEU: 28
; NumVGPRsForWavesPerEU: 21
; NamedBarCnt: 0
; Occupancy: 16
; WaveLimiterHint : 1
; COMPUTE_PGM_RSRC2:SCRATCH_EN: 0
; COMPUTE_PGM_RSRC2:USER_SGPR: 2
; COMPUTE_PGM_RSRC2:TRAP_HANDLER: 0
; COMPUTE_PGM_RSRC2:TGID_X_EN: 1
; COMPUTE_PGM_RSRC2:TGID_Y_EN: 0
; COMPUTE_PGM_RSRC2:TGID_Z_EN: 0
; COMPUTE_PGM_RSRC2:TIDIG_COMP_CNT: 0
	.section	.text._ZN9rocsparseL21csrmvn_general_kernelILj256ELj64EllffffEEvbT2_NS_24const_host_device_scalarIT6_EEPKT1_S7_PKS1_PKT3_PKT4_S4_PT5_21rocsparse_index_base_b,"axG",@progbits,_ZN9rocsparseL21csrmvn_general_kernelILj256ELj64EllffffEEvbT2_NS_24const_host_device_scalarIT6_EEPKT1_S7_PKS1_PKT3_PKT4_S4_PT5_21rocsparse_index_base_b,comdat
	.globl	_ZN9rocsparseL21csrmvn_general_kernelILj256ELj64EllffffEEvbT2_NS_24const_host_device_scalarIT6_EEPKT1_S7_PKS1_PKT3_PKT4_S4_PT5_21rocsparse_index_base_b ; -- Begin function _ZN9rocsparseL21csrmvn_general_kernelILj256ELj64EllffffEEvbT2_NS_24const_host_device_scalarIT6_EEPKT1_S7_PKS1_PKT3_PKT4_S4_PT5_21rocsparse_index_base_b
	.p2align	8
	.type	_ZN9rocsparseL21csrmvn_general_kernelILj256ELj64EllffffEEvbT2_NS_24const_host_device_scalarIT6_EEPKT1_S7_PKS1_PKT3_PKT4_S4_PT5_21rocsparse_index_base_b,@function
_ZN9rocsparseL21csrmvn_general_kernelILj256ELj64EllffffEEvbT2_NS_24const_host_device_scalarIT6_EEPKT1_S7_PKS1_PKT3_PKT4_S4_PT5_21rocsparse_index_base_b: ; @_ZN9rocsparseL21csrmvn_general_kernelILj256ELj64EllffffEEvbT2_NS_24const_host_device_scalarIT6_EEPKT1_S7_PKS1_PKT3_PKT4_S4_PT5_21rocsparse_index_base_b
; %bb.0:
	s_clause 0x2
	s_load_b64 s[2:3], s[0:1], 0x50
	s_load_b64 s[16:17], s[0:1], 0x40
	s_load_b256 s[4:11], s[0:1], 0x8
	s_wait_kmcnt 0x0
	s_bitcmp1_b32 s3, 0
	s_cselect_b32 s3, -1, 0
	s_delay_alu instid0(SALU_CYCLE_1)
	s_and_b32 vcc_lo, exec_lo, s3
	s_xor_b32 s3, s3, -1
	s_cbranch_vccnz .LBB27_2
; %bb.1:
	s_load_b32 s6, s[6:7], 0x0
.LBB27_2:
	s_and_not1_b32 vcc_lo, exec_lo, s3
	s_cbranch_vccnz .LBB27_4
; %bb.3:
	s_load_b32 s16, s[16:17], 0x0
.LBB27_4:
	s_wait_kmcnt 0x0
	s_cmp_neq_f32 s6, 0
	s_cselect_b32 s3, -1, 0
	s_cmp_neq_f32 s16, 1.0
	s_cselect_b32 s7, -1, 0
	s_delay_alu instid0(SALU_CYCLE_1) | instskip(NEXT) | instid1(SALU_CYCLE_1)
	s_or_b32 s3, s3, s7
	s_and_not1_b32 vcc_lo, exec_lo, s3
	s_cbranch_vccnz .LBB27_16
; %bb.5:
	s_bfe_u32 s3, ttmp6, 0x4000c
	s_and_b32 s7, ttmp6, 15
	s_add_co_i32 s3, s3, 1
	s_getreg_b32 s12, hwreg(HW_REG_IB_STS2, 6, 4)
	s_mul_i32 s3, ttmp9, s3
	v_mov_b32_e32 v3, 0
	s_add_co_i32 s7, s7, s3
	s_cmp_eq_u32 s12, 0
	s_cselect_b32 s3, ttmp9, s7
	s_delay_alu instid0(SALU_CYCLE_1) | instskip(SKIP_1) | instid1(VALU_DEP_1)
	v_lshl_or_b32 v1, s3, 8, v0
	s_mov_b32 s3, exec_lo
	v_lshrrev_b32_e32 v2, 6, v1
	s_delay_alu instid0(VALU_DEP_1)
	v_cmpx_gt_i64_e64 s[4:5], v[2:3]
	s_cbranch_execz .LBB27_16
; %bb.6:
	v_mbcnt_lo_u32_b32 v6, -1, 0
	v_dual_mov_b32 v5, v3 :: v_dual_bitop2_b32 v4, 63, v0 bitop3:0x40
	s_mov_b32 s21, 0
	s_clause 0x3
	s_load_b32 s7, s[0:1], 0x58
	s_load_b64 s[18:19], s[0:1], 0x48
	s_load_b128 s[12:15], s[0:1], 0x28
	s_load_b64 s[22:23], s[0:1], 0x38
	v_xor_b32_e32 v1, 16, v6
	v_or_b32_e32 v0, 32, v6
	s_mov_b32 s3, s21
	s_wait_xcnt 0x0
	s_ashr_i32 s1, s2, 31
	s_mov_b32 s0, s2
	v_cmp_gt_i32_e32 vcc_lo, 32, v0
	s_lshl_b64 s[24:25], s[0:1], 2
	v_cmp_eq_u32_e64 s0, 63, v4
	v_cndmask_b32_e32 v7, v6, v0, vcc_lo
	v_cmp_gt_i32_e32 vcc_lo, 32, v1
	s_wait_kmcnt 0x0
	s_lshl_b32 s20, s7, 2
	v_cndmask_b32_e32 v8, v6, v1, vcc_lo
	v_sub_nc_u64_e64 v[0:1], v[4:5], s[2:3]
	v_dual_lshlrev_b32 v12, 2, v7 :: v_dual_bitop2_b32 v5, 8, v6 bitop3:0x14
	s_delay_alu instid0(VALU_DEP_3) | instskip(SKIP_1) | instid1(VALU_DEP_2)
	v_dual_lshlrev_b32 v13, 2, v8 :: v_dual_bitop2_b32 v7, 4, v6 bitop3:0x14
	s_cmp_neq_f32 s16, 0
	v_cmp_gt_i32_e32 vcc_lo, 32, v5
	v_xor_b32_e32 v8, 2, v6
	s_sub_nc_u64 s[22:23], s[22:23], s[24:25]
	s_cselect_b32 s1, -1, 0
	s_mov_b32 s7, s21
	v_cndmask_b32_e32 v5, v6, v5, vcc_lo
	v_cmp_gt_i32_e32 vcc_lo, 32, v7
	v_dual_cndmask_b32 v7, v6, v7, vcc_lo :: v_dual_bitop2_b32 v9, 1, v6 bitop3:0x14
	v_cmp_gt_i32_e32 vcc_lo, 32, v8
	s_delay_alu instid0(VALU_DEP_2) | instskip(SKIP_1) | instid1(VALU_DEP_4)
	v_dual_lshlrev_b32 v14, 2, v5 :: v_dual_lshlrev_b32 v15, 2, v7
	v_cndmask_b32_e32 v8, v6, v8, vcc_lo
	v_cmp_gt_i32_e32 vcc_lo, 32, v9
	s_delay_alu instid0(VALU_DEP_2) | instskip(NEXT) | instid1(VALU_DEP_1)
	v_dual_cndmask_b32 v6, v6, v9, vcc_lo :: v_dual_lshlrev_b32 v16, 2, v8
	v_lshlrev_b32_e32 v17, 2, v6
	s_branch .LBB27_9
.LBB27_7:                               ;   in Loop: Header=BB27_9 Depth=1
	global_store_b32 v[4:5], v6, off
.LBB27_8:                               ;   in Loop: Header=BB27_9 Depth=1
	s_wait_xcnt 0x0
	s_or_b32 exec_lo, exec_lo, s17
	v_add_nc_u64_e32 v[2:3], s[20:21], v[2:3]
	s_delay_alu instid0(VALU_DEP_1) | instskip(SKIP_1) | instid1(SALU_CYCLE_1)
	v_cmp_le_i64_e32 vcc_lo, s[4:5], v[2:3]
	s_or_b32 s7, vcc_lo, s7
	s_and_not1_b32 exec_lo, exec_lo, s7
	s_cbranch_execz .LBB27_16
.LBB27_9:                               ; =>This Loop Header: Depth=1
                                        ;     Child Loop BB27_11 Depth 2
	s_wait_dscnt 0x0
	v_lshlrev_b64_e32 v[4:5], 3, v[2:3]
	v_mov_b32_e32 v18, 0
	s_mov_b32 s17, exec_lo
	s_delay_alu instid0(VALU_DEP_2)
	v_add_nc_u64_e32 v[6:7], s[10:11], v[4:5]
	v_add_nc_u64_e32 v[4:5], s[8:9], v[4:5]
	global_load_b64 v[8:9], v[6:7], off
	global_load_b64 v[10:11], v[4:5], off
	s_wait_loadcnt 0x1
	s_wait_xcnt 0x0
	v_sub_nc_u64_e64 v[4:5], v[8:9], s[2:3]
	s_wait_loadcnt 0x0
	v_add_nc_u64_e32 v[6:7], v[10:11], v[0:1]
	s_delay_alu instid0(VALU_DEP_1)
	v_cmpx_lt_i64_e64 v[6:7], v[4:5]
	s_cbranch_execz .LBB27_13
; %bb.10:                               ;   in Loop: Header=BB27_9 Depth=1
	v_lshl_add_u64 v[8:9], v[6:7], 2, s[14:15]
	v_lshl_add_u64 v[10:11], v[6:7], 3, s[12:13]
	v_mov_b32_e32 v18, 0
	s_mov_b32 s24, 0
.LBB27_11:                              ;   Parent Loop BB27_9 Depth=1
                                        ; =>  This Inner Loop Header: Depth=2
	global_load_b64 v[20:21], v[10:11], off
	global_load_b32 v19, v[8:9], off
	v_add_nc_u64_e32 v[6:7], 64, v[6:7]
	s_wait_xcnt 0x0
	v_add_nc_u64_e32 v[8:9], 0x100, v[8:9]
	v_add_nc_u64_e32 v[10:11], 0x200, v[10:11]
	s_delay_alu instid0(VALU_DEP_3)
	v_cmp_ge_i64_e32 vcc_lo, v[6:7], v[4:5]
	s_or_b32 s24, vcc_lo, s24
	s_wait_loadcnt 0x1
	v_lshl_add_u64 v[20:21], v[20:21], 2, s[22:23]
	s_wait_loadcnt 0x0
	v_mul_f32_e32 v19, s6, v19
	global_load_b32 v20, v[20:21], off
	s_wait_loadcnt 0x0
	v_fmac_f32_e32 v18, v19, v20
	s_wait_xcnt 0x0
	s_and_not1_b32 exec_lo, exec_lo, s24
	s_cbranch_execnz .LBB27_11
; %bb.12:                               ;   in Loop: Header=BB27_9 Depth=1
	s_or_b32 exec_lo, exec_lo, s24
.LBB27_13:                              ;   in Loop: Header=BB27_9 Depth=1
	s_delay_alu instid0(SALU_CYCLE_1)
	s_or_b32 exec_lo, exec_lo, s17
	ds_bpermute_b32 v4, v12, v18
	s_wait_dscnt 0x0
	v_add_f32_e32 v4, v18, v4
	ds_bpermute_b32 v5, v13, v4
	s_wait_dscnt 0x0
	v_add_f32_e32 v4, v4, v5
	;; [unrolled: 3-line block ×5, first 2 shown]
	ds_bpermute_b32 v5, v17, v4
	s_and_saveexec_b32 s17, s0
	s_cbranch_execz .LBB27_8
; %bb.14:                               ;   in Loop: Header=BB27_9 Depth=1
	s_wait_dscnt 0x0
	v_add_f32_e32 v6, v4, v5
	v_lshl_add_u64 v[4:5], v[2:3], 2, s[18:19]
	s_and_not1_b32 vcc_lo, exec_lo, s1
	s_cbranch_vccnz .LBB27_7
; %bb.15:                               ;   in Loop: Header=BB27_9 Depth=1
	global_load_b32 v7, v[4:5], off
	s_wait_loadcnt 0x0
	v_fmac_f32_e32 v6, s16, v7
	s_branch .LBB27_7
.LBB27_16:
	s_endpgm
	.section	.rodata,"a",@progbits
	.p2align	6, 0x0
	.amdhsa_kernel _ZN9rocsparseL21csrmvn_general_kernelILj256ELj64EllffffEEvbT2_NS_24const_host_device_scalarIT6_EEPKT1_S7_PKS1_PKT3_PKT4_S4_PT5_21rocsparse_index_base_b
		.amdhsa_group_segment_fixed_size 0
		.amdhsa_private_segment_fixed_size 0
		.amdhsa_kernarg_size 344
		.amdhsa_user_sgpr_count 2
		.amdhsa_user_sgpr_dispatch_ptr 0
		.amdhsa_user_sgpr_queue_ptr 0
		.amdhsa_user_sgpr_kernarg_segment_ptr 1
		.amdhsa_user_sgpr_dispatch_id 0
		.amdhsa_user_sgpr_kernarg_preload_length 0
		.amdhsa_user_sgpr_kernarg_preload_offset 0
		.amdhsa_user_sgpr_private_segment_size 0
		.amdhsa_wavefront_size32 1
		.amdhsa_uses_dynamic_stack 0
		.amdhsa_enable_private_segment 0
		.amdhsa_system_sgpr_workgroup_id_x 1
		.amdhsa_system_sgpr_workgroup_id_y 0
		.amdhsa_system_sgpr_workgroup_id_z 0
		.amdhsa_system_sgpr_workgroup_info 0
		.amdhsa_system_vgpr_workitem_id 0
		.amdhsa_next_free_vgpr 22
		.amdhsa_next_free_sgpr 26
		.amdhsa_named_barrier_count 0
		.amdhsa_reserve_vcc 1
		.amdhsa_float_round_mode_32 0
		.amdhsa_float_round_mode_16_64 0
		.amdhsa_float_denorm_mode_32 3
		.amdhsa_float_denorm_mode_16_64 3
		.amdhsa_fp16_overflow 0
		.amdhsa_memory_ordered 1
		.amdhsa_forward_progress 1
		.amdhsa_inst_pref_size 7
		.amdhsa_round_robin_scheduling 0
		.amdhsa_exception_fp_ieee_invalid_op 0
		.amdhsa_exception_fp_denorm_src 0
		.amdhsa_exception_fp_ieee_div_zero 0
		.amdhsa_exception_fp_ieee_overflow 0
		.amdhsa_exception_fp_ieee_underflow 0
		.amdhsa_exception_fp_ieee_inexact 0
		.amdhsa_exception_int_div_zero 0
	.end_amdhsa_kernel
	.section	.text._ZN9rocsparseL21csrmvn_general_kernelILj256ELj64EllffffEEvbT2_NS_24const_host_device_scalarIT6_EEPKT1_S7_PKS1_PKT3_PKT4_S4_PT5_21rocsparse_index_base_b,"axG",@progbits,_ZN9rocsparseL21csrmvn_general_kernelILj256ELj64EllffffEEvbT2_NS_24const_host_device_scalarIT6_EEPKT1_S7_PKS1_PKT3_PKT4_S4_PT5_21rocsparse_index_base_b,comdat
.Lfunc_end27:
	.size	_ZN9rocsparseL21csrmvn_general_kernelILj256ELj64EllffffEEvbT2_NS_24const_host_device_scalarIT6_EEPKT1_S7_PKS1_PKT3_PKT4_S4_PT5_21rocsparse_index_base_b, .Lfunc_end27-_ZN9rocsparseL21csrmvn_general_kernelILj256ELj64EllffffEEvbT2_NS_24const_host_device_scalarIT6_EEPKT1_S7_PKS1_PKT3_PKT4_S4_PT5_21rocsparse_index_base_b
                                        ; -- End function
	.set _ZN9rocsparseL21csrmvn_general_kernelILj256ELj64EllffffEEvbT2_NS_24const_host_device_scalarIT6_EEPKT1_S7_PKS1_PKT3_PKT4_S4_PT5_21rocsparse_index_base_b.num_vgpr, 22
	.set _ZN9rocsparseL21csrmvn_general_kernelILj256ELj64EllffffEEvbT2_NS_24const_host_device_scalarIT6_EEPKT1_S7_PKS1_PKT3_PKT4_S4_PT5_21rocsparse_index_base_b.num_agpr, 0
	.set _ZN9rocsparseL21csrmvn_general_kernelILj256ELj64EllffffEEvbT2_NS_24const_host_device_scalarIT6_EEPKT1_S7_PKS1_PKT3_PKT4_S4_PT5_21rocsparse_index_base_b.numbered_sgpr, 26
	.set _ZN9rocsparseL21csrmvn_general_kernelILj256ELj64EllffffEEvbT2_NS_24const_host_device_scalarIT6_EEPKT1_S7_PKS1_PKT3_PKT4_S4_PT5_21rocsparse_index_base_b.num_named_barrier, 0
	.set _ZN9rocsparseL21csrmvn_general_kernelILj256ELj64EllffffEEvbT2_NS_24const_host_device_scalarIT6_EEPKT1_S7_PKS1_PKT3_PKT4_S4_PT5_21rocsparse_index_base_b.private_seg_size, 0
	.set _ZN9rocsparseL21csrmvn_general_kernelILj256ELj64EllffffEEvbT2_NS_24const_host_device_scalarIT6_EEPKT1_S7_PKS1_PKT3_PKT4_S4_PT5_21rocsparse_index_base_b.uses_vcc, 1
	.set _ZN9rocsparseL21csrmvn_general_kernelILj256ELj64EllffffEEvbT2_NS_24const_host_device_scalarIT6_EEPKT1_S7_PKS1_PKT3_PKT4_S4_PT5_21rocsparse_index_base_b.uses_flat_scratch, 0
	.set _ZN9rocsparseL21csrmvn_general_kernelILj256ELj64EllffffEEvbT2_NS_24const_host_device_scalarIT6_EEPKT1_S7_PKS1_PKT3_PKT4_S4_PT5_21rocsparse_index_base_b.has_dyn_sized_stack, 0
	.set _ZN9rocsparseL21csrmvn_general_kernelILj256ELj64EllffffEEvbT2_NS_24const_host_device_scalarIT6_EEPKT1_S7_PKS1_PKT3_PKT4_S4_PT5_21rocsparse_index_base_b.has_recursion, 0
	.set _ZN9rocsparseL21csrmvn_general_kernelILj256ELj64EllffffEEvbT2_NS_24const_host_device_scalarIT6_EEPKT1_S7_PKS1_PKT3_PKT4_S4_PT5_21rocsparse_index_base_b.has_indirect_call, 0
	.section	.AMDGPU.csdata,"",@progbits
; Kernel info:
; codeLenInByte = 876
; TotalNumSgprs: 28
; NumVgprs: 22
; ScratchSize: 0
; MemoryBound: 0
; FloatMode: 240
; IeeeMode: 1
; LDSByteSize: 0 bytes/workgroup (compile time only)
; SGPRBlocks: 0
; VGPRBlocks: 1
; NumSGPRsForWavesPerEU: 28
; NumVGPRsForWavesPerEU: 22
; NamedBarCnt: 0
; Occupancy: 16
; WaveLimiterHint : 1
; COMPUTE_PGM_RSRC2:SCRATCH_EN: 0
; COMPUTE_PGM_RSRC2:USER_SGPR: 2
; COMPUTE_PGM_RSRC2:TRAP_HANDLER: 0
; COMPUTE_PGM_RSRC2:TGID_X_EN: 1
; COMPUTE_PGM_RSRC2:TGID_Y_EN: 0
; COMPUTE_PGM_RSRC2:TGID_Z_EN: 0
; COMPUTE_PGM_RSRC2:TIDIG_COMP_CNT: 0
	.section	.text._ZN9rocsparseL21csrmvt_general_kernelILj256ELj4EllffffEEvbbT2_NS_24const_host_device_scalarIT6_EEPKT1_S7_PKS1_PKT3_PKT4_PT5_21rocsparse_index_base_b,"axG",@progbits,_ZN9rocsparseL21csrmvt_general_kernelILj256ELj4EllffffEEvbbT2_NS_24const_host_device_scalarIT6_EEPKT1_S7_PKS1_PKT3_PKT4_PT5_21rocsparse_index_base_b,comdat
	.globl	_ZN9rocsparseL21csrmvt_general_kernelILj256ELj4EllffffEEvbbT2_NS_24const_host_device_scalarIT6_EEPKT1_S7_PKS1_PKT3_PKT4_PT5_21rocsparse_index_base_b ; -- Begin function _ZN9rocsparseL21csrmvt_general_kernelILj256ELj4EllffffEEvbbT2_NS_24const_host_device_scalarIT6_EEPKT1_S7_PKS1_PKT3_PKT4_PT5_21rocsparse_index_base_b
	.p2align	8
	.type	_ZN9rocsparseL21csrmvt_general_kernelILj256ELj4EllffffEEvbbT2_NS_24const_host_device_scalarIT6_EEPKT1_S7_PKS1_PKT3_PKT4_PT5_21rocsparse_index_base_b,@function
_ZN9rocsparseL21csrmvt_general_kernelILj256ELj4EllffffEEvbbT2_NS_24const_host_device_scalarIT6_EEPKT1_S7_PKS1_PKT3_PKT4_PT5_21rocsparse_index_base_b: ; @_ZN9rocsparseL21csrmvt_general_kernelILj256ELj4EllffffEEvbbT2_NS_24const_host_device_scalarIT6_EEPKT1_S7_PKS1_PKT3_PKT4_PT5_21rocsparse_index_base_b
; %bb.0:
	s_clause 0x1
	s_load_b64 s[2:3], s[0:1], 0x48
	s_load_b256 s[4:11], s[0:1], 0x8
	s_wait_kmcnt 0x0
	s_bitcmp1_b32 s3, 0
	s_cselect_b32 s3, -1, 0
	s_delay_alu instid0(SALU_CYCLE_1)
	s_and_b32 vcc_lo, exec_lo, s3
	s_cbranch_vccnz .LBB28_2
; %bb.1:
	s_load_b32 s6, s[6:7], 0x0
.LBB28_2:
	s_wait_kmcnt 0x0
	s_cmp_eq_f32 s6, 0
	s_mov_b32 s21, 0
	s_cbranch_scc1 .LBB28_20
; %bb.3:
	s_clause 0x1
	s_load_b32 s3, s[0:1], 0x0
	s_load_b32 s7, s[0:1], 0x50
	s_bfe_u32 s12, ttmp6, 0x4000c
	s_and_b32 s13, ttmp6, 15
	s_add_co_i32 s12, s12, 1
	s_getreg_b32 s14, hwreg(HW_REG_IB_STS2, 6, 4)
	s_mul_i32 s12, ttmp9, s12
	v_mov_b32_e32 v3, 0
	s_add_co_i32 s22, s13, s12
	s_wait_kmcnt 0x0
	s_and_b32 s3, s3, 1
	s_lshl_b32 s20, s7, 6
	s_cmp_eq_u32 s14, 0
	s_load_b256 s[12:19], s[0:1], 0x28
	s_wait_xcnt 0x0
	s_cselect_b32 s0, ttmp9, s22
	s_cmp_eq_u32 s3, 0
	v_lshl_or_b32 v1, s0, 8, v0
	v_and_b32_e32 v0, 3, v0
	s_mov_b32 s1, -1
	s_delay_alu instid0(VALU_DEP_2) | instskip(NEXT) | instid1(VALU_DEP_1)
	v_lshrrev_b32_e32 v2, 2, v1
	v_cmp_gt_i64_e64 s0, s[4:5], v[2:3]
	s_cbranch_scc0 .LBB28_11
; %bb.4:
	s_and_saveexec_b32 s1, s0
	s_cbranch_execz .LBB28_10
; %bb.5:
	v_mov_b32_e32 v1, 0
	s_mov_b32 s3, 0
	v_mov_b64_e32 v[6:7], v[2:3]
	s_mov_b32 s7, s3
	s_delay_alu instid0(VALU_DEP_2)
	v_sub_nc_u64_e64 v[4:5], v[0:1], s[2:3]
	s_branch .LBB28_7
.LBB28_6:                               ;   in Loop: Header=BB28_7 Depth=1
	s_or_b32 exec_lo, exec_lo, s22
	v_add_nc_u64_e32 v[6:7], s[20:21], v[6:7]
	s_delay_alu instid0(VALU_DEP_1) | instskip(SKIP_1) | instid1(SALU_CYCLE_1)
	v_cmp_le_i64_e32 vcc_lo, s[4:5], v[6:7]
	s_or_b32 s7, vcc_lo, s7
	s_and_not1_b32 exec_lo, exec_lo, s7
	s_cbranch_execz .LBB28_10
.LBB28_7:                               ; =>This Loop Header: Depth=1
                                        ;     Child Loop BB28_9 Depth 2
	s_delay_alu instid0(VALU_DEP_2) | instskip(SKIP_1) | instid1(VALU_DEP_1)
	v_lshlrev_b64_e32 v[8:9], 3, v[6:7]
	s_mov_b32 s22, exec_lo
	v_add_nc_u64_e32 v[10:11], s[10:11], v[8:9]
	v_add_nc_u64_e32 v[8:9], s[8:9], v[8:9]
	global_load_b64 v[12:13], v[10:11], off
	global_load_b64 v[14:15], v[8:9], off
	s_wait_loadcnt 0x1
	s_wait_xcnt 0x0
	v_sub_nc_u64_e64 v[8:9], v[12:13], s[2:3]
	s_wait_loadcnt 0x0
	v_add_nc_u64_e32 v[10:11], v[14:15], v[4:5]
	s_delay_alu instid0(VALU_DEP_1)
	v_cmpx_lt_i64_e64 v[10:11], v[8:9]
	s_cbranch_execz .LBB28_6
; %bb.8:                                ;   in Loop: Header=BB28_7 Depth=1
	s_wait_kmcnt 0x0
	v_lshl_add_u64 v[12:13], v[6:7], 2, s[16:17]
	v_lshl_add_u64 v[14:15], v[10:11], 2, s[14:15]
	s_mov_b32 s23, 0
	global_load_b32 v1, v[12:13], off
	s_wait_xcnt 0x0
	v_lshl_add_u64 v[12:13], v[10:11], 3, s[12:13]
	s_wait_loadcnt 0x0
	v_mul_f32_e32 v1, s6, v1
.LBB28_9:                               ;   Parent Loop BB28_7 Depth=1
                                        ; =>  This Inner Loop Header: Depth=2
	global_load_b64 v[16:17], v[12:13], off
	global_load_b32 v18, v[14:15], off
	v_add_nc_u64_e32 v[10:11], 4, v[10:11]
	s_wait_xcnt 0x1
	v_add_nc_u64_e32 v[12:13], 32, v[12:13]
	s_wait_xcnt 0x0
	v_add_nc_u64_e32 v[14:15], 16, v[14:15]
	s_delay_alu instid0(VALU_DEP_3)
	v_cmp_ge_i64_e32 vcc_lo, v[10:11], v[8:9]
	s_or_b32 s23, vcc_lo, s23
	s_wait_loadcnt 0x1
	v_sub_nc_u64_e64 v[16:17], v[16:17], s[2:3]
	s_wait_loadcnt 0x0
	v_mul_f32_e32 v18, v1, v18
	s_delay_alu instid0(VALU_DEP_2)
	v_lshl_add_u64 v[16:17], v[16:17], 2, s[18:19]
	global_atomic_add_f32 v[16:17], v18, off scope:SCOPE_DEV
	s_wait_xcnt 0x0
	s_and_not1_b32 exec_lo, exec_lo, s23
	s_cbranch_execnz .LBB28_9
	s_branch .LBB28_6
.LBB28_10:
	s_or_b32 exec_lo, exec_lo, s1
	s_mov_b32 s1, 0
.LBB28_11:
	s_delay_alu instid0(SALU_CYCLE_1)
	s_and_not1_b32 vcc_lo, exec_lo, s1
	s_cbranch_vccnz .LBB28_20
; %bb.12:
	s_and_saveexec_b32 s1, s0
	s_cbranch_execz .LBB28_20
; %bb.13:
	v_mov_b32_e32 v1, 0
	s_mov_b32 s3, 0
	s_delay_alu instid0(SALU_CYCLE_1) | instskip(NEXT) | instid1(VALU_DEP_1)
	s_mov_b32 s0, s3
	v_sub_nc_u64_e64 v[0:1], v[0:1], s[2:3]
	s_branch .LBB28_15
.LBB28_14:                              ;   in Loop: Header=BB28_15 Depth=1
	s_or_b32 exec_lo, exec_lo, s1
	v_add_nc_u64_e32 v[2:3], s[20:21], v[2:3]
	s_delay_alu instid0(VALU_DEP_1) | instskip(SKIP_1) | instid1(SALU_CYCLE_1)
	v_cmp_le_i64_e32 vcc_lo, s[4:5], v[2:3]
	s_or_b32 s0, vcc_lo, s0
	s_and_not1_b32 exec_lo, exec_lo, s0
	s_cbranch_execz .LBB28_20
.LBB28_15:                              ; =>This Loop Header: Depth=1
                                        ;     Child Loop BB28_18 Depth 2
	v_lshlrev_b64_e32 v[4:5], 3, v[2:3]
	s_mov_b32 s1, exec_lo
	s_delay_alu instid0(VALU_DEP_1)
	v_add_nc_u64_e32 v[6:7], s[10:11], v[4:5]
	v_add_nc_u64_e32 v[4:5], s[8:9], v[4:5]
	global_load_b64 v[8:9], v[6:7], off
	global_load_b64 v[10:11], v[4:5], off
	s_wait_loadcnt 0x1
	s_wait_xcnt 0x0
	v_sub_nc_u64_e64 v[4:5], v[8:9], s[2:3]
	s_wait_loadcnt 0x0
	v_add_nc_u64_e32 v[6:7], v[10:11], v[0:1]
	s_delay_alu instid0(VALU_DEP_1)
	v_cmpx_lt_i64_e64 v[6:7], v[4:5]
	s_cbranch_execz .LBB28_14
; %bb.16:                               ;   in Loop: Header=BB28_15 Depth=1
	s_wait_kmcnt 0x0
	v_lshl_add_u64 v[8:9], v[2:3], 2, s[16:17]
	s_mov_b32 s7, 0
	global_load_b32 v10, v[8:9], off
	s_wait_xcnt 0x0
	v_lshl_add_u64 v[8:9], v[6:7], 3, s[12:13]
	s_wait_loadcnt 0x0
	v_mul_f32_e32 v14, s6, v10
	v_lshl_add_u64 v[10:11], v[6:7], 2, s[14:15]
	s_branch .LBB28_18
.LBB28_17:                              ;   in Loop: Header=BB28_18 Depth=2
	s_wait_xcnt 0x0
	s_or_b32 exec_lo, exec_lo, s22
	v_add_nc_u64_e32 v[6:7], 4, v[6:7]
	v_add_nc_u64_e32 v[8:9], 32, v[8:9]
	v_add_nc_u64_e32 v[10:11], 16, v[10:11]
	s_delay_alu instid0(VALU_DEP_3) | instskip(SKIP_1) | instid1(SALU_CYCLE_1)
	v_cmp_ge_i64_e32 vcc_lo, v[6:7], v[4:5]
	s_or_b32 s7, vcc_lo, s7
	s_and_not1_b32 exec_lo, exec_lo, s7
	s_cbranch_execz .LBB28_14
.LBB28_18:                              ;   Parent Loop BB28_15 Depth=1
                                        ; =>  This Inner Loop Header: Depth=2
	global_load_b64 v[12:13], v[8:9], off
	s_mov_b32 s22, exec_lo
	s_wait_loadcnt 0x0
	v_sub_nc_u64_e64 v[12:13], v[12:13], s[2:3]
	s_wait_xcnt 0x0
	s_delay_alu instid0(VALU_DEP_1)
	v_cmpx_ne_u64_e64 v[12:13], v[2:3]
	s_cbranch_execz .LBB28_17
; %bb.19:                               ;   in Loop: Header=BB28_18 Depth=2
	global_load_b32 v15, v[10:11], off
	v_lshl_add_u64 v[12:13], v[12:13], 2, s[18:19]
	s_wait_loadcnt 0x0
	v_mul_f32_e32 v15, v14, v15
	s_wait_xcnt 0x0
	global_atomic_add_f32 v[12:13], v15, off scope:SCOPE_DEV
	s_branch .LBB28_17
.LBB28_20:
	s_endpgm
	.section	.rodata,"a",@progbits
	.p2align	6, 0x0
	.amdhsa_kernel _ZN9rocsparseL21csrmvt_general_kernelILj256ELj4EllffffEEvbbT2_NS_24const_host_device_scalarIT6_EEPKT1_S7_PKS1_PKT3_PKT4_PT5_21rocsparse_index_base_b
		.amdhsa_group_segment_fixed_size 0
		.amdhsa_private_segment_fixed_size 0
		.amdhsa_kernarg_size 336
		.amdhsa_user_sgpr_count 2
		.amdhsa_user_sgpr_dispatch_ptr 0
		.amdhsa_user_sgpr_queue_ptr 0
		.amdhsa_user_sgpr_kernarg_segment_ptr 1
		.amdhsa_user_sgpr_dispatch_id 0
		.amdhsa_user_sgpr_kernarg_preload_length 0
		.amdhsa_user_sgpr_kernarg_preload_offset 0
		.amdhsa_user_sgpr_private_segment_size 0
		.amdhsa_wavefront_size32 1
		.amdhsa_uses_dynamic_stack 0
		.amdhsa_enable_private_segment 0
		.amdhsa_system_sgpr_workgroup_id_x 1
		.amdhsa_system_sgpr_workgroup_id_y 0
		.amdhsa_system_sgpr_workgroup_id_z 0
		.amdhsa_system_sgpr_workgroup_info 0
		.amdhsa_system_vgpr_workitem_id 0
		.amdhsa_next_free_vgpr 19
		.amdhsa_next_free_sgpr 24
		.amdhsa_named_barrier_count 0
		.amdhsa_reserve_vcc 1
		.amdhsa_float_round_mode_32 0
		.amdhsa_float_round_mode_16_64 0
		.amdhsa_float_denorm_mode_32 3
		.amdhsa_float_denorm_mode_16_64 3
		.amdhsa_fp16_overflow 0
		.amdhsa_memory_ordered 1
		.amdhsa_forward_progress 1
		.amdhsa_inst_pref_size 7
		.amdhsa_round_robin_scheduling 0
		.amdhsa_exception_fp_ieee_invalid_op 0
		.amdhsa_exception_fp_denorm_src 0
		.amdhsa_exception_fp_ieee_div_zero 0
		.amdhsa_exception_fp_ieee_overflow 0
		.amdhsa_exception_fp_ieee_underflow 0
		.amdhsa_exception_fp_ieee_inexact 0
		.amdhsa_exception_int_div_zero 0
	.end_amdhsa_kernel
	.section	.text._ZN9rocsparseL21csrmvt_general_kernelILj256ELj4EllffffEEvbbT2_NS_24const_host_device_scalarIT6_EEPKT1_S7_PKS1_PKT3_PKT4_PT5_21rocsparse_index_base_b,"axG",@progbits,_ZN9rocsparseL21csrmvt_general_kernelILj256ELj4EllffffEEvbbT2_NS_24const_host_device_scalarIT6_EEPKT1_S7_PKS1_PKT3_PKT4_PT5_21rocsparse_index_base_b,comdat
.Lfunc_end28:
	.size	_ZN9rocsparseL21csrmvt_general_kernelILj256ELj4EllffffEEvbbT2_NS_24const_host_device_scalarIT6_EEPKT1_S7_PKS1_PKT3_PKT4_PT5_21rocsparse_index_base_b, .Lfunc_end28-_ZN9rocsparseL21csrmvt_general_kernelILj256ELj4EllffffEEvbbT2_NS_24const_host_device_scalarIT6_EEPKT1_S7_PKS1_PKT3_PKT4_PT5_21rocsparse_index_base_b
                                        ; -- End function
	.set _ZN9rocsparseL21csrmvt_general_kernelILj256ELj4EllffffEEvbbT2_NS_24const_host_device_scalarIT6_EEPKT1_S7_PKS1_PKT3_PKT4_PT5_21rocsparse_index_base_b.num_vgpr, 19
	.set _ZN9rocsparseL21csrmvt_general_kernelILj256ELj4EllffffEEvbbT2_NS_24const_host_device_scalarIT6_EEPKT1_S7_PKS1_PKT3_PKT4_PT5_21rocsparse_index_base_b.num_agpr, 0
	.set _ZN9rocsparseL21csrmvt_general_kernelILj256ELj4EllffffEEvbbT2_NS_24const_host_device_scalarIT6_EEPKT1_S7_PKS1_PKT3_PKT4_PT5_21rocsparse_index_base_b.numbered_sgpr, 24
	.set _ZN9rocsparseL21csrmvt_general_kernelILj256ELj4EllffffEEvbbT2_NS_24const_host_device_scalarIT6_EEPKT1_S7_PKS1_PKT3_PKT4_PT5_21rocsparse_index_base_b.num_named_barrier, 0
	.set _ZN9rocsparseL21csrmvt_general_kernelILj256ELj4EllffffEEvbbT2_NS_24const_host_device_scalarIT6_EEPKT1_S7_PKS1_PKT3_PKT4_PT5_21rocsparse_index_base_b.private_seg_size, 0
	.set _ZN9rocsparseL21csrmvt_general_kernelILj256ELj4EllffffEEvbbT2_NS_24const_host_device_scalarIT6_EEPKT1_S7_PKS1_PKT3_PKT4_PT5_21rocsparse_index_base_b.uses_vcc, 1
	.set _ZN9rocsparseL21csrmvt_general_kernelILj256ELj4EllffffEEvbbT2_NS_24const_host_device_scalarIT6_EEPKT1_S7_PKS1_PKT3_PKT4_PT5_21rocsparse_index_base_b.uses_flat_scratch, 0
	.set _ZN9rocsparseL21csrmvt_general_kernelILj256ELj4EllffffEEvbbT2_NS_24const_host_device_scalarIT6_EEPKT1_S7_PKS1_PKT3_PKT4_PT5_21rocsparse_index_base_b.has_dyn_sized_stack, 0
	.set _ZN9rocsparseL21csrmvt_general_kernelILj256ELj4EllffffEEvbbT2_NS_24const_host_device_scalarIT6_EEPKT1_S7_PKS1_PKT3_PKT4_PT5_21rocsparse_index_base_b.has_recursion, 0
	.set _ZN9rocsparseL21csrmvt_general_kernelILj256ELj4EllffffEEvbbT2_NS_24const_host_device_scalarIT6_EEPKT1_S7_PKS1_PKT3_PKT4_PT5_21rocsparse_index_base_b.has_indirect_call, 0
	.section	.AMDGPU.csdata,"",@progbits
; Kernel info:
; codeLenInByte = 884
; TotalNumSgprs: 26
; NumVgprs: 19
; ScratchSize: 0
; MemoryBound: 0
; FloatMode: 240
; IeeeMode: 1
; LDSByteSize: 0 bytes/workgroup (compile time only)
; SGPRBlocks: 0
; VGPRBlocks: 1
; NumSGPRsForWavesPerEU: 26
; NumVGPRsForWavesPerEU: 19
; NamedBarCnt: 0
; Occupancy: 16
; WaveLimiterHint : 1
; COMPUTE_PGM_RSRC2:SCRATCH_EN: 0
; COMPUTE_PGM_RSRC2:USER_SGPR: 2
; COMPUTE_PGM_RSRC2:TRAP_HANDLER: 0
; COMPUTE_PGM_RSRC2:TGID_X_EN: 1
; COMPUTE_PGM_RSRC2:TGID_Y_EN: 0
; COMPUTE_PGM_RSRC2:TGID_Z_EN: 0
; COMPUTE_PGM_RSRC2:TIDIG_COMP_CNT: 0
	.section	.text._ZN9rocsparseL21csrmvt_general_kernelILj256ELj8EllffffEEvbbT2_NS_24const_host_device_scalarIT6_EEPKT1_S7_PKS1_PKT3_PKT4_PT5_21rocsparse_index_base_b,"axG",@progbits,_ZN9rocsparseL21csrmvt_general_kernelILj256ELj8EllffffEEvbbT2_NS_24const_host_device_scalarIT6_EEPKT1_S7_PKS1_PKT3_PKT4_PT5_21rocsparse_index_base_b,comdat
	.globl	_ZN9rocsparseL21csrmvt_general_kernelILj256ELj8EllffffEEvbbT2_NS_24const_host_device_scalarIT6_EEPKT1_S7_PKS1_PKT3_PKT4_PT5_21rocsparse_index_base_b ; -- Begin function _ZN9rocsparseL21csrmvt_general_kernelILj256ELj8EllffffEEvbbT2_NS_24const_host_device_scalarIT6_EEPKT1_S7_PKS1_PKT3_PKT4_PT5_21rocsparse_index_base_b
	.p2align	8
	.type	_ZN9rocsparseL21csrmvt_general_kernelILj256ELj8EllffffEEvbbT2_NS_24const_host_device_scalarIT6_EEPKT1_S7_PKS1_PKT3_PKT4_PT5_21rocsparse_index_base_b,@function
_ZN9rocsparseL21csrmvt_general_kernelILj256ELj8EllffffEEvbbT2_NS_24const_host_device_scalarIT6_EEPKT1_S7_PKS1_PKT3_PKT4_PT5_21rocsparse_index_base_b: ; @_ZN9rocsparseL21csrmvt_general_kernelILj256ELj8EllffffEEvbbT2_NS_24const_host_device_scalarIT6_EEPKT1_S7_PKS1_PKT3_PKT4_PT5_21rocsparse_index_base_b
; %bb.0:
	s_clause 0x1
	s_load_b64 s[2:3], s[0:1], 0x48
	s_load_b256 s[4:11], s[0:1], 0x8
	s_wait_kmcnt 0x0
	s_bitcmp1_b32 s3, 0
	s_cselect_b32 s3, -1, 0
	s_delay_alu instid0(SALU_CYCLE_1)
	s_and_b32 vcc_lo, exec_lo, s3
	s_cbranch_vccnz .LBB29_2
; %bb.1:
	s_load_b32 s6, s[6:7], 0x0
.LBB29_2:
	s_wait_kmcnt 0x0
	s_cmp_eq_f32 s6, 0
	s_mov_b32 s21, 0
	s_cbranch_scc1 .LBB29_20
; %bb.3:
	s_clause 0x1
	s_load_b32 s3, s[0:1], 0x0
	s_load_b32 s7, s[0:1], 0x50
	s_bfe_u32 s12, ttmp6, 0x4000c
	s_and_b32 s13, ttmp6, 15
	s_add_co_i32 s12, s12, 1
	s_getreg_b32 s14, hwreg(HW_REG_IB_STS2, 6, 4)
	s_mul_i32 s12, ttmp9, s12
	v_mov_b32_e32 v3, 0
	s_add_co_i32 s22, s13, s12
	s_wait_kmcnt 0x0
	s_and_b32 s3, s3, 1
	s_lshl_b32 s20, s7, 5
	s_cmp_eq_u32 s14, 0
	s_load_b256 s[12:19], s[0:1], 0x28
	s_wait_xcnt 0x0
	s_cselect_b32 s0, ttmp9, s22
	s_cmp_eq_u32 s3, 0
	v_lshl_or_b32 v1, s0, 8, v0
	v_and_b32_e32 v0, 7, v0
	s_mov_b32 s1, -1
	s_delay_alu instid0(VALU_DEP_2) | instskip(NEXT) | instid1(VALU_DEP_1)
	v_lshrrev_b32_e32 v2, 3, v1
	v_cmp_gt_i64_e64 s0, s[4:5], v[2:3]
	s_cbranch_scc0 .LBB29_11
; %bb.4:
	s_and_saveexec_b32 s1, s0
	s_cbranch_execz .LBB29_10
; %bb.5:
	v_mov_b32_e32 v1, 0
	s_mov_b32 s3, 0
	v_mov_b64_e32 v[6:7], v[2:3]
	s_mov_b32 s7, s3
	s_delay_alu instid0(VALU_DEP_2)
	v_sub_nc_u64_e64 v[4:5], v[0:1], s[2:3]
	s_branch .LBB29_7
.LBB29_6:                               ;   in Loop: Header=BB29_7 Depth=1
	s_or_b32 exec_lo, exec_lo, s22
	v_add_nc_u64_e32 v[6:7], s[20:21], v[6:7]
	s_delay_alu instid0(VALU_DEP_1) | instskip(SKIP_1) | instid1(SALU_CYCLE_1)
	v_cmp_le_i64_e32 vcc_lo, s[4:5], v[6:7]
	s_or_b32 s7, vcc_lo, s7
	s_and_not1_b32 exec_lo, exec_lo, s7
	s_cbranch_execz .LBB29_10
.LBB29_7:                               ; =>This Loop Header: Depth=1
                                        ;     Child Loop BB29_9 Depth 2
	s_delay_alu instid0(VALU_DEP_2) | instskip(SKIP_1) | instid1(VALU_DEP_1)
	v_lshlrev_b64_e32 v[8:9], 3, v[6:7]
	s_mov_b32 s22, exec_lo
	v_add_nc_u64_e32 v[10:11], s[10:11], v[8:9]
	v_add_nc_u64_e32 v[8:9], s[8:9], v[8:9]
	global_load_b64 v[12:13], v[10:11], off
	global_load_b64 v[14:15], v[8:9], off
	s_wait_loadcnt 0x1
	s_wait_xcnt 0x0
	v_sub_nc_u64_e64 v[8:9], v[12:13], s[2:3]
	s_wait_loadcnt 0x0
	v_add_nc_u64_e32 v[10:11], v[14:15], v[4:5]
	s_delay_alu instid0(VALU_DEP_1)
	v_cmpx_lt_i64_e64 v[10:11], v[8:9]
	s_cbranch_execz .LBB29_6
; %bb.8:                                ;   in Loop: Header=BB29_7 Depth=1
	s_wait_kmcnt 0x0
	v_lshl_add_u64 v[12:13], v[6:7], 2, s[16:17]
	v_lshl_add_u64 v[14:15], v[10:11], 2, s[14:15]
	s_mov_b32 s23, 0
	global_load_b32 v1, v[12:13], off
	s_wait_xcnt 0x0
	v_lshl_add_u64 v[12:13], v[10:11], 3, s[12:13]
	s_wait_loadcnt 0x0
	v_mul_f32_e32 v1, s6, v1
.LBB29_9:                               ;   Parent Loop BB29_7 Depth=1
                                        ; =>  This Inner Loop Header: Depth=2
	global_load_b64 v[16:17], v[12:13], off
	global_load_b32 v18, v[14:15], off
	v_add_nc_u64_e32 v[10:11], 8, v[10:11]
	s_wait_xcnt 0x1
	v_add_nc_u64_e32 v[12:13], 64, v[12:13]
	s_wait_xcnt 0x0
	v_add_nc_u64_e32 v[14:15], 32, v[14:15]
	s_delay_alu instid0(VALU_DEP_3)
	v_cmp_ge_i64_e32 vcc_lo, v[10:11], v[8:9]
	s_or_b32 s23, vcc_lo, s23
	s_wait_loadcnt 0x1
	v_sub_nc_u64_e64 v[16:17], v[16:17], s[2:3]
	s_wait_loadcnt 0x0
	v_mul_f32_e32 v18, v1, v18
	s_delay_alu instid0(VALU_DEP_2)
	v_lshl_add_u64 v[16:17], v[16:17], 2, s[18:19]
	global_atomic_add_f32 v[16:17], v18, off scope:SCOPE_DEV
	s_wait_xcnt 0x0
	s_and_not1_b32 exec_lo, exec_lo, s23
	s_cbranch_execnz .LBB29_9
	s_branch .LBB29_6
.LBB29_10:
	s_or_b32 exec_lo, exec_lo, s1
	s_mov_b32 s1, 0
.LBB29_11:
	s_delay_alu instid0(SALU_CYCLE_1)
	s_and_not1_b32 vcc_lo, exec_lo, s1
	s_cbranch_vccnz .LBB29_20
; %bb.12:
	s_and_saveexec_b32 s1, s0
	s_cbranch_execz .LBB29_20
; %bb.13:
	v_mov_b32_e32 v1, 0
	s_mov_b32 s3, 0
	s_delay_alu instid0(SALU_CYCLE_1) | instskip(NEXT) | instid1(VALU_DEP_1)
	s_mov_b32 s0, s3
	v_sub_nc_u64_e64 v[0:1], v[0:1], s[2:3]
	s_branch .LBB29_15
.LBB29_14:                              ;   in Loop: Header=BB29_15 Depth=1
	s_or_b32 exec_lo, exec_lo, s1
	v_add_nc_u64_e32 v[2:3], s[20:21], v[2:3]
	s_delay_alu instid0(VALU_DEP_1) | instskip(SKIP_1) | instid1(SALU_CYCLE_1)
	v_cmp_le_i64_e32 vcc_lo, s[4:5], v[2:3]
	s_or_b32 s0, vcc_lo, s0
	s_and_not1_b32 exec_lo, exec_lo, s0
	s_cbranch_execz .LBB29_20
.LBB29_15:                              ; =>This Loop Header: Depth=1
                                        ;     Child Loop BB29_18 Depth 2
	v_lshlrev_b64_e32 v[4:5], 3, v[2:3]
	s_mov_b32 s1, exec_lo
	s_delay_alu instid0(VALU_DEP_1)
	v_add_nc_u64_e32 v[6:7], s[10:11], v[4:5]
	v_add_nc_u64_e32 v[4:5], s[8:9], v[4:5]
	global_load_b64 v[8:9], v[6:7], off
	global_load_b64 v[10:11], v[4:5], off
	s_wait_loadcnt 0x1
	s_wait_xcnt 0x0
	v_sub_nc_u64_e64 v[4:5], v[8:9], s[2:3]
	s_wait_loadcnt 0x0
	v_add_nc_u64_e32 v[6:7], v[10:11], v[0:1]
	s_delay_alu instid0(VALU_DEP_1)
	v_cmpx_lt_i64_e64 v[6:7], v[4:5]
	s_cbranch_execz .LBB29_14
; %bb.16:                               ;   in Loop: Header=BB29_15 Depth=1
	s_wait_kmcnt 0x0
	v_lshl_add_u64 v[8:9], v[2:3], 2, s[16:17]
	s_mov_b32 s7, 0
	global_load_b32 v10, v[8:9], off
	s_wait_xcnt 0x0
	v_lshl_add_u64 v[8:9], v[6:7], 3, s[12:13]
	s_wait_loadcnt 0x0
	v_mul_f32_e32 v14, s6, v10
	v_lshl_add_u64 v[10:11], v[6:7], 2, s[14:15]
	s_branch .LBB29_18
.LBB29_17:                              ;   in Loop: Header=BB29_18 Depth=2
	s_wait_xcnt 0x0
	s_or_b32 exec_lo, exec_lo, s22
	v_add_nc_u64_e32 v[6:7], 8, v[6:7]
	v_add_nc_u64_e32 v[8:9], 64, v[8:9]
	v_add_nc_u64_e32 v[10:11], 32, v[10:11]
	s_delay_alu instid0(VALU_DEP_3) | instskip(SKIP_1) | instid1(SALU_CYCLE_1)
	v_cmp_ge_i64_e32 vcc_lo, v[6:7], v[4:5]
	s_or_b32 s7, vcc_lo, s7
	s_and_not1_b32 exec_lo, exec_lo, s7
	s_cbranch_execz .LBB29_14
.LBB29_18:                              ;   Parent Loop BB29_15 Depth=1
                                        ; =>  This Inner Loop Header: Depth=2
	global_load_b64 v[12:13], v[8:9], off
	s_mov_b32 s22, exec_lo
	s_wait_loadcnt 0x0
	v_sub_nc_u64_e64 v[12:13], v[12:13], s[2:3]
	s_wait_xcnt 0x0
	s_delay_alu instid0(VALU_DEP_1)
	v_cmpx_ne_u64_e64 v[12:13], v[2:3]
	s_cbranch_execz .LBB29_17
; %bb.19:                               ;   in Loop: Header=BB29_18 Depth=2
	global_load_b32 v15, v[10:11], off
	v_lshl_add_u64 v[12:13], v[12:13], 2, s[18:19]
	s_wait_loadcnt 0x0
	v_mul_f32_e32 v15, v14, v15
	s_wait_xcnt 0x0
	global_atomic_add_f32 v[12:13], v15, off scope:SCOPE_DEV
	s_branch .LBB29_17
.LBB29_20:
	s_endpgm
	.section	.rodata,"a",@progbits
	.p2align	6, 0x0
	.amdhsa_kernel _ZN9rocsparseL21csrmvt_general_kernelILj256ELj8EllffffEEvbbT2_NS_24const_host_device_scalarIT6_EEPKT1_S7_PKS1_PKT3_PKT4_PT5_21rocsparse_index_base_b
		.amdhsa_group_segment_fixed_size 0
		.amdhsa_private_segment_fixed_size 0
		.amdhsa_kernarg_size 336
		.amdhsa_user_sgpr_count 2
		.amdhsa_user_sgpr_dispatch_ptr 0
		.amdhsa_user_sgpr_queue_ptr 0
		.amdhsa_user_sgpr_kernarg_segment_ptr 1
		.amdhsa_user_sgpr_dispatch_id 0
		.amdhsa_user_sgpr_kernarg_preload_length 0
		.amdhsa_user_sgpr_kernarg_preload_offset 0
		.amdhsa_user_sgpr_private_segment_size 0
		.amdhsa_wavefront_size32 1
		.amdhsa_uses_dynamic_stack 0
		.amdhsa_enable_private_segment 0
		.amdhsa_system_sgpr_workgroup_id_x 1
		.amdhsa_system_sgpr_workgroup_id_y 0
		.amdhsa_system_sgpr_workgroup_id_z 0
		.amdhsa_system_sgpr_workgroup_info 0
		.amdhsa_system_vgpr_workitem_id 0
		.amdhsa_next_free_vgpr 19
		.amdhsa_next_free_sgpr 24
		.amdhsa_named_barrier_count 0
		.amdhsa_reserve_vcc 1
		.amdhsa_float_round_mode_32 0
		.amdhsa_float_round_mode_16_64 0
		.amdhsa_float_denorm_mode_32 3
		.amdhsa_float_denorm_mode_16_64 3
		.amdhsa_fp16_overflow 0
		.amdhsa_memory_ordered 1
		.amdhsa_forward_progress 1
		.amdhsa_inst_pref_size 7
		.amdhsa_round_robin_scheduling 0
		.amdhsa_exception_fp_ieee_invalid_op 0
		.amdhsa_exception_fp_denorm_src 0
		.amdhsa_exception_fp_ieee_div_zero 0
		.amdhsa_exception_fp_ieee_overflow 0
		.amdhsa_exception_fp_ieee_underflow 0
		.amdhsa_exception_fp_ieee_inexact 0
		.amdhsa_exception_int_div_zero 0
	.end_amdhsa_kernel
	.section	.text._ZN9rocsparseL21csrmvt_general_kernelILj256ELj8EllffffEEvbbT2_NS_24const_host_device_scalarIT6_EEPKT1_S7_PKS1_PKT3_PKT4_PT5_21rocsparse_index_base_b,"axG",@progbits,_ZN9rocsparseL21csrmvt_general_kernelILj256ELj8EllffffEEvbbT2_NS_24const_host_device_scalarIT6_EEPKT1_S7_PKS1_PKT3_PKT4_PT5_21rocsparse_index_base_b,comdat
.Lfunc_end29:
	.size	_ZN9rocsparseL21csrmvt_general_kernelILj256ELj8EllffffEEvbbT2_NS_24const_host_device_scalarIT6_EEPKT1_S7_PKS1_PKT3_PKT4_PT5_21rocsparse_index_base_b, .Lfunc_end29-_ZN9rocsparseL21csrmvt_general_kernelILj256ELj8EllffffEEvbbT2_NS_24const_host_device_scalarIT6_EEPKT1_S7_PKS1_PKT3_PKT4_PT5_21rocsparse_index_base_b
                                        ; -- End function
	.set _ZN9rocsparseL21csrmvt_general_kernelILj256ELj8EllffffEEvbbT2_NS_24const_host_device_scalarIT6_EEPKT1_S7_PKS1_PKT3_PKT4_PT5_21rocsparse_index_base_b.num_vgpr, 19
	.set _ZN9rocsparseL21csrmvt_general_kernelILj256ELj8EllffffEEvbbT2_NS_24const_host_device_scalarIT6_EEPKT1_S7_PKS1_PKT3_PKT4_PT5_21rocsparse_index_base_b.num_agpr, 0
	.set _ZN9rocsparseL21csrmvt_general_kernelILj256ELj8EllffffEEvbbT2_NS_24const_host_device_scalarIT6_EEPKT1_S7_PKS1_PKT3_PKT4_PT5_21rocsparse_index_base_b.numbered_sgpr, 24
	.set _ZN9rocsparseL21csrmvt_general_kernelILj256ELj8EllffffEEvbbT2_NS_24const_host_device_scalarIT6_EEPKT1_S7_PKS1_PKT3_PKT4_PT5_21rocsparse_index_base_b.num_named_barrier, 0
	.set _ZN9rocsparseL21csrmvt_general_kernelILj256ELj8EllffffEEvbbT2_NS_24const_host_device_scalarIT6_EEPKT1_S7_PKS1_PKT3_PKT4_PT5_21rocsparse_index_base_b.private_seg_size, 0
	.set _ZN9rocsparseL21csrmvt_general_kernelILj256ELj8EllffffEEvbbT2_NS_24const_host_device_scalarIT6_EEPKT1_S7_PKS1_PKT3_PKT4_PT5_21rocsparse_index_base_b.uses_vcc, 1
	.set _ZN9rocsparseL21csrmvt_general_kernelILj256ELj8EllffffEEvbbT2_NS_24const_host_device_scalarIT6_EEPKT1_S7_PKS1_PKT3_PKT4_PT5_21rocsparse_index_base_b.uses_flat_scratch, 0
	.set _ZN9rocsparseL21csrmvt_general_kernelILj256ELj8EllffffEEvbbT2_NS_24const_host_device_scalarIT6_EEPKT1_S7_PKS1_PKT3_PKT4_PT5_21rocsparse_index_base_b.has_dyn_sized_stack, 0
	.set _ZN9rocsparseL21csrmvt_general_kernelILj256ELj8EllffffEEvbbT2_NS_24const_host_device_scalarIT6_EEPKT1_S7_PKS1_PKT3_PKT4_PT5_21rocsparse_index_base_b.has_recursion, 0
	.set _ZN9rocsparseL21csrmvt_general_kernelILj256ELj8EllffffEEvbbT2_NS_24const_host_device_scalarIT6_EEPKT1_S7_PKS1_PKT3_PKT4_PT5_21rocsparse_index_base_b.has_indirect_call, 0
	.section	.AMDGPU.csdata,"",@progbits
; Kernel info:
; codeLenInByte = 884
; TotalNumSgprs: 26
; NumVgprs: 19
; ScratchSize: 0
; MemoryBound: 0
; FloatMode: 240
; IeeeMode: 1
; LDSByteSize: 0 bytes/workgroup (compile time only)
; SGPRBlocks: 0
; VGPRBlocks: 1
; NumSGPRsForWavesPerEU: 26
; NumVGPRsForWavesPerEU: 19
; NamedBarCnt: 0
; Occupancy: 16
; WaveLimiterHint : 1
; COMPUTE_PGM_RSRC2:SCRATCH_EN: 0
; COMPUTE_PGM_RSRC2:USER_SGPR: 2
; COMPUTE_PGM_RSRC2:TRAP_HANDLER: 0
; COMPUTE_PGM_RSRC2:TGID_X_EN: 1
; COMPUTE_PGM_RSRC2:TGID_Y_EN: 0
; COMPUTE_PGM_RSRC2:TGID_Z_EN: 0
; COMPUTE_PGM_RSRC2:TIDIG_COMP_CNT: 0
	.section	.text._ZN9rocsparseL21csrmvt_general_kernelILj256ELj16EllffffEEvbbT2_NS_24const_host_device_scalarIT6_EEPKT1_S7_PKS1_PKT3_PKT4_PT5_21rocsparse_index_base_b,"axG",@progbits,_ZN9rocsparseL21csrmvt_general_kernelILj256ELj16EllffffEEvbbT2_NS_24const_host_device_scalarIT6_EEPKT1_S7_PKS1_PKT3_PKT4_PT5_21rocsparse_index_base_b,comdat
	.globl	_ZN9rocsparseL21csrmvt_general_kernelILj256ELj16EllffffEEvbbT2_NS_24const_host_device_scalarIT6_EEPKT1_S7_PKS1_PKT3_PKT4_PT5_21rocsparse_index_base_b ; -- Begin function _ZN9rocsparseL21csrmvt_general_kernelILj256ELj16EllffffEEvbbT2_NS_24const_host_device_scalarIT6_EEPKT1_S7_PKS1_PKT3_PKT4_PT5_21rocsparse_index_base_b
	.p2align	8
	.type	_ZN9rocsparseL21csrmvt_general_kernelILj256ELj16EllffffEEvbbT2_NS_24const_host_device_scalarIT6_EEPKT1_S7_PKS1_PKT3_PKT4_PT5_21rocsparse_index_base_b,@function
_ZN9rocsparseL21csrmvt_general_kernelILj256ELj16EllffffEEvbbT2_NS_24const_host_device_scalarIT6_EEPKT1_S7_PKS1_PKT3_PKT4_PT5_21rocsparse_index_base_b: ; @_ZN9rocsparseL21csrmvt_general_kernelILj256ELj16EllffffEEvbbT2_NS_24const_host_device_scalarIT6_EEPKT1_S7_PKS1_PKT3_PKT4_PT5_21rocsparse_index_base_b
; %bb.0:
	s_clause 0x1
	s_load_b64 s[2:3], s[0:1], 0x48
	s_load_b256 s[4:11], s[0:1], 0x8
	s_wait_kmcnt 0x0
	s_bitcmp1_b32 s3, 0
	s_cselect_b32 s3, -1, 0
	s_delay_alu instid0(SALU_CYCLE_1)
	s_and_b32 vcc_lo, exec_lo, s3
	s_cbranch_vccnz .LBB30_2
; %bb.1:
	s_load_b32 s6, s[6:7], 0x0
.LBB30_2:
	s_wait_kmcnt 0x0
	s_cmp_eq_f32 s6, 0
	s_mov_b32 s21, 0
	s_cbranch_scc1 .LBB30_20
; %bb.3:
	s_clause 0x1
	s_load_b32 s3, s[0:1], 0x0
	s_load_b32 s7, s[0:1], 0x50
	s_bfe_u32 s12, ttmp6, 0x4000c
	s_and_b32 s13, ttmp6, 15
	s_add_co_i32 s12, s12, 1
	s_getreg_b32 s14, hwreg(HW_REG_IB_STS2, 6, 4)
	s_mul_i32 s12, ttmp9, s12
	v_mov_b32_e32 v3, 0
	s_add_co_i32 s22, s13, s12
	s_wait_kmcnt 0x0
	s_and_b32 s3, s3, 1
	s_lshl_b32 s20, s7, 4
	s_cmp_eq_u32 s14, 0
	s_load_b256 s[12:19], s[0:1], 0x28
	s_wait_xcnt 0x0
	s_cselect_b32 s0, ttmp9, s22
	s_cmp_eq_u32 s3, 0
	v_lshl_or_b32 v1, s0, 8, v0
	v_and_b32_e32 v0, 15, v0
	s_mov_b32 s1, -1
	s_delay_alu instid0(VALU_DEP_2) | instskip(NEXT) | instid1(VALU_DEP_1)
	v_lshrrev_b32_e32 v2, 4, v1
	v_cmp_gt_i64_e64 s0, s[4:5], v[2:3]
	s_cbranch_scc0 .LBB30_11
; %bb.4:
	s_and_saveexec_b32 s1, s0
	s_cbranch_execz .LBB30_10
; %bb.5:
	v_mov_b32_e32 v1, 0
	s_mov_b32 s3, 0
	v_mov_b64_e32 v[6:7], v[2:3]
	s_mov_b32 s7, s3
	s_delay_alu instid0(VALU_DEP_2)
	v_sub_nc_u64_e64 v[4:5], v[0:1], s[2:3]
	s_branch .LBB30_7
.LBB30_6:                               ;   in Loop: Header=BB30_7 Depth=1
	s_or_b32 exec_lo, exec_lo, s22
	v_add_nc_u64_e32 v[6:7], s[20:21], v[6:7]
	s_delay_alu instid0(VALU_DEP_1) | instskip(SKIP_1) | instid1(SALU_CYCLE_1)
	v_cmp_le_i64_e32 vcc_lo, s[4:5], v[6:7]
	s_or_b32 s7, vcc_lo, s7
	s_and_not1_b32 exec_lo, exec_lo, s7
	s_cbranch_execz .LBB30_10
.LBB30_7:                               ; =>This Loop Header: Depth=1
                                        ;     Child Loop BB30_9 Depth 2
	s_delay_alu instid0(VALU_DEP_2) | instskip(SKIP_1) | instid1(VALU_DEP_1)
	v_lshlrev_b64_e32 v[8:9], 3, v[6:7]
	s_mov_b32 s22, exec_lo
	v_add_nc_u64_e32 v[10:11], s[10:11], v[8:9]
	v_add_nc_u64_e32 v[8:9], s[8:9], v[8:9]
	global_load_b64 v[12:13], v[10:11], off
	global_load_b64 v[14:15], v[8:9], off
	s_wait_loadcnt 0x1
	s_wait_xcnt 0x0
	v_sub_nc_u64_e64 v[8:9], v[12:13], s[2:3]
	s_wait_loadcnt 0x0
	v_add_nc_u64_e32 v[10:11], v[14:15], v[4:5]
	s_delay_alu instid0(VALU_DEP_1)
	v_cmpx_lt_i64_e64 v[10:11], v[8:9]
	s_cbranch_execz .LBB30_6
; %bb.8:                                ;   in Loop: Header=BB30_7 Depth=1
	s_wait_kmcnt 0x0
	v_lshl_add_u64 v[12:13], v[6:7], 2, s[16:17]
	v_lshl_add_u64 v[14:15], v[10:11], 2, s[14:15]
	s_mov_b32 s23, 0
	global_load_b32 v1, v[12:13], off
	s_wait_xcnt 0x0
	v_lshl_add_u64 v[12:13], v[10:11], 3, s[12:13]
	s_wait_loadcnt 0x0
	v_mul_f32_e32 v1, s6, v1
.LBB30_9:                               ;   Parent Loop BB30_7 Depth=1
                                        ; =>  This Inner Loop Header: Depth=2
	global_load_b64 v[16:17], v[12:13], off
	global_load_b32 v18, v[14:15], off
	v_add_nc_u64_e32 v[10:11], 16, v[10:11]
	s_wait_xcnt 0x1
	v_add_nc_u64_e32 v[12:13], 0x80, v[12:13]
	s_wait_xcnt 0x0
	v_add_nc_u64_e32 v[14:15], 64, v[14:15]
	s_delay_alu instid0(VALU_DEP_3)
	v_cmp_ge_i64_e32 vcc_lo, v[10:11], v[8:9]
	s_or_b32 s23, vcc_lo, s23
	s_wait_loadcnt 0x1
	v_sub_nc_u64_e64 v[16:17], v[16:17], s[2:3]
	s_wait_loadcnt 0x0
	v_mul_f32_e32 v18, v1, v18
	s_delay_alu instid0(VALU_DEP_2)
	v_lshl_add_u64 v[16:17], v[16:17], 2, s[18:19]
	global_atomic_add_f32 v[16:17], v18, off scope:SCOPE_DEV
	s_wait_xcnt 0x0
	s_and_not1_b32 exec_lo, exec_lo, s23
	s_cbranch_execnz .LBB30_9
	s_branch .LBB30_6
.LBB30_10:
	s_or_b32 exec_lo, exec_lo, s1
	s_mov_b32 s1, 0
.LBB30_11:
	s_delay_alu instid0(SALU_CYCLE_1)
	s_and_not1_b32 vcc_lo, exec_lo, s1
	s_cbranch_vccnz .LBB30_20
; %bb.12:
	s_and_saveexec_b32 s1, s0
	s_cbranch_execz .LBB30_20
; %bb.13:
	v_mov_b32_e32 v1, 0
	s_mov_b32 s3, 0
	s_delay_alu instid0(SALU_CYCLE_1) | instskip(NEXT) | instid1(VALU_DEP_1)
	s_mov_b32 s0, s3
	v_sub_nc_u64_e64 v[0:1], v[0:1], s[2:3]
	s_branch .LBB30_15
.LBB30_14:                              ;   in Loop: Header=BB30_15 Depth=1
	s_or_b32 exec_lo, exec_lo, s1
	v_add_nc_u64_e32 v[2:3], s[20:21], v[2:3]
	s_delay_alu instid0(VALU_DEP_1) | instskip(SKIP_1) | instid1(SALU_CYCLE_1)
	v_cmp_le_i64_e32 vcc_lo, s[4:5], v[2:3]
	s_or_b32 s0, vcc_lo, s0
	s_and_not1_b32 exec_lo, exec_lo, s0
	s_cbranch_execz .LBB30_20
.LBB30_15:                              ; =>This Loop Header: Depth=1
                                        ;     Child Loop BB30_18 Depth 2
	v_lshlrev_b64_e32 v[4:5], 3, v[2:3]
	s_mov_b32 s1, exec_lo
	s_delay_alu instid0(VALU_DEP_1)
	v_add_nc_u64_e32 v[6:7], s[10:11], v[4:5]
	v_add_nc_u64_e32 v[4:5], s[8:9], v[4:5]
	global_load_b64 v[8:9], v[6:7], off
	global_load_b64 v[10:11], v[4:5], off
	s_wait_loadcnt 0x1
	s_wait_xcnt 0x0
	v_sub_nc_u64_e64 v[4:5], v[8:9], s[2:3]
	s_wait_loadcnt 0x0
	v_add_nc_u64_e32 v[6:7], v[10:11], v[0:1]
	s_delay_alu instid0(VALU_DEP_1)
	v_cmpx_lt_i64_e64 v[6:7], v[4:5]
	s_cbranch_execz .LBB30_14
; %bb.16:                               ;   in Loop: Header=BB30_15 Depth=1
	s_wait_kmcnt 0x0
	v_lshl_add_u64 v[8:9], v[2:3], 2, s[16:17]
	s_mov_b32 s7, 0
	global_load_b32 v10, v[8:9], off
	s_wait_xcnt 0x0
	v_lshl_add_u64 v[8:9], v[6:7], 3, s[12:13]
	s_wait_loadcnt 0x0
	v_mul_f32_e32 v14, s6, v10
	v_lshl_add_u64 v[10:11], v[6:7], 2, s[14:15]
	s_branch .LBB30_18
.LBB30_17:                              ;   in Loop: Header=BB30_18 Depth=2
	s_wait_xcnt 0x0
	s_or_b32 exec_lo, exec_lo, s22
	v_add_nc_u64_e32 v[6:7], 16, v[6:7]
	v_add_nc_u64_e32 v[8:9], 0x80, v[8:9]
	;; [unrolled: 1-line block ×3, first 2 shown]
	s_delay_alu instid0(VALU_DEP_3) | instskip(SKIP_1) | instid1(SALU_CYCLE_1)
	v_cmp_ge_i64_e32 vcc_lo, v[6:7], v[4:5]
	s_or_b32 s7, vcc_lo, s7
	s_and_not1_b32 exec_lo, exec_lo, s7
	s_cbranch_execz .LBB30_14
.LBB30_18:                              ;   Parent Loop BB30_15 Depth=1
                                        ; =>  This Inner Loop Header: Depth=2
	global_load_b64 v[12:13], v[8:9], off
	s_mov_b32 s22, exec_lo
	s_wait_loadcnt 0x0
	v_sub_nc_u64_e64 v[12:13], v[12:13], s[2:3]
	s_wait_xcnt 0x0
	s_delay_alu instid0(VALU_DEP_1)
	v_cmpx_ne_u64_e64 v[12:13], v[2:3]
	s_cbranch_execz .LBB30_17
; %bb.19:                               ;   in Loop: Header=BB30_18 Depth=2
	global_load_b32 v15, v[10:11], off
	v_lshl_add_u64 v[12:13], v[12:13], 2, s[18:19]
	s_wait_loadcnt 0x0
	v_mul_f32_e32 v15, v14, v15
	s_wait_xcnt 0x0
	global_atomic_add_f32 v[12:13], v15, off scope:SCOPE_DEV
	s_branch .LBB30_17
.LBB30_20:
	s_endpgm
	.section	.rodata,"a",@progbits
	.p2align	6, 0x0
	.amdhsa_kernel _ZN9rocsparseL21csrmvt_general_kernelILj256ELj16EllffffEEvbbT2_NS_24const_host_device_scalarIT6_EEPKT1_S7_PKS1_PKT3_PKT4_PT5_21rocsparse_index_base_b
		.amdhsa_group_segment_fixed_size 0
		.amdhsa_private_segment_fixed_size 0
		.amdhsa_kernarg_size 336
		.amdhsa_user_sgpr_count 2
		.amdhsa_user_sgpr_dispatch_ptr 0
		.amdhsa_user_sgpr_queue_ptr 0
		.amdhsa_user_sgpr_kernarg_segment_ptr 1
		.amdhsa_user_sgpr_dispatch_id 0
		.amdhsa_user_sgpr_kernarg_preload_length 0
		.amdhsa_user_sgpr_kernarg_preload_offset 0
		.amdhsa_user_sgpr_private_segment_size 0
		.amdhsa_wavefront_size32 1
		.amdhsa_uses_dynamic_stack 0
		.amdhsa_enable_private_segment 0
		.amdhsa_system_sgpr_workgroup_id_x 1
		.amdhsa_system_sgpr_workgroup_id_y 0
		.amdhsa_system_sgpr_workgroup_id_z 0
		.amdhsa_system_sgpr_workgroup_info 0
		.amdhsa_system_vgpr_workitem_id 0
		.amdhsa_next_free_vgpr 19
		.amdhsa_next_free_sgpr 24
		.amdhsa_named_barrier_count 0
		.amdhsa_reserve_vcc 1
		.amdhsa_float_round_mode_32 0
		.amdhsa_float_round_mode_16_64 0
		.amdhsa_float_denorm_mode_32 3
		.amdhsa_float_denorm_mode_16_64 3
		.amdhsa_fp16_overflow 0
		.amdhsa_memory_ordered 1
		.amdhsa_forward_progress 1
		.amdhsa_inst_pref_size 7
		.amdhsa_round_robin_scheduling 0
		.amdhsa_exception_fp_ieee_invalid_op 0
		.amdhsa_exception_fp_denorm_src 0
		.amdhsa_exception_fp_ieee_div_zero 0
		.amdhsa_exception_fp_ieee_overflow 0
		.amdhsa_exception_fp_ieee_underflow 0
		.amdhsa_exception_fp_ieee_inexact 0
		.amdhsa_exception_int_div_zero 0
	.end_amdhsa_kernel
	.section	.text._ZN9rocsparseL21csrmvt_general_kernelILj256ELj16EllffffEEvbbT2_NS_24const_host_device_scalarIT6_EEPKT1_S7_PKS1_PKT3_PKT4_PT5_21rocsparse_index_base_b,"axG",@progbits,_ZN9rocsparseL21csrmvt_general_kernelILj256ELj16EllffffEEvbbT2_NS_24const_host_device_scalarIT6_EEPKT1_S7_PKS1_PKT3_PKT4_PT5_21rocsparse_index_base_b,comdat
.Lfunc_end30:
	.size	_ZN9rocsparseL21csrmvt_general_kernelILj256ELj16EllffffEEvbbT2_NS_24const_host_device_scalarIT6_EEPKT1_S7_PKS1_PKT3_PKT4_PT5_21rocsparse_index_base_b, .Lfunc_end30-_ZN9rocsparseL21csrmvt_general_kernelILj256ELj16EllffffEEvbbT2_NS_24const_host_device_scalarIT6_EEPKT1_S7_PKS1_PKT3_PKT4_PT5_21rocsparse_index_base_b
                                        ; -- End function
	.set _ZN9rocsparseL21csrmvt_general_kernelILj256ELj16EllffffEEvbbT2_NS_24const_host_device_scalarIT6_EEPKT1_S7_PKS1_PKT3_PKT4_PT5_21rocsparse_index_base_b.num_vgpr, 19
	.set _ZN9rocsparseL21csrmvt_general_kernelILj256ELj16EllffffEEvbbT2_NS_24const_host_device_scalarIT6_EEPKT1_S7_PKS1_PKT3_PKT4_PT5_21rocsparse_index_base_b.num_agpr, 0
	.set _ZN9rocsparseL21csrmvt_general_kernelILj256ELj16EllffffEEvbbT2_NS_24const_host_device_scalarIT6_EEPKT1_S7_PKS1_PKT3_PKT4_PT5_21rocsparse_index_base_b.numbered_sgpr, 24
	.set _ZN9rocsparseL21csrmvt_general_kernelILj256ELj16EllffffEEvbbT2_NS_24const_host_device_scalarIT6_EEPKT1_S7_PKS1_PKT3_PKT4_PT5_21rocsparse_index_base_b.num_named_barrier, 0
	.set _ZN9rocsparseL21csrmvt_general_kernelILj256ELj16EllffffEEvbbT2_NS_24const_host_device_scalarIT6_EEPKT1_S7_PKS1_PKT3_PKT4_PT5_21rocsparse_index_base_b.private_seg_size, 0
	.set _ZN9rocsparseL21csrmvt_general_kernelILj256ELj16EllffffEEvbbT2_NS_24const_host_device_scalarIT6_EEPKT1_S7_PKS1_PKT3_PKT4_PT5_21rocsparse_index_base_b.uses_vcc, 1
	.set _ZN9rocsparseL21csrmvt_general_kernelILj256ELj16EllffffEEvbbT2_NS_24const_host_device_scalarIT6_EEPKT1_S7_PKS1_PKT3_PKT4_PT5_21rocsparse_index_base_b.uses_flat_scratch, 0
	.set _ZN9rocsparseL21csrmvt_general_kernelILj256ELj16EllffffEEvbbT2_NS_24const_host_device_scalarIT6_EEPKT1_S7_PKS1_PKT3_PKT4_PT5_21rocsparse_index_base_b.has_dyn_sized_stack, 0
	.set _ZN9rocsparseL21csrmvt_general_kernelILj256ELj16EllffffEEvbbT2_NS_24const_host_device_scalarIT6_EEPKT1_S7_PKS1_PKT3_PKT4_PT5_21rocsparse_index_base_b.has_recursion, 0
	.set _ZN9rocsparseL21csrmvt_general_kernelILj256ELj16EllffffEEvbbT2_NS_24const_host_device_scalarIT6_EEPKT1_S7_PKS1_PKT3_PKT4_PT5_21rocsparse_index_base_b.has_indirect_call, 0
	.section	.AMDGPU.csdata,"",@progbits
; Kernel info:
; codeLenInByte = 892
; TotalNumSgprs: 26
; NumVgprs: 19
; ScratchSize: 0
; MemoryBound: 0
; FloatMode: 240
; IeeeMode: 1
; LDSByteSize: 0 bytes/workgroup (compile time only)
; SGPRBlocks: 0
; VGPRBlocks: 1
; NumSGPRsForWavesPerEU: 26
; NumVGPRsForWavesPerEU: 19
; NamedBarCnt: 0
; Occupancy: 16
; WaveLimiterHint : 1
; COMPUTE_PGM_RSRC2:SCRATCH_EN: 0
; COMPUTE_PGM_RSRC2:USER_SGPR: 2
; COMPUTE_PGM_RSRC2:TRAP_HANDLER: 0
; COMPUTE_PGM_RSRC2:TGID_X_EN: 1
; COMPUTE_PGM_RSRC2:TGID_Y_EN: 0
; COMPUTE_PGM_RSRC2:TGID_Z_EN: 0
; COMPUTE_PGM_RSRC2:TIDIG_COMP_CNT: 0
	.section	.text._ZN9rocsparseL21csrmvt_general_kernelILj256ELj32EllffffEEvbbT2_NS_24const_host_device_scalarIT6_EEPKT1_S7_PKS1_PKT3_PKT4_PT5_21rocsparse_index_base_b,"axG",@progbits,_ZN9rocsparseL21csrmvt_general_kernelILj256ELj32EllffffEEvbbT2_NS_24const_host_device_scalarIT6_EEPKT1_S7_PKS1_PKT3_PKT4_PT5_21rocsparse_index_base_b,comdat
	.globl	_ZN9rocsparseL21csrmvt_general_kernelILj256ELj32EllffffEEvbbT2_NS_24const_host_device_scalarIT6_EEPKT1_S7_PKS1_PKT3_PKT4_PT5_21rocsparse_index_base_b ; -- Begin function _ZN9rocsparseL21csrmvt_general_kernelILj256ELj32EllffffEEvbbT2_NS_24const_host_device_scalarIT6_EEPKT1_S7_PKS1_PKT3_PKT4_PT5_21rocsparse_index_base_b
	.p2align	8
	.type	_ZN9rocsparseL21csrmvt_general_kernelILj256ELj32EllffffEEvbbT2_NS_24const_host_device_scalarIT6_EEPKT1_S7_PKS1_PKT3_PKT4_PT5_21rocsparse_index_base_b,@function
_ZN9rocsparseL21csrmvt_general_kernelILj256ELj32EllffffEEvbbT2_NS_24const_host_device_scalarIT6_EEPKT1_S7_PKS1_PKT3_PKT4_PT5_21rocsparse_index_base_b: ; @_ZN9rocsparseL21csrmvt_general_kernelILj256ELj32EllffffEEvbbT2_NS_24const_host_device_scalarIT6_EEPKT1_S7_PKS1_PKT3_PKT4_PT5_21rocsparse_index_base_b
; %bb.0:
	s_clause 0x1
	s_load_b64 s[2:3], s[0:1], 0x48
	s_load_b256 s[4:11], s[0:1], 0x8
	s_wait_kmcnt 0x0
	s_bitcmp1_b32 s3, 0
	s_cselect_b32 s3, -1, 0
	s_delay_alu instid0(SALU_CYCLE_1)
	s_and_b32 vcc_lo, exec_lo, s3
	s_cbranch_vccnz .LBB31_2
; %bb.1:
	s_load_b32 s6, s[6:7], 0x0
.LBB31_2:
	s_wait_kmcnt 0x0
	s_cmp_eq_f32 s6, 0
	s_mov_b32 s21, 0
	s_cbranch_scc1 .LBB31_20
; %bb.3:
	s_clause 0x1
	s_load_b32 s3, s[0:1], 0x0
	s_load_b32 s7, s[0:1], 0x50
	s_bfe_u32 s12, ttmp6, 0x4000c
	s_and_b32 s13, ttmp6, 15
	s_add_co_i32 s12, s12, 1
	s_getreg_b32 s14, hwreg(HW_REG_IB_STS2, 6, 4)
	s_mul_i32 s12, ttmp9, s12
	v_mov_b32_e32 v3, 0
	s_add_co_i32 s22, s13, s12
	s_wait_kmcnt 0x0
	s_and_b32 s3, s3, 1
	s_lshl_b32 s20, s7, 3
	s_cmp_eq_u32 s14, 0
	s_load_b256 s[12:19], s[0:1], 0x28
	s_wait_xcnt 0x0
	s_cselect_b32 s0, ttmp9, s22
	s_cmp_eq_u32 s3, 0
	v_lshl_or_b32 v1, s0, 8, v0
	v_and_b32_e32 v0, 31, v0
	s_mov_b32 s1, -1
	s_delay_alu instid0(VALU_DEP_2) | instskip(NEXT) | instid1(VALU_DEP_1)
	v_lshrrev_b32_e32 v2, 5, v1
	v_cmp_gt_i64_e64 s0, s[4:5], v[2:3]
	s_cbranch_scc0 .LBB31_11
; %bb.4:
	s_and_saveexec_b32 s1, s0
	s_cbranch_execz .LBB31_10
; %bb.5:
	v_mov_b32_e32 v1, 0
	s_mov_b32 s3, 0
	v_mov_b64_e32 v[6:7], v[2:3]
	s_mov_b32 s7, s3
	s_delay_alu instid0(VALU_DEP_2)
	v_sub_nc_u64_e64 v[4:5], v[0:1], s[2:3]
	s_branch .LBB31_7
.LBB31_6:                               ;   in Loop: Header=BB31_7 Depth=1
	s_or_b32 exec_lo, exec_lo, s22
	v_add_nc_u64_e32 v[6:7], s[20:21], v[6:7]
	s_delay_alu instid0(VALU_DEP_1) | instskip(SKIP_1) | instid1(SALU_CYCLE_1)
	v_cmp_le_i64_e32 vcc_lo, s[4:5], v[6:7]
	s_or_b32 s7, vcc_lo, s7
	s_and_not1_b32 exec_lo, exec_lo, s7
	s_cbranch_execz .LBB31_10
.LBB31_7:                               ; =>This Loop Header: Depth=1
                                        ;     Child Loop BB31_9 Depth 2
	s_delay_alu instid0(VALU_DEP_2) | instskip(SKIP_1) | instid1(VALU_DEP_1)
	v_lshlrev_b64_e32 v[8:9], 3, v[6:7]
	s_mov_b32 s22, exec_lo
	v_add_nc_u64_e32 v[10:11], s[10:11], v[8:9]
	v_add_nc_u64_e32 v[8:9], s[8:9], v[8:9]
	global_load_b64 v[12:13], v[10:11], off
	global_load_b64 v[14:15], v[8:9], off
	s_wait_loadcnt 0x1
	s_wait_xcnt 0x0
	v_sub_nc_u64_e64 v[8:9], v[12:13], s[2:3]
	s_wait_loadcnt 0x0
	v_add_nc_u64_e32 v[10:11], v[14:15], v[4:5]
	s_delay_alu instid0(VALU_DEP_1)
	v_cmpx_lt_i64_e64 v[10:11], v[8:9]
	s_cbranch_execz .LBB31_6
; %bb.8:                                ;   in Loop: Header=BB31_7 Depth=1
	s_wait_kmcnt 0x0
	v_lshl_add_u64 v[12:13], v[6:7], 2, s[16:17]
	v_lshl_add_u64 v[14:15], v[10:11], 2, s[14:15]
	s_mov_b32 s23, 0
	global_load_b32 v1, v[12:13], off
	s_wait_xcnt 0x0
	v_lshl_add_u64 v[12:13], v[10:11], 3, s[12:13]
	s_wait_loadcnt 0x0
	v_mul_f32_e32 v1, s6, v1
.LBB31_9:                               ;   Parent Loop BB31_7 Depth=1
                                        ; =>  This Inner Loop Header: Depth=2
	global_load_b64 v[16:17], v[12:13], off
	global_load_b32 v18, v[14:15], off
	v_add_nc_u64_e32 v[10:11], 32, v[10:11]
	s_wait_xcnt 0x1
	v_add_nc_u64_e32 v[12:13], 0x100, v[12:13]
	s_wait_xcnt 0x0
	v_add_nc_u64_e32 v[14:15], 0x80, v[14:15]
	s_delay_alu instid0(VALU_DEP_3)
	v_cmp_ge_i64_e32 vcc_lo, v[10:11], v[8:9]
	s_or_b32 s23, vcc_lo, s23
	s_wait_loadcnt 0x1
	v_sub_nc_u64_e64 v[16:17], v[16:17], s[2:3]
	s_wait_loadcnt 0x0
	v_mul_f32_e32 v18, v1, v18
	s_delay_alu instid0(VALU_DEP_2)
	v_lshl_add_u64 v[16:17], v[16:17], 2, s[18:19]
	global_atomic_add_f32 v[16:17], v18, off scope:SCOPE_DEV
	s_wait_xcnt 0x0
	s_and_not1_b32 exec_lo, exec_lo, s23
	s_cbranch_execnz .LBB31_9
	s_branch .LBB31_6
.LBB31_10:
	s_or_b32 exec_lo, exec_lo, s1
	s_mov_b32 s1, 0
.LBB31_11:
	s_delay_alu instid0(SALU_CYCLE_1)
	s_and_not1_b32 vcc_lo, exec_lo, s1
	s_cbranch_vccnz .LBB31_20
; %bb.12:
	s_and_saveexec_b32 s1, s0
	s_cbranch_execz .LBB31_20
; %bb.13:
	v_mov_b32_e32 v1, 0
	s_mov_b32 s3, 0
	s_delay_alu instid0(SALU_CYCLE_1) | instskip(NEXT) | instid1(VALU_DEP_1)
	s_mov_b32 s0, s3
	v_sub_nc_u64_e64 v[0:1], v[0:1], s[2:3]
	s_branch .LBB31_15
.LBB31_14:                              ;   in Loop: Header=BB31_15 Depth=1
	s_or_b32 exec_lo, exec_lo, s1
	v_add_nc_u64_e32 v[2:3], s[20:21], v[2:3]
	s_delay_alu instid0(VALU_DEP_1) | instskip(SKIP_1) | instid1(SALU_CYCLE_1)
	v_cmp_le_i64_e32 vcc_lo, s[4:5], v[2:3]
	s_or_b32 s0, vcc_lo, s0
	s_and_not1_b32 exec_lo, exec_lo, s0
	s_cbranch_execz .LBB31_20
.LBB31_15:                              ; =>This Loop Header: Depth=1
                                        ;     Child Loop BB31_18 Depth 2
	v_lshlrev_b64_e32 v[4:5], 3, v[2:3]
	s_mov_b32 s1, exec_lo
	s_delay_alu instid0(VALU_DEP_1)
	v_add_nc_u64_e32 v[6:7], s[10:11], v[4:5]
	v_add_nc_u64_e32 v[4:5], s[8:9], v[4:5]
	global_load_b64 v[8:9], v[6:7], off
	global_load_b64 v[10:11], v[4:5], off
	s_wait_loadcnt 0x1
	s_wait_xcnt 0x0
	v_sub_nc_u64_e64 v[4:5], v[8:9], s[2:3]
	s_wait_loadcnt 0x0
	v_add_nc_u64_e32 v[6:7], v[10:11], v[0:1]
	s_delay_alu instid0(VALU_DEP_1)
	v_cmpx_lt_i64_e64 v[6:7], v[4:5]
	s_cbranch_execz .LBB31_14
; %bb.16:                               ;   in Loop: Header=BB31_15 Depth=1
	s_wait_kmcnt 0x0
	v_lshl_add_u64 v[8:9], v[2:3], 2, s[16:17]
	s_mov_b32 s7, 0
	global_load_b32 v10, v[8:9], off
	s_wait_xcnt 0x0
	v_lshl_add_u64 v[8:9], v[6:7], 3, s[12:13]
	s_wait_loadcnt 0x0
	v_mul_f32_e32 v14, s6, v10
	v_lshl_add_u64 v[10:11], v[6:7], 2, s[14:15]
	s_branch .LBB31_18
.LBB31_17:                              ;   in Loop: Header=BB31_18 Depth=2
	s_wait_xcnt 0x0
	s_or_b32 exec_lo, exec_lo, s22
	v_add_nc_u64_e32 v[6:7], 32, v[6:7]
	v_add_nc_u64_e32 v[8:9], 0x100, v[8:9]
	;; [unrolled: 1-line block ×3, first 2 shown]
	s_delay_alu instid0(VALU_DEP_3) | instskip(SKIP_1) | instid1(SALU_CYCLE_1)
	v_cmp_ge_i64_e32 vcc_lo, v[6:7], v[4:5]
	s_or_b32 s7, vcc_lo, s7
	s_and_not1_b32 exec_lo, exec_lo, s7
	s_cbranch_execz .LBB31_14
.LBB31_18:                              ;   Parent Loop BB31_15 Depth=1
                                        ; =>  This Inner Loop Header: Depth=2
	global_load_b64 v[12:13], v[8:9], off
	s_mov_b32 s22, exec_lo
	s_wait_loadcnt 0x0
	v_sub_nc_u64_e64 v[12:13], v[12:13], s[2:3]
	s_wait_xcnt 0x0
	s_delay_alu instid0(VALU_DEP_1)
	v_cmpx_ne_u64_e64 v[12:13], v[2:3]
	s_cbranch_execz .LBB31_17
; %bb.19:                               ;   in Loop: Header=BB31_18 Depth=2
	global_load_b32 v15, v[10:11], off
	v_lshl_add_u64 v[12:13], v[12:13], 2, s[18:19]
	s_wait_loadcnt 0x0
	v_mul_f32_e32 v15, v14, v15
	s_wait_xcnt 0x0
	global_atomic_add_f32 v[12:13], v15, off scope:SCOPE_DEV
	s_branch .LBB31_17
.LBB31_20:
	s_endpgm
	.section	.rodata,"a",@progbits
	.p2align	6, 0x0
	.amdhsa_kernel _ZN9rocsparseL21csrmvt_general_kernelILj256ELj32EllffffEEvbbT2_NS_24const_host_device_scalarIT6_EEPKT1_S7_PKS1_PKT3_PKT4_PT5_21rocsparse_index_base_b
		.amdhsa_group_segment_fixed_size 0
		.amdhsa_private_segment_fixed_size 0
		.amdhsa_kernarg_size 336
		.amdhsa_user_sgpr_count 2
		.amdhsa_user_sgpr_dispatch_ptr 0
		.amdhsa_user_sgpr_queue_ptr 0
		.amdhsa_user_sgpr_kernarg_segment_ptr 1
		.amdhsa_user_sgpr_dispatch_id 0
		.amdhsa_user_sgpr_kernarg_preload_length 0
		.amdhsa_user_sgpr_kernarg_preload_offset 0
		.amdhsa_user_sgpr_private_segment_size 0
		.amdhsa_wavefront_size32 1
		.amdhsa_uses_dynamic_stack 0
		.amdhsa_enable_private_segment 0
		.amdhsa_system_sgpr_workgroup_id_x 1
		.amdhsa_system_sgpr_workgroup_id_y 0
		.amdhsa_system_sgpr_workgroup_id_z 0
		.amdhsa_system_sgpr_workgroup_info 0
		.amdhsa_system_vgpr_workitem_id 0
		.amdhsa_next_free_vgpr 19
		.amdhsa_next_free_sgpr 24
		.amdhsa_named_barrier_count 0
		.amdhsa_reserve_vcc 1
		.amdhsa_float_round_mode_32 0
		.amdhsa_float_round_mode_16_64 0
		.amdhsa_float_denorm_mode_32 3
		.amdhsa_float_denorm_mode_16_64 3
		.amdhsa_fp16_overflow 0
		.amdhsa_memory_ordered 1
		.amdhsa_forward_progress 1
		.amdhsa_inst_pref_size 8
		.amdhsa_round_robin_scheduling 0
		.amdhsa_exception_fp_ieee_invalid_op 0
		.amdhsa_exception_fp_denorm_src 0
		.amdhsa_exception_fp_ieee_div_zero 0
		.amdhsa_exception_fp_ieee_overflow 0
		.amdhsa_exception_fp_ieee_underflow 0
		.amdhsa_exception_fp_ieee_inexact 0
		.amdhsa_exception_int_div_zero 0
	.end_amdhsa_kernel
	.section	.text._ZN9rocsparseL21csrmvt_general_kernelILj256ELj32EllffffEEvbbT2_NS_24const_host_device_scalarIT6_EEPKT1_S7_PKS1_PKT3_PKT4_PT5_21rocsparse_index_base_b,"axG",@progbits,_ZN9rocsparseL21csrmvt_general_kernelILj256ELj32EllffffEEvbbT2_NS_24const_host_device_scalarIT6_EEPKT1_S7_PKS1_PKT3_PKT4_PT5_21rocsparse_index_base_b,comdat
.Lfunc_end31:
	.size	_ZN9rocsparseL21csrmvt_general_kernelILj256ELj32EllffffEEvbbT2_NS_24const_host_device_scalarIT6_EEPKT1_S7_PKS1_PKT3_PKT4_PT5_21rocsparse_index_base_b, .Lfunc_end31-_ZN9rocsparseL21csrmvt_general_kernelILj256ELj32EllffffEEvbbT2_NS_24const_host_device_scalarIT6_EEPKT1_S7_PKS1_PKT3_PKT4_PT5_21rocsparse_index_base_b
                                        ; -- End function
	.set _ZN9rocsparseL21csrmvt_general_kernelILj256ELj32EllffffEEvbbT2_NS_24const_host_device_scalarIT6_EEPKT1_S7_PKS1_PKT3_PKT4_PT5_21rocsparse_index_base_b.num_vgpr, 19
	.set _ZN9rocsparseL21csrmvt_general_kernelILj256ELj32EllffffEEvbbT2_NS_24const_host_device_scalarIT6_EEPKT1_S7_PKS1_PKT3_PKT4_PT5_21rocsparse_index_base_b.num_agpr, 0
	.set _ZN9rocsparseL21csrmvt_general_kernelILj256ELj32EllffffEEvbbT2_NS_24const_host_device_scalarIT6_EEPKT1_S7_PKS1_PKT3_PKT4_PT5_21rocsparse_index_base_b.numbered_sgpr, 24
	.set _ZN9rocsparseL21csrmvt_general_kernelILj256ELj32EllffffEEvbbT2_NS_24const_host_device_scalarIT6_EEPKT1_S7_PKS1_PKT3_PKT4_PT5_21rocsparse_index_base_b.num_named_barrier, 0
	.set _ZN9rocsparseL21csrmvt_general_kernelILj256ELj32EllffffEEvbbT2_NS_24const_host_device_scalarIT6_EEPKT1_S7_PKS1_PKT3_PKT4_PT5_21rocsparse_index_base_b.private_seg_size, 0
	.set _ZN9rocsparseL21csrmvt_general_kernelILj256ELj32EllffffEEvbbT2_NS_24const_host_device_scalarIT6_EEPKT1_S7_PKS1_PKT3_PKT4_PT5_21rocsparse_index_base_b.uses_vcc, 1
	.set _ZN9rocsparseL21csrmvt_general_kernelILj256ELj32EllffffEEvbbT2_NS_24const_host_device_scalarIT6_EEPKT1_S7_PKS1_PKT3_PKT4_PT5_21rocsparse_index_base_b.uses_flat_scratch, 0
	.set _ZN9rocsparseL21csrmvt_general_kernelILj256ELj32EllffffEEvbbT2_NS_24const_host_device_scalarIT6_EEPKT1_S7_PKS1_PKT3_PKT4_PT5_21rocsparse_index_base_b.has_dyn_sized_stack, 0
	.set _ZN9rocsparseL21csrmvt_general_kernelILj256ELj32EllffffEEvbbT2_NS_24const_host_device_scalarIT6_EEPKT1_S7_PKS1_PKT3_PKT4_PT5_21rocsparse_index_base_b.has_recursion, 0
	.set _ZN9rocsparseL21csrmvt_general_kernelILj256ELj32EllffffEEvbbT2_NS_24const_host_device_scalarIT6_EEPKT1_S7_PKS1_PKT3_PKT4_PT5_21rocsparse_index_base_b.has_indirect_call, 0
	.section	.AMDGPU.csdata,"",@progbits
; Kernel info:
; codeLenInByte = 900
; TotalNumSgprs: 26
; NumVgprs: 19
; ScratchSize: 0
; MemoryBound: 0
; FloatMode: 240
; IeeeMode: 1
; LDSByteSize: 0 bytes/workgroup (compile time only)
; SGPRBlocks: 0
; VGPRBlocks: 1
; NumSGPRsForWavesPerEU: 26
; NumVGPRsForWavesPerEU: 19
; NamedBarCnt: 0
; Occupancy: 16
; WaveLimiterHint : 1
; COMPUTE_PGM_RSRC2:SCRATCH_EN: 0
; COMPUTE_PGM_RSRC2:USER_SGPR: 2
; COMPUTE_PGM_RSRC2:TRAP_HANDLER: 0
; COMPUTE_PGM_RSRC2:TGID_X_EN: 1
; COMPUTE_PGM_RSRC2:TGID_Y_EN: 0
; COMPUTE_PGM_RSRC2:TGID_Z_EN: 0
; COMPUTE_PGM_RSRC2:TIDIG_COMP_CNT: 0
	.section	.text._ZN9rocsparseL21csrmvt_general_kernelILj256ELj64EllffffEEvbbT2_NS_24const_host_device_scalarIT6_EEPKT1_S7_PKS1_PKT3_PKT4_PT5_21rocsparse_index_base_b,"axG",@progbits,_ZN9rocsparseL21csrmvt_general_kernelILj256ELj64EllffffEEvbbT2_NS_24const_host_device_scalarIT6_EEPKT1_S7_PKS1_PKT3_PKT4_PT5_21rocsparse_index_base_b,comdat
	.globl	_ZN9rocsparseL21csrmvt_general_kernelILj256ELj64EllffffEEvbbT2_NS_24const_host_device_scalarIT6_EEPKT1_S7_PKS1_PKT3_PKT4_PT5_21rocsparse_index_base_b ; -- Begin function _ZN9rocsparseL21csrmvt_general_kernelILj256ELj64EllffffEEvbbT2_NS_24const_host_device_scalarIT6_EEPKT1_S7_PKS1_PKT3_PKT4_PT5_21rocsparse_index_base_b
	.p2align	8
	.type	_ZN9rocsparseL21csrmvt_general_kernelILj256ELj64EllffffEEvbbT2_NS_24const_host_device_scalarIT6_EEPKT1_S7_PKS1_PKT3_PKT4_PT5_21rocsparse_index_base_b,@function
_ZN9rocsparseL21csrmvt_general_kernelILj256ELj64EllffffEEvbbT2_NS_24const_host_device_scalarIT6_EEPKT1_S7_PKS1_PKT3_PKT4_PT5_21rocsparse_index_base_b: ; @_ZN9rocsparseL21csrmvt_general_kernelILj256ELj64EllffffEEvbbT2_NS_24const_host_device_scalarIT6_EEPKT1_S7_PKS1_PKT3_PKT4_PT5_21rocsparse_index_base_b
; %bb.0:
	s_clause 0x1
	s_load_b64 s[2:3], s[0:1], 0x48
	s_load_b256 s[4:11], s[0:1], 0x8
	s_wait_kmcnt 0x0
	s_bitcmp1_b32 s3, 0
	s_cselect_b32 s3, -1, 0
	s_delay_alu instid0(SALU_CYCLE_1)
	s_and_b32 vcc_lo, exec_lo, s3
	s_cbranch_vccnz .LBB32_2
; %bb.1:
	s_load_b32 s6, s[6:7], 0x0
.LBB32_2:
	s_wait_kmcnt 0x0
	s_cmp_eq_f32 s6, 0
	s_mov_b32 s21, 0
	s_cbranch_scc1 .LBB32_20
; %bb.3:
	s_clause 0x1
	s_load_b32 s3, s[0:1], 0x0
	s_load_b32 s7, s[0:1], 0x50
	s_bfe_u32 s12, ttmp6, 0x4000c
	s_and_b32 s13, ttmp6, 15
	s_add_co_i32 s12, s12, 1
	s_getreg_b32 s14, hwreg(HW_REG_IB_STS2, 6, 4)
	s_mul_i32 s12, ttmp9, s12
	v_mov_b32_e32 v3, 0
	s_add_co_i32 s22, s13, s12
	s_wait_kmcnt 0x0
	s_and_b32 s3, s3, 1
	s_lshl_b32 s20, s7, 2
	s_cmp_eq_u32 s14, 0
	s_load_b256 s[12:19], s[0:1], 0x28
	s_wait_xcnt 0x0
	s_cselect_b32 s0, ttmp9, s22
	s_cmp_eq_u32 s3, 0
	v_lshl_or_b32 v1, s0, 8, v0
	v_and_b32_e32 v0, 63, v0
	s_mov_b32 s1, -1
	s_delay_alu instid0(VALU_DEP_2) | instskip(NEXT) | instid1(VALU_DEP_1)
	v_lshrrev_b32_e32 v2, 6, v1
	v_cmp_gt_i64_e64 s0, s[4:5], v[2:3]
	s_cbranch_scc0 .LBB32_11
; %bb.4:
	s_and_saveexec_b32 s1, s0
	s_cbranch_execz .LBB32_10
; %bb.5:
	v_mov_b32_e32 v1, 0
	s_mov_b32 s3, 0
	v_mov_b64_e32 v[6:7], v[2:3]
	s_mov_b32 s7, s3
	s_delay_alu instid0(VALU_DEP_2)
	v_sub_nc_u64_e64 v[4:5], v[0:1], s[2:3]
	s_branch .LBB32_7
.LBB32_6:                               ;   in Loop: Header=BB32_7 Depth=1
	s_or_b32 exec_lo, exec_lo, s22
	v_add_nc_u64_e32 v[6:7], s[20:21], v[6:7]
	s_delay_alu instid0(VALU_DEP_1) | instskip(SKIP_1) | instid1(SALU_CYCLE_1)
	v_cmp_le_i64_e32 vcc_lo, s[4:5], v[6:7]
	s_or_b32 s7, vcc_lo, s7
	s_and_not1_b32 exec_lo, exec_lo, s7
	s_cbranch_execz .LBB32_10
.LBB32_7:                               ; =>This Loop Header: Depth=1
                                        ;     Child Loop BB32_9 Depth 2
	s_delay_alu instid0(VALU_DEP_2) | instskip(SKIP_1) | instid1(VALU_DEP_1)
	v_lshlrev_b64_e32 v[8:9], 3, v[6:7]
	s_mov_b32 s22, exec_lo
	v_add_nc_u64_e32 v[10:11], s[10:11], v[8:9]
	v_add_nc_u64_e32 v[8:9], s[8:9], v[8:9]
	global_load_b64 v[12:13], v[10:11], off
	global_load_b64 v[14:15], v[8:9], off
	s_wait_loadcnt 0x1
	s_wait_xcnt 0x0
	v_sub_nc_u64_e64 v[8:9], v[12:13], s[2:3]
	s_wait_loadcnt 0x0
	v_add_nc_u64_e32 v[10:11], v[14:15], v[4:5]
	s_delay_alu instid0(VALU_DEP_1)
	v_cmpx_lt_i64_e64 v[10:11], v[8:9]
	s_cbranch_execz .LBB32_6
; %bb.8:                                ;   in Loop: Header=BB32_7 Depth=1
	s_wait_kmcnt 0x0
	v_lshl_add_u64 v[12:13], v[6:7], 2, s[16:17]
	v_lshl_add_u64 v[14:15], v[10:11], 2, s[14:15]
	s_mov_b32 s23, 0
	global_load_b32 v1, v[12:13], off
	s_wait_xcnt 0x0
	v_lshl_add_u64 v[12:13], v[10:11], 3, s[12:13]
	s_wait_loadcnt 0x0
	v_mul_f32_e32 v1, s6, v1
.LBB32_9:                               ;   Parent Loop BB32_7 Depth=1
                                        ; =>  This Inner Loop Header: Depth=2
	global_load_b64 v[16:17], v[12:13], off
	global_load_b32 v18, v[14:15], off
	v_add_nc_u64_e32 v[10:11], 64, v[10:11]
	s_wait_xcnt 0x1
	v_add_nc_u64_e32 v[12:13], 0x200, v[12:13]
	s_wait_xcnt 0x0
	v_add_nc_u64_e32 v[14:15], 0x100, v[14:15]
	s_delay_alu instid0(VALU_DEP_3)
	v_cmp_ge_i64_e32 vcc_lo, v[10:11], v[8:9]
	s_or_b32 s23, vcc_lo, s23
	s_wait_loadcnt 0x1
	v_sub_nc_u64_e64 v[16:17], v[16:17], s[2:3]
	s_wait_loadcnt 0x0
	v_mul_f32_e32 v18, v1, v18
	s_delay_alu instid0(VALU_DEP_2)
	v_lshl_add_u64 v[16:17], v[16:17], 2, s[18:19]
	global_atomic_add_f32 v[16:17], v18, off scope:SCOPE_DEV
	s_wait_xcnt 0x0
	s_and_not1_b32 exec_lo, exec_lo, s23
	s_cbranch_execnz .LBB32_9
	s_branch .LBB32_6
.LBB32_10:
	s_or_b32 exec_lo, exec_lo, s1
	s_mov_b32 s1, 0
.LBB32_11:
	s_delay_alu instid0(SALU_CYCLE_1)
	s_and_not1_b32 vcc_lo, exec_lo, s1
	s_cbranch_vccnz .LBB32_20
; %bb.12:
	s_and_saveexec_b32 s1, s0
	s_cbranch_execz .LBB32_20
; %bb.13:
	v_mov_b32_e32 v1, 0
	s_mov_b32 s3, 0
	s_delay_alu instid0(SALU_CYCLE_1) | instskip(NEXT) | instid1(VALU_DEP_1)
	s_mov_b32 s0, s3
	v_sub_nc_u64_e64 v[0:1], v[0:1], s[2:3]
	s_branch .LBB32_15
.LBB32_14:                              ;   in Loop: Header=BB32_15 Depth=1
	s_or_b32 exec_lo, exec_lo, s1
	v_add_nc_u64_e32 v[2:3], s[20:21], v[2:3]
	s_delay_alu instid0(VALU_DEP_1) | instskip(SKIP_1) | instid1(SALU_CYCLE_1)
	v_cmp_le_i64_e32 vcc_lo, s[4:5], v[2:3]
	s_or_b32 s0, vcc_lo, s0
	s_and_not1_b32 exec_lo, exec_lo, s0
	s_cbranch_execz .LBB32_20
.LBB32_15:                              ; =>This Loop Header: Depth=1
                                        ;     Child Loop BB32_18 Depth 2
	v_lshlrev_b64_e32 v[4:5], 3, v[2:3]
	s_mov_b32 s1, exec_lo
	s_delay_alu instid0(VALU_DEP_1)
	v_add_nc_u64_e32 v[6:7], s[10:11], v[4:5]
	v_add_nc_u64_e32 v[4:5], s[8:9], v[4:5]
	global_load_b64 v[8:9], v[6:7], off
	global_load_b64 v[10:11], v[4:5], off
	s_wait_loadcnt 0x1
	s_wait_xcnt 0x0
	v_sub_nc_u64_e64 v[4:5], v[8:9], s[2:3]
	s_wait_loadcnt 0x0
	v_add_nc_u64_e32 v[6:7], v[10:11], v[0:1]
	s_delay_alu instid0(VALU_DEP_1)
	v_cmpx_lt_i64_e64 v[6:7], v[4:5]
	s_cbranch_execz .LBB32_14
; %bb.16:                               ;   in Loop: Header=BB32_15 Depth=1
	s_wait_kmcnt 0x0
	v_lshl_add_u64 v[8:9], v[2:3], 2, s[16:17]
	s_mov_b32 s7, 0
	global_load_b32 v10, v[8:9], off
	s_wait_xcnt 0x0
	v_lshl_add_u64 v[8:9], v[6:7], 3, s[12:13]
	s_wait_loadcnt 0x0
	v_mul_f32_e32 v14, s6, v10
	v_lshl_add_u64 v[10:11], v[6:7], 2, s[14:15]
	s_branch .LBB32_18
.LBB32_17:                              ;   in Loop: Header=BB32_18 Depth=2
	s_wait_xcnt 0x0
	s_or_b32 exec_lo, exec_lo, s22
	v_add_nc_u64_e32 v[6:7], 64, v[6:7]
	v_add_nc_u64_e32 v[8:9], 0x200, v[8:9]
	;; [unrolled: 1-line block ×3, first 2 shown]
	s_delay_alu instid0(VALU_DEP_3) | instskip(SKIP_1) | instid1(SALU_CYCLE_1)
	v_cmp_ge_i64_e32 vcc_lo, v[6:7], v[4:5]
	s_or_b32 s7, vcc_lo, s7
	s_and_not1_b32 exec_lo, exec_lo, s7
	s_cbranch_execz .LBB32_14
.LBB32_18:                              ;   Parent Loop BB32_15 Depth=1
                                        ; =>  This Inner Loop Header: Depth=2
	global_load_b64 v[12:13], v[8:9], off
	s_mov_b32 s22, exec_lo
	s_wait_loadcnt 0x0
	v_sub_nc_u64_e64 v[12:13], v[12:13], s[2:3]
	s_wait_xcnt 0x0
	s_delay_alu instid0(VALU_DEP_1)
	v_cmpx_ne_u64_e64 v[12:13], v[2:3]
	s_cbranch_execz .LBB32_17
; %bb.19:                               ;   in Loop: Header=BB32_18 Depth=2
	global_load_b32 v15, v[10:11], off
	v_lshl_add_u64 v[12:13], v[12:13], 2, s[18:19]
	s_wait_loadcnt 0x0
	v_mul_f32_e32 v15, v14, v15
	s_wait_xcnt 0x0
	global_atomic_add_f32 v[12:13], v15, off scope:SCOPE_DEV
	s_branch .LBB32_17
.LBB32_20:
	s_endpgm
	.section	.rodata,"a",@progbits
	.p2align	6, 0x0
	.amdhsa_kernel _ZN9rocsparseL21csrmvt_general_kernelILj256ELj64EllffffEEvbbT2_NS_24const_host_device_scalarIT6_EEPKT1_S7_PKS1_PKT3_PKT4_PT5_21rocsparse_index_base_b
		.amdhsa_group_segment_fixed_size 0
		.amdhsa_private_segment_fixed_size 0
		.amdhsa_kernarg_size 336
		.amdhsa_user_sgpr_count 2
		.amdhsa_user_sgpr_dispatch_ptr 0
		.amdhsa_user_sgpr_queue_ptr 0
		.amdhsa_user_sgpr_kernarg_segment_ptr 1
		.amdhsa_user_sgpr_dispatch_id 0
		.amdhsa_user_sgpr_kernarg_preload_length 0
		.amdhsa_user_sgpr_kernarg_preload_offset 0
		.amdhsa_user_sgpr_private_segment_size 0
		.amdhsa_wavefront_size32 1
		.amdhsa_uses_dynamic_stack 0
		.amdhsa_enable_private_segment 0
		.amdhsa_system_sgpr_workgroup_id_x 1
		.amdhsa_system_sgpr_workgroup_id_y 0
		.amdhsa_system_sgpr_workgroup_id_z 0
		.amdhsa_system_sgpr_workgroup_info 0
		.amdhsa_system_vgpr_workitem_id 0
		.amdhsa_next_free_vgpr 19
		.amdhsa_next_free_sgpr 24
		.amdhsa_named_barrier_count 0
		.amdhsa_reserve_vcc 1
		.amdhsa_float_round_mode_32 0
		.amdhsa_float_round_mode_16_64 0
		.amdhsa_float_denorm_mode_32 3
		.amdhsa_float_denorm_mode_16_64 3
		.amdhsa_fp16_overflow 0
		.amdhsa_memory_ordered 1
		.amdhsa_forward_progress 1
		.amdhsa_inst_pref_size 8
		.amdhsa_round_robin_scheduling 0
		.amdhsa_exception_fp_ieee_invalid_op 0
		.amdhsa_exception_fp_denorm_src 0
		.amdhsa_exception_fp_ieee_div_zero 0
		.amdhsa_exception_fp_ieee_overflow 0
		.amdhsa_exception_fp_ieee_underflow 0
		.amdhsa_exception_fp_ieee_inexact 0
		.amdhsa_exception_int_div_zero 0
	.end_amdhsa_kernel
	.section	.text._ZN9rocsparseL21csrmvt_general_kernelILj256ELj64EllffffEEvbbT2_NS_24const_host_device_scalarIT6_EEPKT1_S7_PKS1_PKT3_PKT4_PT5_21rocsparse_index_base_b,"axG",@progbits,_ZN9rocsparseL21csrmvt_general_kernelILj256ELj64EllffffEEvbbT2_NS_24const_host_device_scalarIT6_EEPKT1_S7_PKS1_PKT3_PKT4_PT5_21rocsparse_index_base_b,comdat
.Lfunc_end32:
	.size	_ZN9rocsparseL21csrmvt_general_kernelILj256ELj64EllffffEEvbbT2_NS_24const_host_device_scalarIT6_EEPKT1_S7_PKS1_PKT3_PKT4_PT5_21rocsparse_index_base_b, .Lfunc_end32-_ZN9rocsparseL21csrmvt_general_kernelILj256ELj64EllffffEEvbbT2_NS_24const_host_device_scalarIT6_EEPKT1_S7_PKS1_PKT3_PKT4_PT5_21rocsparse_index_base_b
                                        ; -- End function
	.set _ZN9rocsparseL21csrmvt_general_kernelILj256ELj64EllffffEEvbbT2_NS_24const_host_device_scalarIT6_EEPKT1_S7_PKS1_PKT3_PKT4_PT5_21rocsparse_index_base_b.num_vgpr, 19
	.set _ZN9rocsparseL21csrmvt_general_kernelILj256ELj64EllffffEEvbbT2_NS_24const_host_device_scalarIT6_EEPKT1_S7_PKS1_PKT3_PKT4_PT5_21rocsparse_index_base_b.num_agpr, 0
	.set _ZN9rocsparseL21csrmvt_general_kernelILj256ELj64EllffffEEvbbT2_NS_24const_host_device_scalarIT6_EEPKT1_S7_PKS1_PKT3_PKT4_PT5_21rocsparse_index_base_b.numbered_sgpr, 24
	.set _ZN9rocsparseL21csrmvt_general_kernelILj256ELj64EllffffEEvbbT2_NS_24const_host_device_scalarIT6_EEPKT1_S7_PKS1_PKT3_PKT4_PT5_21rocsparse_index_base_b.num_named_barrier, 0
	.set _ZN9rocsparseL21csrmvt_general_kernelILj256ELj64EllffffEEvbbT2_NS_24const_host_device_scalarIT6_EEPKT1_S7_PKS1_PKT3_PKT4_PT5_21rocsparse_index_base_b.private_seg_size, 0
	.set _ZN9rocsparseL21csrmvt_general_kernelILj256ELj64EllffffEEvbbT2_NS_24const_host_device_scalarIT6_EEPKT1_S7_PKS1_PKT3_PKT4_PT5_21rocsparse_index_base_b.uses_vcc, 1
	.set _ZN9rocsparseL21csrmvt_general_kernelILj256ELj64EllffffEEvbbT2_NS_24const_host_device_scalarIT6_EEPKT1_S7_PKS1_PKT3_PKT4_PT5_21rocsparse_index_base_b.uses_flat_scratch, 0
	.set _ZN9rocsparseL21csrmvt_general_kernelILj256ELj64EllffffEEvbbT2_NS_24const_host_device_scalarIT6_EEPKT1_S7_PKS1_PKT3_PKT4_PT5_21rocsparse_index_base_b.has_dyn_sized_stack, 0
	.set _ZN9rocsparseL21csrmvt_general_kernelILj256ELj64EllffffEEvbbT2_NS_24const_host_device_scalarIT6_EEPKT1_S7_PKS1_PKT3_PKT4_PT5_21rocsparse_index_base_b.has_recursion, 0
	.set _ZN9rocsparseL21csrmvt_general_kernelILj256ELj64EllffffEEvbbT2_NS_24const_host_device_scalarIT6_EEPKT1_S7_PKS1_PKT3_PKT4_PT5_21rocsparse_index_base_b.has_indirect_call, 0
	.section	.AMDGPU.csdata,"",@progbits
; Kernel info:
; codeLenInByte = 900
; TotalNumSgprs: 26
; NumVgprs: 19
; ScratchSize: 0
; MemoryBound: 0
; FloatMode: 240
; IeeeMode: 1
; LDSByteSize: 0 bytes/workgroup (compile time only)
; SGPRBlocks: 0
; VGPRBlocks: 1
; NumSGPRsForWavesPerEU: 26
; NumVGPRsForWavesPerEU: 19
; NamedBarCnt: 0
; Occupancy: 16
; WaveLimiterHint : 1
; COMPUTE_PGM_RSRC2:SCRATCH_EN: 0
; COMPUTE_PGM_RSRC2:USER_SGPR: 2
; COMPUTE_PGM_RSRC2:TRAP_HANDLER: 0
; COMPUTE_PGM_RSRC2:TGID_X_EN: 1
; COMPUTE_PGM_RSRC2:TGID_Y_EN: 0
; COMPUTE_PGM_RSRC2:TGID_Z_EN: 0
; COMPUTE_PGM_RSRC2:TIDIG_COMP_CNT: 0
	.section	.text._ZN9rocsparseL21csrmvn_general_kernelILj256ELj2EiiddddEEvbT2_NS_24const_host_device_scalarIT6_EEPKT1_S7_PKS1_PKT3_PKT4_S4_PT5_21rocsparse_index_base_b,"axG",@progbits,_ZN9rocsparseL21csrmvn_general_kernelILj256ELj2EiiddddEEvbT2_NS_24const_host_device_scalarIT6_EEPKT1_S7_PKS1_PKT3_PKT4_S4_PT5_21rocsparse_index_base_b,comdat
	.globl	_ZN9rocsparseL21csrmvn_general_kernelILj256ELj2EiiddddEEvbT2_NS_24const_host_device_scalarIT6_EEPKT1_S7_PKS1_PKT3_PKT4_S4_PT5_21rocsparse_index_base_b ; -- Begin function _ZN9rocsparseL21csrmvn_general_kernelILj256ELj2EiiddddEEvbT2_NS_24const_host_device_scalarIT6_EEPKT1_S7_PKS1_PKT3_PKT4_S4_PT5_21rocsparse_index_base_b
	.p2align	8
	.type	_ZN9rocsparseL21csrmvn_general_kernelILj256ELj2EiiddddEEvbT2_NS_24const_host_device_scalarIT6_EEPKT1_S7_PKS1_PKT3_PKT4_S4_PT5_21rocsparse_index_base_b,@function
_ZN9rocsparseL21csrmvn_general_kernelILj256ELj2EiiddddEEvbT2_NS_24const_host_device_scalarIT6_EEPKT1_S7_PKS1_PKT3_PKT4_S4_PT5_21rocsparse_index_base_b: ; @_ZN9rocsparseL21csrmvn_general_kernelILj256ELj2EiiddddEEvbT2_NS_24const_host_device_scalarIT6_EEPKT1_S7_PKS1_PKT3_PKT4_S4_PT5_21rocsparse_index_base_b
; %bb.0:
	s_clause 0x2
	s_load_b64 s[16:17], s[0:1], 0x48
	s_load_b128 s[12:15], s[0:1], 0x8
	s_load_b64 s[2:3], s[0:1], 0x38
	s_wait_kmcnt 0x0
	s_bitcmp1_b32 s17, 0
	v_mov_b64_e32 v[2:3], s[12:13]
	s_cselect_b32 s4, -1, 0
	s_delay_alu instid0(SALU_CYCLE_1)
	s_and_b32 vcc_lo, exec_lo, s4
	s_xor_b32 s4, s4, -1
	s_cbranch_vccnz .LBB33_2
; %bb.1:
	v_mov_b32_e32 v1, 0
	flat_load_b64 v[2:3], v1, s[12:13]
.LBB33_2:
	v_mov_b64_e32 v[4:5], s[2:3]
	s_and_not1_b32 vcc_lo, exec_lo, s4
	s_cbranch_vccnz .LBB33_4
; %bb.3:
	s_wait_xcnt 0x0
	v_mov_b32_e32 v1, 0
	flat_load_b64 v[4:5], v1, s[2:3]
.LBB33_4:
	s_wait_loadcnt_dscnt 0x0
	v_cmp_neq_f64_e32 vcc_lo, 0, v[2:3]
	s_delay_alu instid0(VALU_DEP_2) | instskip(SKIP_1) | instid1(SALU_CYCLE_1)
	v_cmp_neq_f64_e64 s2, 1.0, v[4:5]
	s_or_b32 s2, vcc_lo, s2
	s_and_saveexec_b32 s3, s2
	s_cbranch_execz .LBB33_16
; %bb.5:
	s_bfe_u32 s2, ttmp6, 0x4000c
	s_load_b32 s12, s[0:1], 0x4
	s_add_co_i32 s2, s2, 1
	s_and_b32 s3, ttmp6, 15
	s_mul_i32 s2, ttmp9, s2
	s_getreg_b32 s4, hwreg(HW_REG_IB_STS2, 6, 4)
	s_add_co_i32 s3, s3, s2
	s_cmp_eq_u32 s4, 0
	s_mov_b32 s13, 0
	s_cselect_b32 s2, ttmp9, s3
	s_delay_alu instid0(SALU_CYCLE_1) | instskip(NEXT) | instid1(VALU_DEP_1)
	v_lshl_or_b32 v1, s2, 8, v0
	v_lshrrev_b32_e32 v6, 1, v1
	s_wait_kmcnt 0x0
	s_delay_alu instid0(VALU_DEP_1)
	v_cmp_gt_i32_e32 vcc_lo, s12, v6
	s_and_b32 exec_lo, exec_lo, vcc_lo
	s_cbranch_execz .LBB33_16
; %bb.6:
	v_mbcnt_lo_u32_b32 v1, -1, 0
	s_clause 0x2
	s_load_b256 s[4:11], s[0:1], 0x18
	s_load_b32 s20, s[0:1], 0x50
	s_load_b64 s[2:3], s[0:1], 0x40
	s_ashr_i32 s17, s16, 31
	v_cmp_neq_f64_e32 vcc_lo, 0, v[4:5]
	v_xor_b32_e32 v7, 1, v1
	s_lshl_b64 s[18:19], s[16:17], 3
	s_wait_xcnt 0x0
	s_delay_alu instid0(VALU_DEP_1) | instskip(NEXT) | instid1(VALU_DEP_1)
	v_cmp_gt_i32_e64 s0, 32, v7
	v_dual_cndmask_b32 v1, v1, v7, s0 :: v_dual_bitop2_b32 v0, 1, v0 bitop3:0x40
	s_delay_alu instid0(VALU_DEP_1)
	v_subrev_nc_u32_e32 v10, s16, v0
	v_cmp_eq_u32_e64 s0, 1, v0
	s_wait_kmcnt 0x0
	s_sub_nc_u64 s[10:11], s[10:11], s[18:19]
	v_lshlrev_b32_e32 v11, 2, v1
	s_lshl_b32 s17, s20, 7
	s_branch .LBB33_9
.LBB33_7:                               ;   in Loop: Header=BB33_9 Depth=1
	s_wait_xcnt 0x0
	s_or_b32 exec_lo, exec_lo, s18
	global_store_b64 v[8:9], v[0:1], off
.LBB33_8:                               ;   in Loop: Header=BB33_9 Depth=1
	s_wait_xcnt 0x0
	s_or_b32 exec_lo, exec_lo, s1
	v_add_nc_u32_e32 v6, s17, v6
	s_delay_alu instid0(VALU_DEP_1) | instskip(SKIP_1) | instid1(SALU_CYCLE_1)
	v_cmp_le_i32_e64 s1, s12, v6
	s_or_b32 s13, s1, s13
	s_and_not1_b32 exec_lo, exec_lo, s13
	s_cbranch_execz .LBB33_16
.LBB33_9:                               ; =>This Loop Header: Depth=1
                                        ;     Child Loop BB33_11 Depth 2
	s_clause 0x1
	global_load_b32 v0, v6, s[4:5] scale_offset
	global_load_b32 v1, v6, s[14:15] scale_offset
	s_mov_b32 s18, exec_lo
	s_wait_loadcnt 0x1
	v_subrev_nc_u32_e32 v7, s16, v0
	s_wait_loadcnt_dscnt 0x1
	v_add_nc_u32_e32 v8, v1, v10
	v_mov_b64_e32 v[0:1], 0
	s_wait_xcnt 0x0
	s_delay_alu instid0(VALU_DEP_2)
	v_cmpx_lt_i32_e64 v8, v7
	s_cbranch_execz .LBB33_13
; %bb.10:                               ;   in Loop: Header=BB33_9 Depth=1
	v_mov_b64_e32 v[0:1], 0
	s_mov_b32 s19, 0
.LBB33_11:                              ;   Parent Loop BB33_9 Depth=1
                                        ; =>  This Inner Loop Header: Depth=2
	s_wait_dscnt 0x0
	s_clause 0x1
	global_load_b32 v9, v8, s[6:7] scale_offset
	global_load_b64 v[12:13], v8, s[8:9] scale_offset
	s_wait_xcnt 0x0
	v_add_nc_u32_e32 v8, 2, v8
	s_delay_alu instid0(VALU_DEP_1)
	v_cmp_ge_i32_e64 s1, v8, v7
	s_or_b32 s19, s1, s19
	s_wait_loadcnt 0x1
	global_load_b64 v[14:15], v9, s[10:11] scale_offset
	s_wait_loadcnt 0x1
	v_mul_f64_e32 v[12:13], v[2:3], v[12:13]
	s_wait_loadcnt 0x0
	s_delay_alu instid0(VALU_DEP_1)
	v_fmac_f64_e32 v[0:1], v[12:13], v[14:15]
	s_wait_xcnt 0x0
	s_and_not1_b32 exec_lo, exec_lo, s19
	s_cbranch_execnz .LBB33_11
; %bb.12:                               ;   in Loop: Header=BB33_9 Depth=1
	s_or_b32 exec_lo, exec_lo, s19
.LBB33_13:                              ;   in Loop: Header=BB33_9 Depth=1
	s_delay_alu instid0(SALU_CYCLE_1)
	s_or_b32 exec_lo, exec_lo, s18
	ds_bpermute_b32 v8, v11, v0
	s_wait_dscnt 0x1
	ds_bpermute_b32 v9, v11, v1
	v_ashrrev_i32_e32 v7, 31, v6
	s_and_saveexec_b32 s1, s0
	s_cbranch_execz .LBB33_8
; %bb.14:                               ;   in Loop: Header=BB33_9 Depth=1
	s_wait_dscnt 0x0
	v_add_f64_e32 v[0:1], v[0:1], v[8:9]
	v_lshl_add_u64 v[8:9], v[6:7], 3, s[2:3]
	s_and_saveexec_b32 s18, vcc_lo
	s_cbranch_execz .LBB33_7
; %bb.15:                               ;   in Loop: Header=BB33_9 Depth=1
	global_load_b64 v[12:13], v[8:9], off
	s_wait_loadcnt 0x0
	v_fmac_f64_e32 v[0:1], v[4:5], v[12:13]
	s_branch .LBB33_7
.LBB33_16:
	s_endpgm
	.section	.rodata,"a",@progbits
	.p2align	6, 0x0
	.amdhsa_kernel _ZN9rocsparseL21csrmvn_general_kernelILj256ELj2EiiddddEEvbT2_NS_24const_host_device_scalarIT6_EEPKT1_S7_PKS1_PKT3_PKT4_S4_PT5_21rocsparse_index_base_b
		.amdhsa_group_segment_fixed_size 0
		.amdhsa_private_segment_fixed_size 0
		.amdhsa_kernarg_size 336
		.amdhsa_user_sgpr_count 2
		.amdhsa_user_sgpr_dispatch_ptr 0
		.amdhsa_user_sgpr_queue_ptr 0
		.amdhsa_user_sgpr_kernarg_segment_ptr 1
		.amdhsa_user_sgpr_dispatch_id 0
		.amdhsa_user_sgpr_kernarg_preload_length 0
		.amdhsa_user_sgpr_kernarg_preload_offset 0
		.amdhsa_user_sgpr_private_segment_size 0
		.amdhsa_wavefront_size32 1
		.amdhsa_uses_dynamic_stack 0
		.amdhsa_enable_private_segment 0
		.amdhsa_system_sgpr_workgroup_id_x 1
		.amdhsa_system_sgpr_workgroup_id_y 0
		.amdhsa_system_sgpr_workgroup_id_z 0
		.amdhsa_system_sgpr_workgroup_info 0
		.amdhsa_system_vgpr_workitem_id 0
		.amdhsa_next_free_vgpr 16
		.amdhsa_next_free_sgpr 21
		.amdhsa_named_barrier_count 0
		.amdhsa_reserve_vcc 1
		.amdhsa_float_round_mode_32 0
		.amdhsa_float_round_mode_16_64 0
		.amdhsa_float_denorm_mode_32 3
		.amdhsa_float_denorm_mode_16_64 3
		.amdhsa_fp16_overflow 0
		.amdhsa_memory_ordered 1
		.amdhsa_forward_progress 1
		.amdhsa_inst_pref_size 6
		.amdhsa_round_robin_scheduling 0
		.amdhsa_exception_fp_ieee_invalid_op 0
		.amdhsa_exception_fp_denorm_src 0
		.amdhsa_exception_fp_ieee_div_zero 0
		.amdhsa_exception_fp_ieee_overflow 0
		.amdhsa_exception_fp_ieee_underflow 0
		.amdhsa_exception_fp_ieee_inexact 0
		.amdhsa_exception_int_div_zero 0
	.end_amdhsa_kernel
	.section	.text._ZN9rocsparseL21csrmvn_general_kernelILj256ELj2EiiddddEEvbT2_NS_24const_host_device_scalarIT6_EEPKT1_S7_PKS1_PKT3_PKT4_S4_PT5_21rocsparse_index_base_b,"axG",@progbits,_ZN9rocsparseL21csrmvn_general_kernelILj256ELj2EiiddddEEvbT2_NS_24const_host_device_scalarIT6_EEPKT1_S7_PKS1_PKT3_PKT4_S4_PT5_21rocsparse_index_base_b,comdat
.Lfunc_end33:
	.size	_ZN9rocsparseL21csrmvn_general_kernelILj256ELj2EiiddddEEvbT2_NS_24const_host_device_scalarIT6_EEPKT1_S7_PKS1_PKT3_PKT4_S4_PT5_21rocsparse_index_base_b, .Lfunc_end33-_ZN9rocsparseL21csrmvn_general_kernelILj256ELj2EiiddddEEvbT2_NS_24const_host_device_scalarIT6_EEPKT1_S7_PKS1_PKT3_PKT4_S4_PT5_21rocsparse_index_base_b
                                        ; -- End function
	.set _ZN9rocsparseL21csrmvn_general_kernelILj256ELj2EiiddddEEvbT2_NS_24const_host_device_scalarIT6_EEPKT1_S7_PKS1_PKT3_PKT4_S4_PT5_21rocsparse_index_base_b.num_vgpr, 16
	.set _ZN9rocsparseL21csrmvn_general_kernelILj256ELj2EiiddddEEvbT2_NS_24const_host_device_scalarIT6_EEPKT1_S7_PKS1_PKT3_PKT4_S4_PT5_21rocsparse_index_base_b.num_agpr, 0
	.set _ZN9rocsparseL21csrmvn_general_kernelILj256ELj2EiiddddEEvbT2_NS_24const_host_device_scalarIT6_EEPKT1_S7_PKS1_PKT3_PKT4_S4_PT5_21rocsparse_index_base_b.numbered_sgpr, 21
	.set _ZN9rocsparseL21csrmvn_general_kernelILj256ELj2EiiddddEEvbT2_NS_24const_host_device_scalarIT6_EEPKT1_S7_PKS1_PKT3_PKT4_S4_PT5_21rocsparse_index_base_b.num_named_barrier, 0
	.set _ZN9rocsparseL21csrmvn_general_kernelILj256ELj2EiiddddEEvbT2_NS_24const_host_device_scalarIT6_EEPKT1_S7_PKS1_PKT3_PKT4_S4_PT5_21rocsparse_index_base_b.private_seg_size, 0
	.set _ZN9rocsparseL21csrmvn_general_kernelILj256ELj2EiiddddEEvbT2_NS_24const_host_device_scalarIT6_EEPKT1_S7_PKS1_PKT3_PKT4_S4_PT5_21rocsparse_index_base_b.uses_vcc, 1
	.set _ZN9rocsparseL21csrmvn_general_kernelILj256ELj2EiiddddEEvbT2_NS_24const_host_device_scalarIT6_EEPKT1_S7_PKS1_PKT3_PKT4_S4_PT5_21rocsparse_index_base_b.uses_flat_scratch, 0
	.set _ZN9rocsparseL21csrmvn_general_kernelILj256ELj2EiiddddEEvbT2_NS_24const_host_device_scalarIT6_EEPKT1_S7_PKS1_PKT3_PKT4_S4_PT5_21rocsparse_index_base_b.has_dyn_sized_stack, 0
	.set _ZN9rocsparseL21csrmvn_general_kernelILj256ELj2EiiddddEEvbT2_NS_24const_host_device_scalarIT6_EEPKT1_S7_PKS1_PKT3_PKT4_S4_PT5_21rocsparse_index_base_b.has_recursion, 0
	.set _ZN9rocsparseL21csrmvn_general_kernelILj256ELj2EiiddddEEvbT2_NS_24const_host_device_scalarIT6_EEPKT1_S7_PKS1_PKT3_PKT4_S4_PT5_21rocsparse_index_base_b.has_indirect_call, 0
	.section	.AMDGPU.csdata,"",@progbits
; Kernel info:
; codeLenInByte = 676
; TotalNumSgprs: 23
; NumVgprs: 16
; ScratchSize: 0
; MemoryBound: 1
; FloatMode: 240
; IeeeMode: 1
; LDSByteSize: 0 bytes/workgroup (compile time only)
; SGPRBlocks: 0
; VGPRBlocks: 0
; NumSGPRsForWavesPerEU: 23
; NumVGPRsForWavesPerEU: 16
; NamedBarCnt: 0
; Occupancy: 16
; WaveLimiterHint : 1
; COMPUTE_PGM_RSRC2:SCRATCH_EN: 0
; COMPUTE_PGM_RSRC2:USER_SGPR: 2
; COMPUTE_PGM_RSRC2:TRAP_HANDLER: 0
; COMPUTE_PGM_RSRC2:TGID_X_EN: 1
; COMPUTE_PGM_RSRC2:TGID_Y_EN: 0
; COMPUTE_PGM_RSRC2:TGID_Z_EN: 0
; COMPUTE_PGM_RSRC2:TIDIG_COMP_CNT: 0
	.section	.text._ZN9rocsparseL21csrmvn_general_kernelILj256ELj4EiiddddEEvbT2_NS_24const_host_device_scalarIT6_EEPKT1_S7_PKS1_PKT3_PKT4_S4_PT5_21rocsparse_index_base_b,"axG",@progbits,_ZN9rocsparseL21csrmvn_general_kernelILj256ELj4EiiddddEEvbT2_NS_24const_host_device_scalarIT6_EEPKT1_S7_PKS1_PKT3_PKT4_S4_PT5_21rocsparse_index_base_b,comdat
	.globl	_ZN9rocsparseL21csrmvn_general_kernelILj256ELj4EiiddddEEvbT2_NS_24const_host_device_scalarIT6_EEPKT1_S7_PKS1_PKT3_PKT4_S4_PT5_21rocsparse_index_base_b ; -- Begin function _ZN9rocsparseL21csrmvn_general_kernelILj256ELj4EiiddddEEvbT2_NS_24const_host_device_scalarIT6_EEPKT1_S7_PKS1_PKT3_PKT4_S4_PT5_21rocsparse_index_base_b
	.p2align	8
	.type	_ZN9rocsparseL21csrmvn_general_kernelILj256ELj4EiiddddEEvbT2_NS_24const_host_device_scalarIT6_EEPKT1_S7_PKS1_PKT3_PKT4_S4_PT5_21rocsparse_index_base_b,@function
_ZN9rocsparseL21csrmvn_general_kernelILj256ELj4EiiddddEEvbT2_NS_24const_host_device_scalarIT6_EEPKT1_S7_PKS1_PKT3_PKT4_S4_PT5_21rocsparse_index_base_b: ; @_ZN9rocsparseL21csrmvn_general_kernelILj256ELj4EiiddddEEvbT2_NS_24const_host_device_scalarIT6_EEPKT1_S7_PKS1_PKT3_PKT4_S4_PT5_21rocsparse_index_base_b
; %bb.0:
	s_clause 0x2
	s_load_b64 s[16:17], s[0:1], 0x48
	s_load_b128 s[12:15], s[0:1], 0x8
	s_load_b64 s[2:3], s[0:1], 0x38
	s_wait_kmcnt 0x0
	s_bitcmp1_b32 s17, 0
	v_mov_b64_e32 v[2:3], s[12:13]
	s_cselect_b32 s4, -1, 0
	s_delay_alu instid0(SALU_CYCLE_1)
	s_and_b32 vcc_lo, exec_lo, s4
	s_xor_b32 s4, s4, -1
	s_cbranch_vccnz .LBB34_2
; %bb.1:
	v_mov_b32_e32 v1, 0
	flat_load_b64 v[2:3], v1, s[12:13]
.LBB34_2:
	v_mov_b64_e32 v[4:5], s[2:3]
	s_and_not1_b32 vcc_lo, exec_lo, s4
	s_cbranch_vccnz .LBB34_4
; %bb.3:
	s_wait_xcnt 0x0
	v_mov_b32_e32 v1, 0
	flat_load_b64 v[4:5], v1, s[2:3]
.LBB34_4:
	s_wait_loadcnt_dscnt 0x0
	v_cmp_neq_f64_e32 vcc_lo, 0, v[2:3]
	s_delay_alu instid0(VALU_DEP_2) | instskip(SKIP_1) | instid1(SALU_CYCLE_1)
	v_cmp_neq_f64_e64 s2, 1.0, v[4:5]
	s_or_b32 s2, vcc_lo, s2
	s_and_saveexec_b32 s3, s2
	s_cbranch_execz .LBB34_16
; %bb.5:
	s_bfe_u32 s2, ttmp6, 0x4000c
	s_load_b32 s12, s[0:1], 0x4
	s_add_co_i32 s2, s2, 1
	s_and_b32 s3, ttmp6, 15
	s_mul_i32 s2, ttmp9, s2
	s_getreg_b32 s4, hwreg(HW_REG_IB_STS2, 6, 4)
	s_add_co_i32 s3, s3, s2
	s_cmp_eq_u32 s4, 0
	s_mov_b32 s13, 0
	s_cselect_b32 s2, ttmp9, s3
	s_delay_alu instid0(SALU_CYCLE_1) | instskip(NEXT) | instid1(VALU_DEP_1)
	v_lshl_or_b32 v1, s2, 8, v0
	v_lshrrev_b32_e32 v6, 2, v1
	s_wait_kmcnt 0x0
	s_delay_alu instid0(VALU_DEP_1)
	v_cmp_gt_i32_e32 vcc_lo, s12, v6
	s_and_b32 exec_lo, exec_lo, vcc_lo
	s_cbranch_execz .LBB34_16
; %bb.6:
	v_mbcnt_lo_u32_b32 v1, -1, 0
	s_clause 0x2
	s_load_b32 s20, s[0:1], 0x50
	s_load_b256 s[4:11], s[0:1], 0x18
	s_load_b64 s[2:3], s[0:1], 0x40
	s_ashr_i32 s17, s16, 31
	v_cmp_neq_f64_e32 vcc_lo, 0, v[4:5]
	s_lshl_b64 s[18:19], s[16:17], 3
	v_xor_b32_e32 v8, 1, v1
	v_xor_b32_e32 v7, 2, v1
	s_wait_xcnt 0x0
	s_delay_alu instid0(VALU_DEP_1) | instskip(NEXT) | instid1(VALU_DEP_1)
	v_cmp_gt_i32_e64 s0, 32, v7
	v_cndmask_b32_e64 v7, v1, v7, s0
	v_cmp_gt_i32_e64 s0, 32, v8
	v_and_b32_e32 v0, 3, v0
	s_wait_kmcnt 0x0
	s_lshl_b32 s17, s20, 6
	s_sub_nc_u64 s[10:11], s[10:11], s[18:19]
	v_dual_lshlrev_b32 v11, 2, v7 :: v_dual_cndmask_b32 v1, v1, v8, s0
	v_subrev_nc_u32_e32 v10, s16, v0
	v_cmp_eq_u32_e64 s0, 3, v0
	s_delay_alu instid0(VALU_DEP_3)
	v_lshlrev_b32_e32 v12, 2, v1
	s_branch .LBB34_9
.LBB34_7:                               ;   in Loop: Header=BB34_9 Depth=1
	s_wait_xcnt 0x0
	s_or_b32 exec_lo, exec_lo, s18
	global_store_b64 v[8:9], v[0:1], off
.LBB34_8:                               ;   in Loop: Header=BB34_9 Depth=1
	s_wait_xcnt 0x0
	s_or_b32 exec_lo, exec_lo, s1
	v_add_nc_u32_e32 v6, s17, v6
	s_delay_alu instid0(VALU_DEP_1) | instskip(SKIP_1) | instid1(SALU_CYCLE_1)
	v_cmp_le_i32_e64 s1, s12, v6
	s_or_b32 s13, s1, s13
	s_and_not1_b32 exec_lo, exec_lo, s13
	s_cbranch_execz .LBB34_16
.LBB34_9:                               ; =>This Loop Header: Depth=1
                                        ;     Child Loop BB34_11 Depth 2
	s_clause 0x1
	global_load_b32 v0, v6, s[4:5] scale_offset
	global_load_b32 v1, v6, s[14:15] scale_offset
	s_mov_b32 s18, exec_lo
	s_wait_loadcnt 0x1
	v_subrev_nc_u32_e32 v7, s16, v0
	s_wait_loadcnt_dscnt 0x1
	v_add_nc_u32_e32 v8, v1, v10
	v_mov_b64_e32 v[0:1], 0
	s_wait_xcnt 0x0
	s_delay_alu instid0(VALU_DEP_2)
	v_cmpx_lt_i32_e64 v8, v7
	s_cbranch_execz .LBB34_13
; %bb.10:                               ;   in Loop: Header=BB34_9 Depth=1
	v_mov_b64_e32 v[0:1], 0
	s_mov_b32 s19, 0
.LBB34_11:                              ;   Parent Loop BB34_9 Depth=1
                                        ; =>  This Inner Loop Header: Depth=2
	s_wait_dscnt 0x0
	s_clause 0x1
	global_load_b32 v9, v8, s[6:7] scale_offset
	global_load_b64 v[14:15], v8, s[8:9] scale_offset
	s_wait_xcnt 0x0
	v_add_nc_u32_e32 v8, 4, v8
	s_delay_alu instid0(VALU_DEP_1)
	v_cmp_ge_i32_e64 s1, v8, v7
	s_or_b32 s19, s1, s19
	s_wait_loadcnt 0x1
	global_load_b64 v[16:17], v9, s[10:11] scale_offset
	s_wait_loadcnt 0x1
	v_mul_f64_e32 v[14:15], v[2:3], v[14:15]
	s_wait_loadcnt 0x0
	s_delay_alu instid0(VALU_DEP_1)
	v_fmac_f64_e32 v[0:1], v[14:15], v[16:17]
	s_wait_xcnt 0x0
	s_and_not1_b32 exec_lo, exec_lo, s19
	s_cbranch_execnz .LBB34_11
; %bb.12:                               ;   in Loop: Header=BB34_9 Depth=1
	s_or_b32 exec_lo, exec_lo, s19
.LBB34_13:                              ;   in Loop: Header=BB34_9 Depth=1
	s_delay_alu instid0(SALU_CYCLE_1)
	s_or_b32 exec_lo, exec_lo, s18
	ds_bpermute_b32 v8, v11, v0
	s_wait_dscnt 0x1
	ds_bpermute_b32 v9, v11, v1
	s_wait_dscnt 0x0
	v_dual_add_f64 v[0:1], v[0:1], v[8:9] :: v_dual_ashrrev_i32 v7, 31, v6
	ds_bpermute_b32 v8, v12, v0
	ds_bpermute_b32 v9, v12, v1
	s_and_saveexec_b32 s1, s0
	s_cbranch_execz .LBB34_8
; %bb.14:                               ;   in Loop: Header=BB34_9 Depth=1
	s_wait_dscnt 0x0
	v_add_f64_e32 v[0:1], v[0:1], v[8:9]
	v_lshl_add_u64 v[8:9], v[6:7], 3, s[2:3]
	s_and_saveexec_b32 s18, vcc_lo
	s_cbranch_execz .LBB34_7
; %bb.15:                               ;   in Loop: Header=BB34_9 Depth=1
	global_load_b64 v[14:15], v[8:9], off
	s_wait_loadcnt 0x0
	v_fmac_f64_e32 v[0:1], v[4:5], v[14:15]
	s_branch .LBB34_7
.LBB34_16:
	s_endpgm
	.section	.rodata,"a",@progbits
	.p2align	6, 0x0
	.amdhsa_kernel _ZN9rocsparseL21csrmvn_general_kernelILj256ELj4EiiddddEEvbT2_NS_24const_host_device_scalarIT6_EEPKT1_S7_PKS1_PKT3_PKT4_S4_PT5_21rocsparse_index_base_b
		.amdhsa_group_segment_fixed_size 0
		.amdhsa_private_segment_fixed_size 0
		.amdhsa_kernarg_size 336
		.amdhsa_user_sgpr_count 2
		.amdhsa_user_sgpr_dispatch_ptr 0
		.amdhsa_user_sgpr_queue_ptr 0
		.amdhsa_user_sgpr_kernarg_segment_ptr 1
		.amdhsa_user_sgpr_dispatch_id 0
		.amdhsa_user_sgpr_kernarg_preload_length 0
		.amdhsa_user_sgpr_kernarg_preload_offset 0
		.amdhsa_user_sgpr_private_segment_size 0
		.amdhsa_wavefront_size32 1
		.amdhsa_uses_dynamic_stack 0
		.amdhsa_enable_private_segment 0
		.amdhsa_system_sgpr_workgroup_id_x 1
		.amdhsa_system_sgpr_workgroup_id_y 0
		.amdhsa_system_sgpr_workgroup_id_z 0
		.amdhsa_system_sgpr_workgroup_info 0
		.amdhsa_system_vgpr_workitem_id 0
		.amdhsa_next_free_vgpr 18
		.amdhsa_next_free_sgpr 21
		.amdhsa_named_barrier_count 0
		.amdhsa_reserve_vcc 1
		.amdhsa_float_round_mode_32 0
		.amdhsa_float_round_mode_16_64 0
		.amdhsa_float_denorm_mode_32 3
		.amdhsa_float_denorm_mode_16_64 3
		.amdhsa_fp16_overflow 0
		.amdhsa_memory_ordered 1
		.amdhsa_forward_progress 1
		.amdhsa_inst_pref_size 6
		.amdhsa_round_robin_scheduling 0
		.amdhsa_exception_fp_ieee_invalid_op 0
		.amdhsa_exception_fp_denorm_src 0
		.amdhsa_exception_fp_ieee_div_zero 0
		.amdhsa_exception_fp_ieee_overflow 0
		.amdhsa_exception_fp_ieee_underflow 0
		.amdhsa_exception_fp_ieee_inexact 0
		.amdhsa_exception_int_div_zero 0
	.end_amdhsa_kernel
	.section	.text._ZN9rocsparseL21csrmvn_general_kernelILj256ELj4EiiddddEEvbT2_NS_24const_host_device_scalarIT6_EEPKT1_S7_PKS1_PKT3_PKT4_S4_PT5_21rocsparse_index_base_b,"axG",@progbits,_ZN9rocsparseL21csrmvn_general_kernelILj256ELj4EiiddddEEvbT2_NS_24const_host_device_scalarIT6_EEPKT1_S7_PKS1_PKT3_PKT4_S4_PT5_21rocsparse_index_base_b,comdat
.Lfunc_end34:
	.size	_ZN9rocsparseL21csrmvn_general_kernelILj256ELj4EiiddddEEvbT2_NS_24const_host_device_scalarIT6_EEPKT1_S7_PKS1_PKT3_PKT4_S4_PT5_21rocsparse_index_base_b, .Lfunc_end34-_ZN9rocsparseL21csrmvn_general_kernelILj256ELj4EiiddddEEvbT2_NS_24const_host_device_scalarIT6_EEPKT1_S7_PKS1_PKT3_PKT4_S4_PT5_21rocsparse_index_base_b
                                        ; -- End function
	.set _ZN9rocsparseL21csrmvn_general_kernelILj256ELj4EiiddddEEvbT2_NS_24const_host_device_scalarIT6_EEPKT1_S7_PKS1_PKT3_PKT4_S4_PT5_21rocsparse_index_base_b.num_vgpr, 18
	.set _ZN9rocsparseL21csrmvn_general_kernelILj256ELj4EiiddddEEvbT2_NS_24const_host_device_scalarIT6_EEPKT1_S7_PKS1_PKT3_PKT4_S4_PT5_21rocsparse_index_base_b.num_agpr, 0
	.set _ZN9rocsparseL21csrmvn_general_kernelILj256ELj4EiiddddEEvbT2_NS_24const_host_device_scalarIT6_EEPKT1_S7_PKS1_PKT3_PKT4_S4_PT5_21rocsparse_index_base_b.numbered_sgpr, 21
	.set _ZN9rocsparseL21csrmvn_general_kernelILj256ELj4EiiddddEEvbT2_NS_24const_host_device_scalarIT6_EEPKT1_S7_PKS1_PKT3_PKT4_S4_PT5_21rocsparse_index_base_b.num_named_barrier, 0
	.set _ZN9rocsparseL21csrmvn_general_kernelILj256ELj4EiiddddEEvbT2_NS_24const_host_device_scalarIT6_EEPKT1_S7_PKS1_PKT3_PKT4_S4_PT5_21rocsparse_index_base_b.private_seg_size, 0
	.set _ZN9rocsparseL21csrmvn_general_kernelILj256ELj4EiiddddEEvbT2_NS_24const_host_device_scalarIT6_EEPKT1_S7_PKS1_PKT3_PKT4_S4_PT5_21rocsparse_index_base_b.uses_vcc, 1
	.set _ZN9rocsparseL21csrmvn_general_kernelILj256ELj4EiiddddEEvbT2_NS_24const_host_device_scalarIT6_EEPKT1_S7_PKS1_PKT3_PKT4_S4_PT5_21rocsparse_index_base_b.uses_flat_scratch, 0
	.set _ZN9rocsparseL21csrmvn_general_kernelILj256ELj4EiiddddEEvbT2_NS_24const_host_device_scalarIT6_EEPKT1_S7_PKS1_PKT3_PKT4_S4_PT5_21rocsparse_index_base_b.has_dyn_sized_stack, 0
	.set _ZN9rocsparseL21csrmvn_general_kernelILj256ELj4EiiddddEEvbT2_NS_24const_host_device_scalarIT6_EEPKT1_S7_PKS1_PKT3_PKT4_S4_PT5_21rocsparse_index_base_b.has_recursion, 0
	.set _ZN9rocsparseL21csrmvn_general_kernelILj256ELj4EiiddddEEvbT2_NS_24const_host_device_scalarIT6_EEPKT1_S7_PKS1_PKT3_PKT4_S4_PT5_21rocsparse_index_base_b.has_indirect_call, 0
	.section	.AMDGPU.csdata,"",@progbits
; Kernel info:
; codeLenInByte = 728
; TotalNumSgprs: 23
; NumVgprs: 18
; ScratchSize: 0
; MemoryBound: 1
; FloatMode: 240
; IeeeMode: 1
; LDSByteSize: 0 bytes/workgroup (compile time only)
; SGPRBlocks: 0
; VGPRBlocks: 1
; NumSGPRsForWavesPerEU: 23
; NumVGPRsForWavesPerEU: 18
; NamedBarCnt: 0
; Occupancy: 16
; WaveLimiterHint : 1
; COMPUTE_PGM_RSRC2:SCRATCH_EN: 0
; COMPUTE_PGM_RSRC2:USER_SGPR: 2
; COMPUTE_PGM_RSRC2:TRAP_HANDLER: 0
; COMPUTE_PGM_RSRC2:TGID_X_EN: 1
; COMPUTE_PGM_RSRC2:TGID_Y_EN: 0
; COMPUTE_PGM_RSRC2:TGID_Z_EN: 0
; COMPUTE_PGM_RSRC2:TIDIG_COMP_CNT: 0
	.section	.text._ZN9rocsparseL21csrmvn_general_kernelILj256ELj8EiiddddEEvbT2_NS_24const_host_device_scalarIT6_EEPKT1_S7_PKS1_PKT3_PKT4_S4_PT5_21rocsparse_index_base_b,"axG",@progbits,_ZN9rocsparseL21csrmvn_general_kernelILj256ELj8EiiddddEEvbT2_NS_24const_host_device_scalarIT6_EEPKT1_S7_PKS1_PKT3_PKT4_S4_PT5_21rocsparse_index_base_b,comdat
	.globl	_ZN9rocsparseL21csrmvn_general_kernelILj256ELj8EiiddddEEvbT2_NS_24const_host_device_scalarIT6_EEPKT1_S7_PKS1_PKT3_PKT4_S4_PT5_21rocsparse_index_base_b ; -- Begin function _ZN9rocsparseL21csrmvn_general_kernelILj256ELj8EiiddddEEvbT2_NS_24const_host_device_scalarIT6_EEPKT1_S7_PKS1_PKT3_PKT4_S4_PT5_21rocsparse_index_base_b
	.p2align	8
	.type	_ZN9rocsparseL21csrmvn_general_kernelILj256ELj8EiiddddEEvbT2_NS_24const_host_device_scalarIT6_EEPKT1_S7_PKS1_PKT3_PKT4_S4_PT5_21rocsparse_index_base_b,@function
_ZN9rocsparseL21csrmvn_general_kernelILj256ELj8EiiddddEEvbT2_NS_24const_host_device_scalarIT6_EEPKT1_S7_PKS1_PKT3_PKT4_S4_PT5_21rocsparse_index_base_b: ; @_ZN9rocsparseL21csrmvn_general_kernelILj256ELj8EiiddddEEvbT2_NS_24const_host_device_scalarIT6_EEPKT1_S7_PKS1_PKT3_PKT4_S4_PT5_21rocsparse_index_base_b
; %bb.0:
	s_clause 0x2
	s_load_b64 s[16:17], s[0:1], 0x48
	s_load_b128 s[12:15], s[0:1], 0x8
	s_load_b64 s[2:3], s[0:1], 0x38
	s_wait_kmcnt 0x0
	s_bitcmp1_b32 s17, 0
	v_mov_b64_e32 v[2:3], s[12:13]
	s_cselect_b32 s4, -1, 0
	s_delay_alu instid0(SALU_CYCLE_1)
	s_and_b32 vcc_lo, exec_lo, s4
	s_xor_b32 s4, s4, -1
	s_cbranch_vccnz .LBB35_2
; %bb.1:
	v_mov_b32_e32 v1, 0
	flat_load_b64 v[2:3], v1, s[12:13]
.LBB35_2:
	v_mov_b64_e32 v[4:5], s[2:3]
	s_and_not1_b32 vcc_lo, exec_lo, s4
	s_cbranch_vccnz .LBB35_4
; %bb.3:
	s_wait_xcnt 0x0
	v_mov_b32_e32 v1, 0
	flat_load_b64 v[4:5], v1, s[2:3]
.LBB35_4:
	s_wait_loadcnt_dscnt 0x0
	v_cmp_neq_f64_e32 vcc_lo, 0, v[2:3]
	s_delay_alu instid0(VALU_DEP_2) | instskip(SKIP_1) | instid1(SALU_CYCLE_1)
	v_cmp_neq_f64_e64 s2, 1.0, v[4:5]
	s_or_b32 s2, vcc_lo, s2
	s_and_saveexec_b32 s3, s2
	s_cbranch_execz .LBB35_16
; %bb.5:
	s_bfe_u32 s2, ttmp6, 0x4000c
	s_load_b32 s12, s[0:1], 0x4
	s_add_co_i32 s2, s2, 1
	s_and_b32 s3, ttmp6, 15
	s_mul_i32 s2, ttmp9, s2
	s_getreg_b32 s4, hwreg(HW_REG_IB_STS2, 6, 4)
	s_add_co_i32 s3, s3, s2
	s_cmp_eq_u32 s4, 0
	s_mov_b32 s13, 0
	s_cselect_b32 s2, ttmp9, s3
	s_delay_alu instid0(SALU_CYCLE_1) | instskip(NEXT) | instid1(VALU_DEP_1)
	v_lshl_or_b32 v1, s2, 8, v0
	v_lshrrev_b32_e32 v6, 3, v1
	s_wait_kmcnt 0x0
	s_delay_alu instid0(VALU_DEP_1)
	v_cmp_gt_i32_e32 vcc_lo, s12, v6
	s_and_b32 exec_lo, exec_lo, vcc_lo
	s_cbranch_execz .LBB35_16
; %bb.6:
	v_mbcnt_lo_u32_b32 v1, -1, 0
	s_clause 0x2
	s_load_b32 s20, s[0:1], 0x50
	s_load_b256 s[4:11], s[0:1], 0x18
	s_load_b64 s[2:3], s[0:1], 0x40
	s_ashr_i32 s17, s16, 31
	v_cmp_neq_f64_e32 vcc_lo, 0, v[4:5]
	v_xor_b32_e32 v8, 2, v1
	v_xor_b32_e32 v7, 4, v1
	s_lshl_b64 s[18:19], s[16:17], 3
	s_wait_xcnt 0x0
	s_delay_alu instid0(VALU_DEP_1) | instskip(NEXT) | instid1(VALU_DEP_1)
	v_cmp_gt_i32_e64 s0, 32, v7
	v_dual_cndmask_b32 v7, v1, v7, s0 :: v_dual_bitop2_b32 v9, 1, v1 bitop3:0x14
	v_cmp_gt_i32_e64 s0, 32, v8
	s_wait_kmcnt 0x0
	s_lshl_b32 s17, s20, 5
	v_lshlrev_b32_e32 v11, 2, v7
	s_sub_nc_u64 s[10:11], s[10:11], s[18:19]
	v_cndmask_b32_e64 v8, v1, v8, s0
	v_cmp_gt_i32_e64 s0, 32, v9
	s_delay_alu instid0(VALU_DEP_1) | instskip(NEXT) | instid1(VALU_DEP_1)
	v_dual_cndmask_b32 v1, v1, v9, s0 :: v_dual_bitop2_b32 v0, 7, v0 bitop3:0x40
	v_subrev_nc_u32_e32 v10, s16, v0
	s_delay_alu instid0(VALU_DEP_4) | instskip(SKIP_1) | instid1(VALU_DEP_4)
	v_lshlrev_b32_e32 v12, 2, v8
	v_cmp_eq_u32_e64 s0, 7, v0
	v_lshlrev_b32_e32 v13, 2, v1
	s_branch .LBB35_9
.LBB35_7:                               ;   in Loop: Header=BB35_9 Depth=1
	s_wait_xcnt 0x0
	s_or_b32 exec_lo, exec_lo, s18
	global_store_b64 v[8:9], v[0:1], off
.LBB35_8:                               ;   in Loop: Header=BB35_9 Depth=1
	s_wait_xcnt 0x0
	s_or_b32 exec_lo, exec_lo, s1
	v_add_nc_u32_e32 v6, s17, v6
	s_delay_alu instid0(VALU_DEP_1) | instskip(SKIP_1) | instid1(SALU_CYCLE_1)
	v_cmp_le_i32_e64 s1, s12, v6
	s_or_b32 s13, s1, s13
	s_and_not1_b32 exec_lo, exec_lo, s13
	s_cbranch_execz .LBB35_16
.LBB35_9:                               ; =>This Loop Header: Depth=1
                                        ;     Child Loop BB35_11 Depth 2
	s_clause 0x1
	global_load_b32 v0, v6, s[4:5] scale_offset
	global_load_b32 v1, v6, s[14:15] scale_offset
	s_mov_b32 s18, exec_lo
	s_wait_loadcnt 0x1
	v_subrev_nc_u32_e32 v7, s16, v0
	s_wait_loadcnt_dscnt 0x1
	v_add_nc_u32_e32 v8, v1, v10
	v_mov_b64_e32 v[0:1], 0
	s_wait_xcnt 0x0
	s_delay_alu instid0(VALU_DEP_2)
	v_cmpx_lt_i32_e64 v8, v7
	s_cbranch_execz .LBB35_13
; %bb.10:                               ;   in Loop: Header=BB35_9 Depth=1
	v_mov_b64_e32 v[0:1], 0
	s_mov_b32 s19, 0
.LBB35_11:                              ;   Parent Loop BB35_9 Depth=1
                                        ; =>  This Inner Loop Header: Depth=2
	s_wait_dscnt 0x0
	s_clause 0x1
	global_load_b32 v9, v8, s[6:7] scale_offset
	global_load_b64 v[14:15], v8, s[8:9] scale_offset
	s_wait_xcnt 0x0
	v_add_nc_u32_e32 v8, 8, v8
	s_delay_alu instid0(VALU_DEP_1)
	v_cmp_ge_i32_e64 s1, v8, v7
	s_or_b32 s19, s1, s19
	s_wait_loadcnt 0x1
	global_load_b64 v[16:17], v9, s[10:11] scale_offset
	s_wait_loadcnt 0x1
	v_mul_f64_e32 v[14:15], v[2:3], v[14:15]
	s_wait_loadcnt 0x0
	s_delay_alu instid0(VALU_DEP_1)
	v_fmac_f64_e32 v[0:1], v[14:15], v[16:17]
	s_wait_xcnt 0x0
	s_and_not1_b32 exec_lo, exec_lo, s19
	s_cbranch_execnz .LBB35_11
; %bb.12:                               ;   in Loop: Header=BB35_9 Depth=1
	s_or_b32 exec_lo, exec_lo, s19
.LBB35_13:                              ;   in Loop: Header=BB35_9 Depth=1
	s_delay_alu instid0(SALU_CYCLE_1)
	s_or_b32 exec_lo, exec_lo, s18
	ds_bpermute_b32 v8, v11, v0
	s_wait_dscnt 0x1
	ds_bpermute_b32 v9, v11, v1
	s_wait_dscnt 0x0
	v_dual_add_f64 v[0:1], v[0:1], v[8:9] :: v_dual_ashrrev_i32 v7, 31, v6
	ds_bpermute_b32 v8, v12, v0
	ds_bpermute_b32 v9, v12, v1
	s_wait_dscnt 0x0
	v_add_f64_e32 v[0:1], v[0:1], v[8:9]
	ds_bpermute_b32 v8, v13, v0
	ds_bpermute_b32 v9, v13, v1
	s_and_saveexec_b32 s1, s0
	s_cbranch_execz .LBB35_8
; %bb.14:                               ;   in Loop: Header=BB35_9 Depth=1
	s_wait_dscnt 0x0
	v_add_f64_e32 v[0:1], v[0:1], v[8:9]
	v_lshl_add_u64 v[8:9], v[6:7], 3, s[2:3]
	s_and_saveexec_b32 s18, vcc_lo
	s_cbranch_execz .LBB35_7
; %bb.15:                               ;   in Loop: Header=BB35_9 Depth=1
	global_load_b64 v[14:15], v[8:9], off
	s_wait_loadcnt 0x0
	v_fmac_f64_e32 v[0:1], v[4:5], v[14:15]
	s_branch .LBB35_7
.LBB35_16:
	s_endpgm
	.section	.rodata,"a",@progbits
	.p2align	6, 0x0
	.amdhsa_kernel _ZN9rocsparseL21csrmvn_general_kernelILj256ELj8EiiddddEEvbT2_NS_24const_host_device_scalarIT6_EEPKT1_S7_PKS1_PKT3_PKT4_S4_PT5_21rocsparse_index_base_b
		.amdhsa_group_segment_fixed_size 0
		.amdhsa_private_segment_fixed_size 0
		.amdhsa_kernarg_size 336
		.amdhsa_user_sgpr_count 2
		.amdhsa_user_sgpr_dispatch_ptr 0
		.amdhsa_user_sgpr_queue_ptr 0
		.amdhsa_user_sgpr_kernarg_segment_ptr 1
		.amdhsa_user_sgpr_dispatch_id 0
		.amdhsa_user_sgpr_kernarg_preload_length 0
		.amdhsa_user_sgpr_kernarg_preload_offset 0
		.amdhsa_user_sgpr_private_segment_size 0
		.amdhsa_wavefront_size32 1
		.amdhsa_uses_dynamic_stack 0
		.amdhsa_enable_private_segment 0
		.amdhsa_system_sgpr_workgroup_id_x 1
		.amdhsa_system_sgpr_workgroup_id_y 0
		.amdhsa_system_sgpr_workgroup_id_z 0
		.amdhsa_system_sgpr_workgroup_info 0
		.amdhsa_system_vgpr_workitem_id 0
		.amdhsa_next_free_vgpr 18
		.amdhsa_next_free_sgpr 21
		.amdhsa_named_barrier_count 0
		.amdhsa_reserve_vcc 1
		.amdhsa_float_round_mode_32 0
		.amdhsa_float_round_mode_16_64 0
		.amdhsa_float_denorm_mode_32 3
		.amdhsa_float_denorm_mode_16_64 3
		.amdhsa_fp16_overflow 0
		.amdhsa_memory_ordered 1
		.amdhsa_forward_progress 1
		.amdhsa_inst_pref_size 7
		.amdhsa_round_robin_scheduling 0
		.amdhsa_exception_fp_ieee_invalid_op 0
		.amdhsa_exception_fp_denorm_src 0
		.amdhsa_exception_fp_ieee_div_zero 0
		.amdhsa_exception_fp_ieee_overflow 0
		.amdhsa_exception_fp_ieee_underflow 0
		.amdhsa_exception_fp_ieee_inexact 0
		.amdhsa_exception_int_div_zero 0
	.end_amdhsa_kernel
	.section	.text._ZN9rocsparseL21csrmvn_general_kernelILj256ELj8EiiddddEEvbT2_NS_24const_host_device_scalarIT6_EEPKT1_S7_PKS1_PKT3_PKT4_S4_PT5_21rocsparse_index_base_b,"axG",@progbits,_ZN9rocsparseL21csrmvn_general_kernelILj256ELj8EiiddddEEvbT2_NS_24const_host_device_scalarIT6_EEPKT1_S7_PKS1_PKT3_PKT4_S4_PT5_21rocsparse_index_base_b,comdat
.Lfunc_end35:
	.size	_ZN9rocsparseL21csrmvn_general_kernelILj256ELj8EiiddddEEvbT2_NS_24const_host_device_scalarIT6_EEPKT1_S7_PKS1_PKT3_PKT4_S4_PT5_21rocsparse_index_base_b, .Lfunc_end35-_ZN9rocsparseL21csrmvn_general_kernelILj256ELj8EiiddddEEvbT2_NS_24const_host_device_scalarIT6_EEPKT1_S7_PKS1_PKT3_PKT4_S4_PT5_21rocsparse_index_base_b
                                        ; -- End function
	.set _ZN9rocsparseL21csrmvn_general_kernelILj256ELj8EiiddddEEvbT2_NS_24const_host_device_scalarIT6_EEPKT1_S7_PKS1_PKT3_PKT4_S4_PT5_21rocsparse_index_base_b.num_vgpr, 18
	.set _ZN9rocsparseL21csrmvn_general_kernelILj256ELj8EiiddddEEvbT2_NS_24const_host_device_scalarIT6_EEPKT1_S7_PKS1_PKT3_PKT4_S4_PT5_21rocsparse_index_base_b.num_agpr, 0
	.set _ZN9rocsparseL21csrmvn_general_kernelILj256ELj8EiiddddEEvbT2_NS_24const_host_device_scalarIT6_EEPKT1_S7_PKS1_PKT3_PKT4_S4_PT5_21rocsparse_index_base_b.numbered_sgpr, 21
	.set _ZN9rocsparseL21csrmvn_general_kernelILj256ELj8EiiddddEEvbT2_NS_24const_host_device_scalarIT6_EEPKT1_S7_PKS1_PKT3_PKT4_S4_PT5_21rocsparse_index_base_b.num_named_barrier, 0
	.set _ZN9rocsparseL21csrmvn_general_kernelILj256ELj8EiiddddEEvbT2_NS_24const_host_device_scalarIT6_EEPKT1_S7_PKS1_PKT3_PKT4_S4_PT5_21rocsparse_index_base_b.private_seg_size, 0
	.set _ZN9rocsparseL21csrmvn_general_kernelILj256ELj8EiiddddEEvbT2_NS_24const_host_device_scalarIT6_EEPKT1_S7_PKS1_PKT3_PKT4_S4_PT5_21rocsparse_index_base_b.uses_vcc, 1
	.set _ZN9rocsparseL21csrmvn_general_kernelILj256ELj8EiiddddEEvbT2_NS_24const_host_device_scalarIT6_EEPKT1_S7_PKS1_PKT3_PKT4_S4_PT5_21rocsparse_index_base_b.uses_flat_scratch, 0
	.set _ZN9rocsparseL21csrmvn_general_kernelILj256ELj8EiiddddEEvbT2_NS_24const_host_device_scalarIT6_EEPKT1_S7_PKS1_PKT3_PKT4_S4_PT5_21rocsparse_index_base_b.has_dyn_sized_stack, 0
	.set _ZN9rocsparseL21csrmvn_general_kernelILj256ELj8EiiddddEEvbT2_NS_24const_host_device_scalarIT6_EEPKT1_S7_PKS1_PKT3_PKT4_S4_PT5_21rocsparse_index_base_b.has_recursion, 0
	.set _ZN9rocsparseL21csrmvn_general_kernelILj256ELj8EiiddddEEvbT2_NS_24const_host_device_scalarIT6_EEPKT1_S7_PKS1_PKT3_PKT4_S4_PT5_21rocsparse_index_base_b.has_indirect_call, 0
	.section	.AMDGPU.csdata,"",@progbits
; Kernel info:
; codeLenInByte = 780
; TotalNumSgprs: 23
; NumVgprs: 18
; ScratchSize: 0
; MemoryBound: 1
; FloatMode: 240
; IeeeMode: 1
; LDSByteSize: 0 bytes/workgroup (compile time only)
; SGPRBlocks: 0
; VGPRBlocks: 1
; NumSGPRsForWavesPerEU: 23
; NumVGPRsForWavesPerEU: 18
; NamedBarCnt: 0
; Occupancy: 16
; WaveLimiterHint : 1
; COMPUTE_PGM_RSRC2:SCRATCH_EN: 0
; COMPUTE_PGM_RSRC2:USER_SGPR: 2
; COMPUTE_PGM_RSRC2:TRAP_HANDLER: 0
; COMPUTE_PGM_RSRC2:TGID_X_EN: 1
; COMPUTE_PGM_RSRC2:TGID_Y_EN: 0
; COMPUTE_PGM_RSRC2:TGID_Z_EN: 0
; COMPUTE_PGM_RSRC2:TIDIG_COMP_CNT: 0
	.section	.text._ZN9rocsparseL21csrmvn_general_kernelILj256ELj16EiiddddEEvbT2_NS_24const_host_device_scalarIT6_EEPKT1_S7_PKS1_PKT3_PKT4_S4_PT5_21rocsparse_index_base_b,"axG",@progbits,_ZN9rocsparseL21csrmvn_general_kernelILj256ELj16EiiddddEEvbT2_NS_24const_host_device_scalarIT6_EEPKT1_S7_PKS1_PKT3_PKT4_S4_PT5_21rocsparse_index_base_b,comdat
	.globl	_ZN9rocsparseL21csrmvn_general_kernelILj256ELj16EiiddddEEvbT2_NS_24const_host_device_scalarIT6_EEPKT1_S7_PKS1_PKT3_PKT4_S4_PT5_21rocsparse_index_base_b ; -- Begin function _ZN9rocsparseL21csrmvn_general_kernelILj256ELj16EiiddddEEvbT2_NS_24const_host_device_scalarIT6_EEPKT1_S7_PKS1_PKT3_PKT4_S4_PT5_21rocsparse_index_base_b
	.p2align	8
	.type	_ZN9rocsparseL21csrmvn_general_kernelILj256ELj16EiiddddEEvbT2_NS_24const_host_device_scalarIT6_EEPKT1_S7_PKS1_PKT3_PKT4_S4_PT5_21rocsparse_index_base_b,@function
_ZN9rocsparseL21csrmvn_general_kernelILj256ELj16EiiddddEEvbT2_NS_24const_host_device_scalarIT6_EEPKT1_S7_PKS1_PKT3_PKT4_S4_PT5_21rocsparse_index_base_b: ; @_ZN9rocsparseL21csrmvn_general_kernelILj256ELj16EiiddddEEvbT2_NS_24const_host_device_scalarIT6_EEPKT1_S7_PKS1_PKT3_PKT4_S4_PT5_21rocsparse_index_base_b
; %bb.0:
	s_clause 0x2
	s_load_b64 s[16:17], s[0:1], 0x48
	s_load_b128 s[12:15], s[0:1], 0x8
	s_load_b64 s[2:3], s[0:1], 0x38
	s_wait_kmcnt 0x0
	s_bitcmp1_b32 s17, 0
	v_mov_b64_e32 v[2:3], s[12:13]
	s_cselect_b32 s4, -1, 0
	s_delay_alu instid0(SALU_CYCLE_1)
	s_and_b32 vcc_lo, exec_lo, s4
	s_xor_b32 s4, s4, -1
	s_cbranch_vccnz .LBB36_2
; %bb.1:
	v_mov_b32_e32 v1, 0
	flat_load_b64 v[2:3], v1, s[12:13]
.LBB36_2:
	v_mov_b64_e32 v[4:5], s[2:3]
	s_and_not1_b32 vcc_lo, exec_lo, s4
	s_cbranch_vccnz .LBB36_4
; %bb.3:
	s_wait_xcnt 0x0
	v_mov_b32_e32 v1, 0
	flat_load_b64 v[4:5], v1, s[2:3]
.LBB36_4:
	s_wait_loadcnt_dscnt 0x0
	v_cmp_neq_f64_e32 vcc_lo, 0, v[2:3]
	s_delay_alu instid0(VALU_DEP_2) | instskip(SKIP_1) | instid1(SALU_CYCLE_1)
	v_cmp_neq_f64_e64 s2, 1.0, v[4:5]
	s_or_b32 s2, vcc_lo, s2
	s_and_saveexec_b32 s3, s2
	s_cbranch_execz .LBB36_16
; %bb.5:
	s_bfe_u32 s2, ttmp6, 0x4000c
	s_load_b32 s12, s[0:1], 0x4
	s_add_co_i32 s2, s2, 1
	s_and_b32 s3, ttmp6, 15
	s_mul_i32 s2, ttmp9, s2
	s_getreg_b32 s4, hwreg(HW_REG_IB_STS2, 6, 4)
	s_add_co_i32 s3, s3, s2
	s_cmp_eq_u32 s4, 0
	s_mov_b32 s13, 0
	s_cselect_b32 s2, ttmp9, s3
	s_delay_alu instid0(SALU_CYCLE_1) | instskip(NEXT) | instid1(VALU_DEP_1)
	v_lshl_or_b32 v1, s2, 8, v0
	v_lshrrev_b32_e32 v6, 4, v1
	s_wait_kmcnt 0x0
	s_delay_alu instid0(VALU_DEP_1)
	v_cmp_gt_i32_e32 vcc_lo, s12, v6
	s_and_b32 exec_lo, exec_lo, vcc_lo
	s_cbranch_execz .LBB36_16
; %bb.6:
	v_mbcnt_lo_u32_b32 v1, -1, 0
	s_clause 0x2
	s_load_b256 s[4:11], s[0:1], 0x18
	s_load_b64 s[2:3], s[0:1], 0x40
	s_load_b32 s20, s[0:1], 0x50
	s_ashr_i32 s17, s16, 31
	v_cmp_neq_f64_e32 vcc_lo, 0, v[4:5]
	v_xor_b32_e32 v11, 1, v1
	v_xor_b32_e32 v8, 4, v1
	;; [unrolled: 1-line block ×3, first 2 shown]
	s_lshl_b64 s[18:19], s[16:17], 3
	s_wait_xcnt 0x0
	s_delay_alu instid0(VALU_DEP_1) | instskip(NEXT) | instid1(VALU_DEP_1)
	v_cmp_gt_i32_e64 s0, 32, v7
	v_dual_cndmask_b32 v7, v1, v7, s0 :: v_dual_bitop2_b32 v0, 15, v0 bitop3:0x40
	v_xor_b32_e32 v9, 2, v1
	v_cmp_gt_i32_e64 s0, 32, v8
	s_delay_alu instid0(VALU_DEP_3)
	v_subrev_nc_u32_e32 v10, s16, v0
	s_wait_kmcnt 0x0
	s_sub_nc_u64 s[10:11], s[10:11], s[18:19]
	s_lshl_b32 s17, s20, 4
	v_cndmask_b32_e64 v8, v1, v8, s0
	v_cmp_gt_i32_e64 s0, 32, v9
	s_delay_alu instid0(VALU_DEP_1) | instskip(SKIP_1) | instid1(VALU_DEP_1)
	v_dual_lshlrev_b32 v12, 2, v8 :: v_dual_cndmask_b32 v9, v1, v9, s0
	v_cmp_gt_i32_e64 s0, 32, v11
	v_dual_lshlrev_b32 v13, 2, v9 :: v_dual_cndmask_b32 v1, v1, v11, s0
	v_lshlrev_b32_e32 v11, 2, v7
	v_cmp_eq_u32_e64 s0, 15, v0
	s_delay_alu instid0(VALU_DEP_3)
	v_lshlrev_b32_e32 v14, 2, v1
	s_branch .LBB36_9
.LBB36_7:                               ;   in Loop: Header=BB36_9 Depth=1
	s_wait_xcnt 0x0
	s_or_b32 exec_lo, exec_lo, s18
	global_store_b64 v[8:9], v[0:1], off
.LBB36_8:                               ;   in Loop: Header=BB36_9 Depth=1
	s_wait_xcnt 0x0
	s_or_b32 exec_lo, exec_lo, s1
	v_add_nc_u32_e32 v6, s17, v6
	s_delay_alu instid0(VALU_DEP_1) | instskip(SKIP_1) | instid1(SALU_CYCLE_1)
	v_cmp_le_i32_e64 s1, s12, v6
	s_or_b32 s13, s1, s13
	s_and_not1_b32 exec_lo, exec_lo, s13
	s_cbranch_execz .LBB36_16
.LBB36_9:                               ; =>This Loop Header: Depth=1
                                        ;     Child Loop BB36_11 Depth 2
	s_clause 0x1
	global_load_b32 v0, v6, s[4:5] scale_offset
	global_load_b32 v1, v6, s[14:15] scale_offset
	s_mov_b32 s18, exec_lo
	s_wait_loadcnt 0x1
	v_subrev_nc_u32_e32 v7, s16, v0
	s_wait_loadcnt_dscnt 0x1
	v_add_nc_u32_e32 v8, v1, v10
	v_mov_b64_e32 v[0:1], 0
	s_wait_xcnt 0x0
	s_delay_alu instid0(VALU_DEP_2)
	v_cmpx_lt_i32_e64 v8, v7
	s_cbranch_execz .LBB36_13
; %bb.10:                               ;   in Loop: Header=BB36_9 Depth=1
	v_mov_b64_e32 v[0:1], 0
	s_mov_b32 s19, 0
.LBB36_11:                              ;   Parent Loop BB36_9 Depth=1
                                        ; =>  This Inner Loop Header: Depth=2
	s_wait_dscnt 0x0
	s_clause 0x1
	global_load_b32 v9, v8, s[6:7] scale_offset
	global_load_b64 v[16:17], v8, s[8:9] scale_offset
	s_wait_xcnt 0x0
	v_add_nc_u32_e32 v8, 16, v8
	s_delay_alu instid0(VALU_DEP_1)
	v_cmp_ge_i32_e64 s1, v8, v7
	s_or_b32 s19, s1, s19
	s_wait_loadcnt 0x1
	global_load_b64 v[18:19], v9, s[10:11] scale_offset
	s_wait_loadcnt 0x1
	v_mul_f64_e32 v[16:17], v[2:3], v[16:17]
	s_wait_loadcnt 0x0
	s_delay_alu instid0(VALU_DEP_1)
	v_fmac_f64_e32 v[0:1], v[16:17], v[18:19]
	s_wait_xcnt 0x0
	s_and_not1_b32 exec_lo, exec_lo, s19
	s_cbranch_execnz .LBB36_11
; %bb.12:                               ;   in Loop: Header=BB36_9 Depth=1
	s_or_b32 exec_lo, exec_lo, s19
.LBB36_13:                              ;   in Loop: Header=BB36_9 Depth=1
	s_delay_alu instid0(SALU_CYCLE_1)
	s_or_b32 exec_lo, exec_lo, s18
	ds_bpermute_b32 v8, v11, v0
	s_wait_dscnt 0x1
	ds_bpermute_b32 v9, v11, v1
	s_wait_dscnt 0x0
	v_dual_add_f64 v[0:1], v[0:1], v[8:9] :: v_dual_ashrrev_i32 v7, 31, v6
	ds_bpermute_b32 v8, v12, v0
	ds_bpermute_b32 v9, v12, v1
	s_wait_dscnt 0x0
	v_add_f64_e32 v[0:1], v[0:1], v[8:9]
	ds_bpermute_b32 v8, v13, v0
	ds_bpermute_b32 v9, v13, v1
	s_wait_dscnt 0x0
	v_add_f64_e32 v[0:1], v[0:1], v[8:9]
	ds_bpermute_b32 v8, v14, v0
	ds_bpermute_b32 v9, v14, v1
	s_and_saveexec_b32 s1, s0
	s_cbranch_execz .LBB36_8
; %bb.14:                               ;   in Loop: Header=BB36_9 Depth=1
	s_wait_dscnt 0x0
	v_add_f64_e32 v[0:1], v[0:1], v[8:9]
	v_lshl_add_u64 v[8:9], v[6:7], 3, s[2:3]
	s_and_saveexec_b32 s18, vcc_lo
	s_cbranch_execz .LBB36_7
; %bb.15:                               ;   in Loop: Header=BB36_9 Depth=1
	global_load_b64 v[16:17], v[8:9], off
	s_wait_loadcnt 0x0
	v_fmac_f64_e32 v[0:1], v[4:5], v[16:17]
	s_branch .LBB36_7
.LBB36_16:
	s_endpgm
	.section	.rodata,"a",@progbits
	.p2align	6, 0x0
	.amdhsa_kernel _ZN9rocsparseL21csrmvn_general_kernelILj256ELj16EiiddddEEvbT2_NS_24const_host_device_scalarIT6_EEPKT1_S7_PKS1_PKT3_PKT4_S4_PT5_21rocsparse_index_base_b
		.amdhsa_group_segment_fixed_size 0
		.amdhsa_private_segment_fixed_size 0
		.amdhsa_kernarg_size 336
		.amdhsa_user_sgpr_count 2
		.amdhsa_user_sgpr_dispatch_ptr 0
		.amdhsa_user_sgpr_queue_ptr 0
		.amdhsa_user_sgpr_kernarg_segment_ptr 1
		.amdhsa_user_sgpr_dispatch_id 0
		.amdhsa_user_sgpr_kernarg_preload_length 0
		.amdhsa_user_sgpr_kernarg_preload_offset 0
		.amdhsa_user_sgpr_private_segment_size 0
		.amdhsa_wavefront_size32 1
		.amdhsa_uses_dynamic_stack 0
		.amdhsa_enable_private_segment 0
		.amdhsa_system_sgpr_workgroup_id_x 1
		.amdhsa_system_sgpr_workgroup_id_y 0
		.amdhsa_system_sgpr_workgroup_id_z 0
		.amdhsa_system_sgpr_workgroup_info 0
		.amdhsa_system_vgpr_workitem_id 0
		.amdhsa_next_free_vgpr 20
		.amdhsa_next_free_sgpr 21
		.amdhsa_named_barrier_count 0
		.amdhsa_reserve_vcc 1
		.amdhsa_float_round_mode_32 0
		.amdhsa_float_round_mode_16_64 0
		.amdhsa_float_denorm_mode_32 3
		.amdhsa_float_denorm_mode_16_64 3
		.amdhsa_fp16_overflow 0
		.amdhsa_memory_ordered 1
		.amdhsa_forward_progress 1
		.amdhsa_inst_pref_size 7
		.amdhsa_round_robin_scheduling 0
		.amdhsa_exception_fp_ieee_invalid_op 0
		.amdhsa_exception_fp_denorm_src 0
		.amdhsa_exception_fp_ieee_div_zero 0
		.amdhsa_exception_fp_ieee_overflow 0
		.amdhsa_exception_fp_ieee_underflow 0
		.amdhsa_exception_fp_ieee_inexact 0
		.amdhsa_exception_int_div_zero 0
	.end_amdhsa_kernel
	.section	.text._ZN9rocsparseL21csrmvn_general_kernelILj256ELj16EiiddddEEvbT2_NS_24const_host_device_scalarIT6_EEPKT1_S7_PKS1_PKT3_PKT4_S4_PT5_21rocsparse_index_base_b,"axG",@progbits,_ZN9rocsparseL21csrmvn_general_kernelILj256ELj16EiiddddEEvbT2_NS_24const_host_device_scalarIT6_EEPKT1_S7_PKS1_PKT3_PKT4_S4_PT5_21rocsparse_index_base_b,comdat
.Lfunc_end36:
	.size	_ZN9rocsparseL21csrmvn_general_kernelILj256ELj16EiiddddEEvbT2_NS_24const_host_device_scalarIT6_EEPKT1_S7_PKS1_PKT3_PKT4_S4_PT5_21rocsparse_index_base_b, .Lfunc_end36-_ZN9rocsparseL21csrmvn_general_kernelILj256ELj16EiiddddEEvbT2_NS_24const_host_device_scalarIT6_EEPKT1_S7_PKS1_PKT3_PKT4_S4_PT5_21rocsparse_index_base_b
                                        ; -- End function
	.set _ZN9rocsparseL21csrmvn_general_kernelILj256ELj16EiiddddEEvbT2_NS_24const_host_device_scalarIT6_EEPKT1_S7_PKS1_PKT3_PKT4_S4_PT5_21rocsparse_index_base_b.num_vgpr, 20
	.set _ZN9rocsparseL21csrmvn_general_kernelILj256ELj16EiiddddEEvbT2_NS_24const_host_device_scalarIT6_EEPKT1_S7_PKS1_PKT3_PKT4_S4_PT5_21rocsparse_index_base_b.num_agpr, 0
	.set _ZN9rocsparseL21csrmvn_general_kernelILj256ELj16EiiddddEEvbT2_NS_24const_host_device_scalarIT6_EEPKT1_S7_PKS1_PKT3_PKT4_S4_PT5_21rocsparse_index_base_b.numbered_sgpr, 21
	.set _ZN9rocsparseL21csrmvn_general_kernelILj256ELj16EiiddddEEvbT2_NS_24const_host_device_scalarIT6_EEPKT1_S7_PKS1_PKT3_PKT4_S4_PT5_21rocsparse_index_base_b.num_named_barrier, 0
	.set _ZN9rocsparseL21csrmvn_general_kernelILj256ELj16EiiddddEEvbT2_NS_24const_host_device_scalarIT6_EEPKT1_S7_PKS1_PKT3_PKT4_S4_PT5_21rocsparse_index_base_b.private_seg_size, 0
	.set _ZN9rocsparseL21csrmvn_general_kernelILj256ELj16EiiddddEEvbT2_NS_24const_host_device_scalarIT6_EEPKT1_S7_PKS1_PKT3_PKT4_S4_PT5_21rocsparse_index_base_b.uses_vcc, 1
	.set _ZN9rocsparseL21csrmvn_general_kernelILj256ELj16EiiddddEEvbT2_NS_24const_host_device_scalarIT6_EEPKT1_S7_PKS1_PKT3_PKT4_S4_PT5_21rocsparse_index_base_b.uses_flat_scratch, 0
	.set _ZN9rocsparseL21csrmvn_general_kernelILj256ELj16EiiddddEEvbT2_NS_24const_host_device_scalarIT6_EEPKT1_S7_PKS1_PKT3_PKT4_S4_PT5_21rocsparse_index_base_b.has_dyn_sized_stack, 0
	.set _ZN9rocsparseL21csrmvn_general_kernelILj256ELj16EiiddddEEvbT2_NS_24const_host_device_scalarIT6_EEPKT1_S7_PKS1_PKT3_PKT4_S4_PT5_21rocsparse_index_base_b.has_recursion, 0
	.set _ZN9rocsparseL21csrmvn_general_kernelILj256ELj16EiiddddEEvbT2_NS_24const_host_device_scalarIT6_EEPKT1_S7_PKS1_PKT3_PKT4_S4_PT5_21rocsparse_index_base_b.has_indirect_call, 0
	.section	.AMDGPU.csdata,"",@progbits
; Kernel info:
; codeLenInByte = 832
; TotalNumSgprs: 23
; NumVgprs: 20
; ScratchSize: 0
; MemoryBound: 1
; FloatMode: 240
; IeeeMode: 1
; LDSByteSize: 0 bytes/workgroup (compile time only)
; SGPRBlocks: 0
; VGPRBlocks: 1
; NumSGPRsForWavesPerEU: 23
; NumVGPRsForWavesPerEU: 20
; NamedBarCnt: 0
; Occupancy: 16
; WaveLimiterHint : 1
; COMPUTE_PGM_RSRC2:SCRATCH_EN: 0
; COMPUTE_PGM_RSRC2:USER_SGPR: 2
; COMPUTE_PGM_RSRC2:TRAP_HANDLER: 0
; COMPUTE_PGM_RSRC2:TGID_X_EN: 1
; COMPUTE_PGM_RSRC2:TGID_Y_EN: 0
; COMPUTE_PGM_RSRC2:TGID_Z_EN: 0
; COMPUTE_PGM_RSRC2:TIDIG_COMP_CNT: 0
	.section	.text._ZN9rocsparseL21csrmvn_general_kernelILj256ELj32EiiddddEEvbT2_NS_24const_host_device_scalarIT6_EEPKT1_S7_PKS1_PKT3_PKT4_S4_PT5_21rocsparse_index_base_b,"axG",@progbits,_ZN9rocsparseL21csrmvn_general_kernelILj256ELj32EiiddddEEvbT2_NS_24const_host_device_scalarIT6_EEPKT1_S7_PKS1_PKT3_PKT4_S4_PT5_21rocsparse_index_base_b,comdat
	.globl	_ZN9rocsparseL21csrmvn_general_kernelILj256ELj32EiiddddEEvbT2_NS_24const_host_device_scalarIT6_EEPKT1_S7_PKS1_PKT3_PKT4_S4_PT5_21rocsparse_index_base_b ; -- Begin function _ZN9rocsparseL21csrmvn_general_kernelILj256ELj32EiiddddEEvbT2_NS_24const_host_device_scalarIT6_EEPKT1_S7_PKS1_PKT3_PKT4_S4_PT5_21rocsparse_index_base_b
	.p2align	8
	.type	_ZN9rocsparseL21csrmvn_general_kernelILj256ELj32EiiddddEEvbT2_NS_24const_host_device_scalarIT6_EEPKT1_S7_PKS1_PKT3_PKT4_S4_PT5_21rocsparse_index_base_b,@function
_ZN9rocsparseL21csrmvn_general_kernelILj256ELj32EiiddddEEvbT2_NS_24const_host_device_scalarIT6_EEPKT1_S7_PKS1_PKT3_PKT4_S4_PT5_21rocsparse_index_base_b: ; @_ZN9rocsparseL21csrmvn_general_kernelILj256ELj32EiiddddEEvbT2_NS_24const_host_device_scalarIT6_EEPKT1_S7_PKS1_PKT3_PKT4_S4_PT5_21rocsparse_index_base_b
; %bb.0:
	s_clause 0x2
	s_load_b64 s[16:17], s[0:1], 0x48
	s_load_b128 s[12:15], s[0:1], 0x8
	s_load_b64 s[2:3], s[0:1], 0x38
	s_wait_kmcnt 0x0
	s_bitcmp1_b32 s17, 0
	v_mov_b64_e32 v[2:3], s[12:13]
	s_cselect_b32 s4, -1, 0
	s_delay_alu instid0(SALU_CYCLE_1)
	s_and_b32 vcc_lo, exec_lo, s4
	s_xor_b32 s4, s4, -1
	s_cbranch_vccnz .LBB37_2
; %bb.1:
	v_mov_b32_e32 v1, 0
	flat_load_b64 v[2:3], v1, s[12:13]
.LBB37_2:
	v_mov_b64_e32 v[4:5], s[2:3]
	s_and_not1_b32 vcc_lo, exec_lo, s4
	s_cbranch_vccnz .LBB37_4
; %bb.3:
	s_wait_xcnt 0x0
	v_mov_b32_e32 v1, 0
	flat_load_b64 v[4:5], v1, s[2:3]
.LBB37_4:
	s_wait_loadcnt_dscnt 0x0
	v_cmp_neq_f64_e32 vcc_lo, 0, v[2:3]
	s_delay_alu instid0(VALU_DEP_2) | instskip(SKIP_1) | instid1(SALU_CYCLE_1)
	v_cmp_neq_f64_e64 s2, 1.0, v[4:5]
	s_or_b32 s2, vcc_lo, s2
	s_and_saveexec_b32 s3, s2
	s_cbranch_execz .LBB37_16
; %bb.5:
	s_bfe_u32 s2, ttmp6, 0x4000c
	s_load_b32 s12, s[0:1], 0x4
	s_add_co_i32 s2, s2, 1
	s_and_b32 s3, ttmp6, 15
	s_mul_i32 s2, ttmp9, s2
	s_getreg_b32 s4, hwreg(HW_REG_IB_STS2, 6, 4)
	s_add_co_i32 s3, s3, s2
	s_cmp_eq_u32 s4, 0
	s_mov_b32 s13, 0
	s_cselect_b32 s2, ttmp9, s3
	s_delay_alu instid0(SALU_CYCLE_1) | instskip(NEXT) | instid1(VALU_DEP_1)
	v_lshl_or_b32 v1, s2, 8, v0
	v_lshrrev_b32_e32 v6, 5, v1
	s_wait_kmcnt 0x0
	s_delay_alu instid0(VALU_DEP_1)
	v_cmp_gt_i32_e32 vcc_lo, s12, v6
	s_and_b32 exec_lo, exec_lo, vcc_lo
	s_cbranch_execz .LBB37_16
; %bb.6:
	v_mbcnt_lo_u32_b32 v1, -1, 0
	s_clause 0x2
	s_load_b256 s[4:11], s[0:1], 0x18
	s_load_b64 s[2:3], s[0:1], 0x40
	s_load_b32 s20, s[0:1], 0x50
	s_ashr_i32 s17, s16, 31
	v_cmp_neq_f64_e32 vcc_lo, 0, v[4:5]
	v_xor_b32_e32 v11, 2, v1
	v_xor_b32_e32 v8, 8, v1
	;; [unrolled: 1-line block ×3, first 2 shown]
	s_lshl_b64 s[18:19], s[16:17], 3
	s_wait_xcnt 0x0
	s_delay_alu instid0(VALU_DEP_1) | instskip(NEXT) | instid1(VALU_DEP_1)
	v_cmp_gt_i32_e64 s0, 32, v7
	v_dual_cndmask_b32 v7, v1, v7, s0 :: v_dual_bitop2_b32 v0, 31, v0 bitop3:0x40
	v_cmp_gt_i32_e64 s0, 32, v8
	v_xor_b32_e32 v12, 1, v1
	v_xor_b32_e32 v9, 4, v1
	s_delay_alu instid0(VALU_DEP_4)
	v_subrev_nc_u32_e32 v10, s16, v0
	s_wait_kmcnt 0x0
	s_lshl_b32 s17, s20, 3
	v_cndmask_b32_e64 v8, v1, v8, s0
	s_sub_nc_u64 s[10:11], s[10:11], s[18:19]
	v_cmp_gt_i32_e64 s0, 32, v9
	s_delay_alu instid0(VALU_DEP_1) | instskip(SKIP_1) | instid1(VALU_DEP_1)
	v_cndmask_b32_e64 v9, v1, v9, s0
	v_cmp_gt_i32_e64 s0, 32, v11
	v_cndmask_b32_e64 v14, v1, v11, s0
	v_lshlrev_b32_e32 v11, 2, v7
	v_cmp_gt_i32_e64 s0, 32, v12
	s_delay_alu instid0(VALU_DEP_3) | instskip(NEXT) | instid1(VALU_DEP_2)
	v_dual_lshlrev_b32 v14, 2, v14 :: v_dual_lshlrev_b32 v13, 2, v9
	v_cndmask_b32_e64 v1, v1, v12, s0
	v_lshlrev_b32_e32 v12, 2, v8
	v_cmp_eq_u32_e64 s0, 31, v0
	s_delay_alu instid0(VALU_DEP_3)
	v_lshlrev_b32_e32 v15, 2, v1
	s_branch .LBB37_9
.LBB37_7:                               ;   in Loop: Header=BB37_9 Depth=1
	s_wait_xcnt 0x0
	s_or_b32 exec_lo, exec_lo, s18
	global_store_b64 v[8:9], v[0:1], off
.LBB37_8:                               ;   in Loop: Header=BB37_9 Depth=1
	s_wait_xcnt 0x0
	s_or_b32 exec_lo, exec_lo, s1
	v_add_nc_u32_e32 v6, s17, v6
	s_delay_alu instid0(VALU_DEP_1) | instskip(SKIP_1) | instid1(SALU_CYCLE_1)
	v_cmp_le_i32_e64 s1, s12, v6
	s_or_b32 s13, s1, s13
	s_and_not1_b32 exec_lo, exec_lo, s13
	s_cbranch_execz .LBB37_16
.LBB37_9:                               ; =>This Loop Header: Depth=1
                                        ;     Child Loop BB37_11 Depth 2
	s_clause 0x1
	global_load_b32 v0, v6, s[4:5] scale_offset
	global_load_b32 v1, v6, s[14:15] scale_offset
	s_mov_b32 s18, exec_lo
	s_wait_loadcnt 0x1
	v_subrev_nc_u32_e32 v7, s16, v0
	s_wait_loadcnt_dscnt 0x1
	v_add_nc_u32_e32 v8, v1, v10
	v_mov_b64_e32 v[0:1], 0
	s_wait_xcnt 0x0
	s_delay_alu instid0(VALU_DEP_2)
	v_cmpx_lt_i32_e64 v8, v7
	s_cbranch_execz .LBB37_13
; %bb.10:                               ;   in Loop: Header=BB37_9 Depth=1
	v_mov_b64_e32 v[0:1], 0
	s_mov_b32 s19, 0
.LBB37_11:                              ;   Parent Loop BB37_9 Depth=1
                                        ; =>  This Inner Loop Header: Depth=2
	s_wait_dscnt 0x0
	s_clause 0x1
	global_load_b32 v9, v8, s[6:7] scale_offset
	global_load_b64 v[16:17], v8, s[8:9] scale_offset
	s_wait_xcnt 0x0
	v_add_nc_u32_e32 v8, 32, v8
	s_delay_alu instid0(VALU_DEP_1)
	v_cmp_ge_i32_e64 s1, v8, v7
	s_or_b32 s19, s1, s19
	s_wait_loadcnt 0x1
	global_load_b64 v[18:19], v9, s[10:11] scale_offset
	s_wait_loadcnt 0x1
	v_mul_f64_e32 v[16:17], v[2:3], v[16:17]
	s_wait_loadcnt 0x0
	s_delay_alu instid0(VALU_DEP_1)
	v_fmac_f64_e32 v[0:1], v[16:17], v[18:19]
	s_wait_xcnt 0x0
	s_and_not1_b32 exec_lo, exec_lo, s19
	s_cbranch_execnz .LBB37_11
; %bb.12:                               ;   in Loop: Header=BB37_9 Depth=1
	s_or_b32 exec_lo, exec_lo, s19
.LBB37_13:                              ;   in Loop: Header=BB37_9 Depth=1
	s_delay_alu instid0(SALU_CYCLE_1)
	s_or_b32 exec_lo, exec_lo, s18
	ds_bpermute_b32 v8, v11, v0
	s_wait_dscnt 0x1
	ds_bpermute_b32 v9, v11, v1
	s_wait_dscnt 0x0
	v_dual_add_f64 v[0:1], v[0:1], v[8:9] :: v_dual_ashrrev_i32 v7, 31, v6
	ds_bpermute_b32 v8, v12, v0
	ds_bpermute_b32 v9, v12, v1
	s_wait_dscnt 0x0
	v_add_f64_e32 v[0:1], v[0:1], v[8:9]
	ds_bpermute_b32 v8, v13, v0
	ds_bpermute_b32 v9, v13, v1
	s_wait_dscnt 0x0
	v_add_f64_e32 v[0:1], v[0:1], v[8:9]
	;; [unrolled: 4-line block ×3, first 2 shown]
	ds_bpermute_b32 v8, v15, v0
	ds_bpermute_b32 v9, v15, v1
	s_and_saveexec_b32 s1, s0
	s_cbranch_execz .LBB37_8
; %bb.14:                               ;   in Loop: Header=BB37_9 Depth=1
	s_wait_dscnt 0x0
	v_add_f64_e32 v[0:1], v[0:1], v[8:9]
	v_lshl_add_u64 v[8:9], v[6:7], 3, s[2:3]
	s_and_saveexec_b32 s18, vcc_lo
	s_cbranch_execz .LBB37_7
; %bb.15:                               ;   in Loop: Header=BB37_9 Depth=1
	global_load_b64 v[16:17], v[8:9], off
	s_wait_loadcnt 0x0
	v_fmac_f64_e32 v[0:1], v[4:5], v[16:17]
	s_branch .LBB37_7
.LBB37_16:
	s_endpgm
	.section	.rodata,"a",@progbits
	.p2align	6, 0x0
	.amdhsa_kernel _ZN9rocsparseL21csrmvn_general_kernelILj256ELj32EiiddddEEvbT2_NS_24const_host_device_scalarIT6_EEPKT1_S7_PKS1_PKT3_PKT4_S4_PT5_21rocsparse_index_base_b
		.amdhsa_group_segment_fixed_size 0
		.amdhsa_private_segment_fixed_size 0
		.amdhsa_kernarg_size 336
		.amdhsa_user_sgpr_count 2
		.amdhsa_user_sgpr_dispatch_ptr 0
		.amdhsa_user_sgpr_queue_ptr 0
		.amdhsa_user_sgpr_kernarg_segment_ptr 1
		.amdhsa_user_sgpr_dispatch_id 0
		.amdhsa_user_sgpr_kernarg_preload_length 0
		.amdhsa_user_sgpr_kernarg_preload_offset 0
		.amdhsa_user_sgpr_private_segment_size 0
		.amdhsa_wavefront_size32 1
		.amdhsa_uses_dynamic_stack 0
		.amdhsa_enable_private_segment 0
		.amdhsa_system_sgpr_workgroup_id_x 1
		.amdhsa_system_sgpr_workgroup_id_y 0
		.amdhsa_system_sgpr_workgroup_id_z 0
		.amdhsa_system_sgpr_workgroup_info 0
		.amdhsa_system_vgpr_workitem_id 0
		.amdhsa_next_free_vgpr 20
		.amdhsa_next_free_sgpr 21
		.amdhsa_named_barrier_count 0
		.amdhsa_reserve_vcc 1
		.amdhsa_float_round_mode_32 0
		.amdhsa_float_round_mode_16_64 0
		.amdhsa_float_denorm_mode_32 3
		.amdhsa_float_denorm_mode_16_64 3
		.amdhsa_fp16_overflow 0
		.amdhsa_memory_ordered 1
		.amdhsa_forward_progress 1
		.amdhsa_inst_pref_size 7
		.amdhsa_round_robin_scheduling 0
		.amdhsa_exception_fp_ieee_invalid_op 0
		.amdhsa_exception_fp_denorm_src 0
		.amdhsa_exception_fp_ieee_div_zero 0
		.amdhsa_exception_fp_ieee_overflow 0
		.amdhsa_exception_fp_ieee_underflow 0
		.amdhsa_exception_fp_ieee_inexact 0
		.amdhsa_exception_int_div_zero 0
	.end_amdhsa_kernel
	.section	.text._ZN9rocsparseL21csrmvn_general_kernelILj256ELj32EiiddddEEvbT2_NS_24const_host_device_scalarIT6_EEPKT1_S7_PKS1_PKT3_PKT4_S4_PT5_21rocsparse_index_base_b,"axG",@progbits,_ZN9rocsparseL21csrmvn_general_kernelILj256ELj32EiiddddEEvbT2_NS_24const_host_device_scalarIT6_EEPKT1_S7_PKS1_PKT3_PKT4_S4_PT5_21rocsparse_index_base_b,comdat
.Lfunc_end37:
	.size	_ZN9rocsparseL21csrmvn_general_kernelILj256ELj32EiiddddEEvbT2_NS_24const_host_device_scalarIT6_EEPKT1_S7_PKS1_PKT3_PKT4_S4_PT5_21rocsparse_index_base_b, .Lfunc_end37-_ZN9rocsparseL21csrmvn_general_kernelILj256ELj32EiiddddEEvbT2_NS_24const_host_device_scalarIT6_EEPKT1_S7_PKS1_PKT3_PKT4_S4_PT5_21rocsparse_index_base_b
                                        ; -- End function
	.set _ZN9rocsparseL21csrmvn_general_kernelILj256ELj32EiiddddEEvbT2_NS_24const_host_device_scalarIT6_EEPKT1_S7_PKS1_PKT3_PKT4_S4_PT5_21rocsparse_index_base_b.num_vgpr, 20
	.set _ZN9rocsparseL21csrmvn_general_kernelILj256ELj32EiiddddEEvbT2_NS_24const_host_device_scalarIT6_EEPKT1_S7_PKS1_PKT3_PKT4_S4_PT5_21rocsparse_index_base_b.num_agpr, 0
	.set _ZN9rocsparseL21csrmvn_general_kernelILj256ELj32EiiddddEEvbT2_NS_24const_host_device_scalarIT6_EEPKT1_S7_PKS1_PKT3_PKT4_S4_PT5_21rocsparse_index_base_b.numbered_sgpr, 21
	.set _ZN9rocsparseL21csrmvn_general_kernelILj256ELj32EiiddddEEvbT2_NS_24const_host_device_scalarIT6_EEPKT1_S7_PKS1_PKT3_PKT4_S4_PT5_21rocsparse_index_base_b.num_named_barrier, 0
	.set _ZN9rocsparseL21csrmvn_general_kernelILj256ELj32EiiddddEEvbT2_NS_24const_host_device_scalarIT6_EEPKT1_S7_PKS1_PKT3_PKT4_S4_PT5_21rocsparse_index_base_b.private_seg_size, 0
	.set _ZN9rocsparseL21csrmvn_general_kernelILj256ELj32EiiddddEEvbT2_NS_24const_host_device_scalarIT6_EEPKT1_S7_PKS1_PKT3_PKT4_S4_PT5_21rocsparse_index_base_b.uses_vcc, 1
	.set _ZN9rocsparseL21csrmvn_general_kernelILj256ELj32EiiddddEEvbT2_NS_24const_host_device_scalarIT6_EEPKT1_S7_PKS1_PKT3_PKT4_S4_PT5_21rocsparse_index_base_b.uses_flat_scratch, 0
	.set _ZN9rocsparseL21csrmvn_general_kernelILj256ELj32EiiddddEEvbT2_NS_24const_host_device_scalarIT6_EEPKT1_S7_PKS1_PKT3_PKT4_S4_PT5_21rocsparse_index_base_b.has_dyn_sized_stack, 0
	.set _ZN9rocsparseL21csrmvn_general_kernelILj256ELj32EiiddddEEvbT2_NS_24const_host_device_scalarIT6_EEPKT1_S7_PKS1_PKT3_PKT4_S4_PT5_21rocsparse_index_base_b.has_recursion, 0
	.set _ZN9rocsparseL21csrmvn_general_kernelILj256ELj32EiiddddEEvbT2_NS_24const_host_device_scalarIT6_EEPKT1_S7_PKS1_PKT3_PKT4_S4_PT5_21rocsparse_index_base_b.has_indirect_call, 0
	.section	.AMDGPU.csdata,"",@progbits
; Kernel info:
; codeLenInByte = 888
; TotalNumSgprs: 23
; NumVgprs: 20
; ScratchSize: 0
; MemoryBound: 1
; FloatMode: 240
; IeeeMode: 1
; LDSByteSize: 0 bytes/workgroup (compile time only)
; SGPRBlocks: 0
; VGPRBlocks: 1
; NumSGPRsForWavesPerEU: 23
; NumVGPRsForWavesPerEU: 20
; NamedBarCnt: 0
; Occupancy: 16
; WaveLimiterHint : 1
; COMPUTE_PGM_RSRC2:SCRATCH_EN: 0
; COMPUTE_PGM_RSRC2:USER_SGPR: 2
; COMPUTE_PGM_RSRC2:TRAP_HANDLER: 0
; COMPUTE_PGM_RSRC2:TGID_X_EN: 1
; COMPUTE_PGM_RSRC2:TGID_Y_EN: 0
; COMPUTE_PGM_RSRC2:TGID_Z_EN: 0
; COMPUTE_PGM_RSRC2:TIDIG_COMP_CNT: 0
	.section	.text._ZN9rocsparseL21csrmvn_general_kernelILj256ELj64EiiddddEEvbT2_NS_24const_host_device_scalarIT6_EEPKT1_S7_PKS1_PKT3_PKT4_S4_PT5_21rocsparse_index_base_b,"axG",@progbits,_ZN9rocsparseL21csrmvn_general_kernelILj256ELj64EiiddddEEvbT2_NS_24const_host_device_scalarIT6_EEPKT1_S7_PKS1_PKT3_PKT4_S4_PT5_21rocsparse_index_base_b,comdat
	.globl	_ZN9rocsparseL21csrmvn_general_kernelILj256ELj64EiiddddEEvbT2_NS_24const_host_device_scalarIT6_EEPKT1_S7_PKS1_PKT3_PKT4_S4_PT5_21rocsparse_index_base_b ; -- Begin function _ZN9rocsparseL21csrmvn_general_kernelILj256ELj64EiiddddEEvbT2_NS_24const_host_device_scalarIT6_EEPKT1_S7_PKS1_PKT3_PKT4_S4_PT5_21rocsparse_index_base_b
	.p2align	8
	.type	_ZN9rocsparseL21csrmvn_general_kernelILj256ELj64EiiddddEEvbT2_NS_24const_host_device_scalarIT6_EEPKT1_S7_PKS1_PKT3_PKT4_S4_PT5_21rocsparse_index_base_b,@function
_ZN9rocsparseL21csrmvn_general_kernelILj256ELj64EiiddddEEvbT2_NS_24const_host_device_scalarIT6_EEPKT1_S7_PKS1_PKT3_PKT4_S4_PT5_21rocsparse_index_base_b: ; @_ZN9rocsparseL21csrmvn_general_kernelILj256ELj64EiiddddEEvbT2_NS_24const_host_device_scalarIT6_EEPKT1_S7_PKS1_PKT3_PKT4_S4_PT5_21rocsparse_index_base_b
; %bb.0:
	s_clause 0x2
	s_load_b64 s[16:17], s[0:1], 0x48
	s_load_b128 s[12:15], s[0:1], 0x8
	s_load_b64 s[2:3], s[0:1], 0x38
	s_wait_kmcnt 0x0
	s_bitcmp1_b32 s17, 0
	v_mov_b64_e32 v[2:3], s[12:13]
	s_cselect_b32 s4, -1, 0
	s_delay_alu instid0(SALU_CYCLE_1)
	s_and_b32 vcc_lo, exec_lo, s4
	s_xor_b32 s4, s4, -1
	s_cbranch_vccnz .LBB38_2
; %bb.1:
	v_mov_b32_e32 v1, 0
	flat_load_b64 v[2:3], v1, s[12:13]
.LBB38_2:
	v_mov_b64_e32 v[4:5], s[2:3]
	s_and_not1_b32 vcc_lo, exec_lo, s4
	s_cbranch_vccnz .LBB38_4
; %bb.3:
	s_wait_xcnt 0x0
	v_mov_b32_e32 v1, 0
	flat_load_b64 v[4:5], v1, s[2:3]
.LBB38_4:
	s_wait_loadcnt_dscnt 0x0
	v_cmp_neq_f64_e32 vcc_lo, 0, v[2:3]
	s_delay_alu instid0(VALU_DEP_2) | instskip(SKIP_1) | instid1(SALU_CYCLE_1)
	v_cmp_neq_f64_e64 s2, 1.0, v[4:5]
	s_or_b32 s2, vcc_lo, s2
	s_and_saveexec_b32 s3, s2
	s_cbranch_execz .LBB38_16
; %bb.5:
	s_bfe_u32 s2, ttmp6, 0x4000c
	s_load_b32 s12, s[0:1], 0x4
	s_add_co_i32 s2, s2, 1
	s_and_b32 s3, ttmp6, 15
	s_mul_i32 s2, ttmp9, s2
	s_getreg_b32 s4, hwreg(HW_REG_IB_STS2, 6, 4)
	s_add_co_i32 s3, s3, s2
	s_cmp_eq_u32 s4, 0
	s_mov_b32 s13, 0
	s_cselect_b32 s2, ttmp9, s3
	s_delay_alu instid0(SALU_CYCLE_1) | instskip(NEXT) | instid1(VALU_DEP_1)
	v_lshl_or_b32 v1, s2, 8, v0
	v_lshrrev_b32_e32 v6, 6, v1
	s_wait_kmcnt 0x0
	s_delay_alu instid0(VALU_DEP_1)
	v_cmp_gt_i32_e32 vcc_lo, s12, v6
	s_and_b32 exec_lo, exec_lo, vcc_lo
	s_cbranch_execz .LBB38_16
; %bb.6:
	v_mbcnt_lo_u32_b32 v1, -1, 0
	s_clause 0x2
	s_load_b256 s[4:11], s[0:1], 0x18
	s_load_b64 s[2:3], s[0:1], 0x40
	s_load_b32 s20, s[0:1], 0x50
	s_ashr_i32 s17, s16, 31
	v_cmp_neq_f64_e32 vcc_lo, 0, v[4:5]
	s_lshl_b64 s[18:19], s[16:17], 3
	v_xor_b32_e32 v8, 16, v1
	v_or_b32_e32 v7, 32, v1
	v_xor_b32_e32 v12, 2, v1
	s_wait_xcnt 0x0
	s_delay_alu instid0(VALU_DEP_2) | instskip(NEXT) | instid1(VALU_DEP_1)
	v_cmp_gt_i32_e64 s0, 32, v7
	v_dual_cndmask_b32 v7, v1, v7, s0 :: v_dual_bitop2_b32 v0, 63, v0 bitop3:0x40
	s_delay_alu instid0(VALU_DEP_1) | instskip(SKIP_2) | instid1(VALU_DEP_2)
	v_subrev_nc_u32_e32 v10, s16, v0
	s_wait_kmcnt 0x0
	s_sub_nc_u64 s[10:11], s[10:11], s[18:19]
	v_lshlrev_b32_e32 v11, 2, v7
	v_cmp_gt_i32_e64 s0, 32, v8
	v_xor_b32_e32 v7, 4, v1
	v_xor_b32_e32 v9, 8, v1
	s_lshl_b32 s17, s20, 2
	v_cndmask_b32_e64 v8, v1, v8, s0
	s_delay_alu instid0(VALU_DEP_2) | instskip(NEXT) | instid1(VALU_DEP_1)
	v_cmp_gt_i32_e64 s0, 32, v9
	v_cndmask_b32_e64 v9, v1, v9, s0
	v_cmp_gt_i32_e64 s0, 32, v7
	s_delay_alu instid0(VALU_DEP_1) | instskip(NEXT) | instid1(VALU_DEP_1)
	v_cndmask_b32_e64 v7, v1, v7, s0
	v_lshlrev_b32_e32 v14, 2, v7
	v_cmp_gt_i32_e64 s0, 32, v12
	s_delay_alu instid0(VALU_DEP_1) | instskip(NEXT) | instid1(VALU_DEP_1)
	v_dual_cndmask_b32 v15, v1, v12, s0 :: v_dual_bitop2_b32 v13, 1, v1 bitop3:0x14
	v_dual_lshlrev_b32 v12, 2, v8 :: v_dual_lshlrev_b32 v15, 2, v15
	s_delay_alu instid0(VALU_DEP_2) | instskip(NEXT) | instid1(VALU_DEP_1)
	v_cmp_gt_i32_e64 s0, 32, v13
	v_cndmask_b32_e64 v1, v1, v13, s0
	v_lshlrev_b32_e32 v13, 2, v9
	v_cmp_eq_u32_e64 s0, 63, v0
	s_delay_alu instid0(VALU_DEP_3)
	v_lshlrev_b32_e32 v16, 2, v1
	s_branch .LBB38_9
.LBB38_7:                               ;   in Loop: Header=BB38_9 Depth=1
	s_wait_xcnt 0x0
	s_or_b32 exec_lo, exec_lo, s18
	global_store_b64 v[8:9], v[0:1], off
.LBB38_8:                               ;   in Loop: Header=BB38_9 Depth=1
	s_wait_xcnt 0x0
	s_or_b32 exec_lo, exec_lo, s1
	v_add_nc_u32_e32 v6, s17, v6
	s_delay_alu instid0(VALU_DEP_1) | instskip(SKIP_1) | instid1(SALU_CYCLE_1)
	v_cmp_le_i32_e64 s1, s12, v6
	s_or_b32 s13, s1, s13
	s_and_not1_b32 exec_lo, exec_lo, s13
	s_cbranch_execz .LBB38_16
.LBB38_9:                               ; =>This Loop Header: Depth=1
                                        ;     Child Loop BB38_11 Depth 2
	s_clause 0x1
	global_load_b32 v0, v6, s[4:5] scale_offset
	global_load_b32 v1, v6, s[14:15] scale_offset
	s_mov_b32 s18, exec_lo
	s_wait_loadcnt 0x1
	v_subrev_nc_u32_e32 v7, s16, v0
	s_wait_loadcnt_dscnt 0x1
	v_add_nc_u32_e32 v8, v1, v10
	v_mov_b64_e32 v[0:1], 0
	s_wait_xcnt 0x0
	s_delay_alu instid0(VALU_DEP_2)
	v_cmpx_lt_i32_e64 v8, v7
	s_cbranch_execz .LBB38_13
; %bb.10:                               ;   in Loop: Header=BB38_9 Depth=1
	v_mov_b64_e32 v[0:1], 0
	s_mov_b32 s19, 0
.LBB38_11:                              ;   Parent Loop BB38_9 Depth=1
                                        ; =>  This Inner Loop Header: Depth=2
	s_wait_dscnt 0x0
	s_clause 0x1
	global_load_b32 v9, v8, s[6:7] scale_offset
	global_load_b64 v[18:19], v8, s[8:9] scale_offset
	s_wait_xcnt 0x0
	v_add_nc_u32_e32 v8, 64, v8
	s_delay_alu instid0(VALU_DEP_1)
	v_cmp_ge_i32_e64 s1, v8, v7
	s_or_b32 s19, s1, s19
	s_wait_loadcnt 0x1
	global_load_b64 v[20:21], v9, s[10:11] scale_offset
	s_wait_loadcnt 0x1
	v_mul_f64_e32 v[18:19], v[2:3], v[18:19]
	s_wait_loadcnt 0x0
	s_delay_alu instid0(VALU_DEP_1)
	v_fmac_f64_e32 v[0:1], v[18:19], v[20:21]
	s_wait_xcnt 0x0
	s_and_not1_b32 exec_lo, exec_lo, s19
	s_cbranch_execnz .LBB38_11
; %bb.12:                               ;   in Loop: Header=BB38_9 Depth=1
	s_or_b32 exec_lo, exec_lo, s19
.LBB38_13:                              ;   in Loop: Header=BB38_9 Depth=1
	s_delay_alu instid0(SALU_CYCLE_1)
	s_or_b32 exec_lo, exec_lo, s18
	ds_bpermute_b32 v8, v11, v0
	s_wait_dscnt 0x1
	ds_bpermute_b32 v9, v11, v1
	s_wait_dscnt 0x0
	v_dual_add_f64 v[0:1], v[0:1], v[8:9] :: v_dual_ashrrev_i32 v7, 31, v6
	ds_bpermute_b32 v8, v12, v0
	ds_bpermute_b32 v9, v12, v1
	s_wait_dscnt 0x0
	v_add_f64_e32 v[0:1], v[0:1], v[8:9]
	ds_bpermute_b32 v8, v13, v0
	ds_bpermute_b32 v9, v13, v1
	s_wait_dscnt 0x0
	v_add_f64_e32 v[0:1], v[0:1], v[8:9]
	;; [unrolled: 4-line block ×4, first 2 shown]
	ds_bpermute_b32 v8, v16, v0
	ds_bpermute_b32 v9, v16, v1
	s_and_saveexec_b32 s1, s0
	s_cbranch_execz .LBB38_8
; %bb.14:                               ;   in Loop: Header=BB38_9 Depth=1
	s_wait_dscnt 0x0
	v_add_f64_e32 v[0:1], v[0:1], v[8:9]
	v_lshl_add_u64 v[8:9], v[6:7], 3, s[2:3]
	s_and_saveexec_b32 s18, vcc_lo
	s_cbranch_execz .LBB38_7
; %bb.15:                               ;   in Loop: Header=BB38_9 Depth=1
	global_load_b64 v[18:19], v[8:9], off
	s_wait_loadcnt 0x0
	v_fmac_f64_e32 v[0:1], v[4:5], v[18:19]
	s_branch .LBB38_7
.LBB38_16:
	s_endpgm
	.section	.rodata,"a",@progbits
	.p2align	6, 0x0
	.amdhsa_kernel _ZN9rocsparseL21csrmvn_general_kernelILj256ELj64EiiddddEEvbT2_NS_24const_host_device_scalarIT6_EEPKT1_S7_PKS1_PKT3_PKT4_S4_PT5_21rocsparse_index_base_b
		.amdhsa_group_segment_fixed_size 0
		.amdhsa_private_segment_fixed_size 0
		.amdhsa_kernarg_size 336
		.amdhsa_user_sgpr_count 2
		.amdhsa_user_sgpr_dispatch_ptr 0
		.amdhsa_user_sgpr_queue_ptr 0
		.amdhsa_user_sgpr_kernarg_segment_ptr 1
		.amdhsa_user_sgpr_dispatch_id 0
		.amdhsa_user_sgpr_kernarg_preload_length 0
		.amdhsa_user_sgpr_kernarg_preload_offset 0
		.amdhsa_user_sgpr_private_segment_size 0
		.amdhsa_wavefront_size32 1
		.amdhsa_uses_dynamic_stack 0
		.amdhsa_enable_private_segment 0
		.amdhsa_system_sgpr_workgroup_id_x 1
		.amdhsa_system_sgpr_workgroup_id_y 0
		.amdhsa_system_sgpr_workgroup_id_z 0
		.amdhsa_system_sgpr_workgroup_info 0
		.amdhsa_system_vgpr_workitem_id 0
		.amdhsa_next_free_vgpr 22
		.amdhsa_next_free_sgpr 21
		.amdhsa_named_barrier_count 0
		.amdhsa_reserve_vcc 1
		.amdhsa_float_round_mode_32 0
		.amdhsa_float_round_mode_16_64 0
		.amdhsa_float_denorm_mode_32 3
		.amdhsa_float_denorm_mode_16_64 3
		.amdhsa_fp16_overflow 0
		.amdhsa_memory_ordered 1
		.amdhsa_forward_progress 1
		.amdhsa_inst_pref_size 8
		.amdhsa_round_robin_scheduling 0
		.amdhsa_exception_fp_ieee_invalid_op 0
		.amdhsa_exception_fp_denorm_src 0
		.amdhsa_exception_fp_ieee_div_zero 0
		.amdhsa_exception_fp_ieee_overflow 0
		.amdhsa_exception_fp_ieee_underflow 0
		.amdhsa_exception_fp_ieee_inexact 0
		.amdhsa_exception_int_div_zero 0
	.end_amdhsa_kernel
	.section	.text._ZN9rocsparseL21csrmvn_general_kernelILj256ELj64EiiddddEEvbT2_NS_24const_host_device_scalarIT6_EEPKT1_S7_PKS1_PKT3_PKT4_S4_PT5_21rocsparse_index_base_b,"axG",@progbits,_ZN9rocsparseL21csrmvn_general_kernelILj256ELj64EiiddddEEvbT2_NS_24const_host_device_scalarIT6_EEPKT1_S7_PKS1_PKT3_PKT4_S4_PT5_21rocsparse_index_base_b,comdat
.Lfunc_end38:
	.size	_ZN9rocsparseL21csrmvn_general_kernelILj256ELj64EiiddddEEvbT2_NS_24const_host_device_scalarIT6_EEPKT1_S7_PKS1_PKT3_PKT4_S4_PT5_21rocsparse_index_base_b, .Lfunc_end38-_ZN9rocsparseL21csrmvn_general_kernelILj256ELj64EiiddddEEvbT2_NS_24const_host_device_scalarIT6_EEPKT1_S7_PKS1_PKT3_PKT4_S4_PT5_21rocsparse_index_base_b
                                        ; -- End function
	.set _ZN9rocsparseL21csrmvn_general_kernelILj256ELj64EiiddddEEvbT2_NS_24const_host_device_scalarIT6_EEPKT1_S7_PKS1_PKT3_PKT4_S4_PT5_21rocsparse_index_base_b.num_vgpr, 22
	.set _ZN9rocsparseL21csrmvn_general_kernelILj256ELj64EiiddddEEvbT2_NS_24const_host_device_scalarIT6_EEPKT1_S7_PKS1_PKT3_PKT4_S4_PT5_21rocsparse_index_base_b.num_agpr, 0
	.set _ZN9rocsparseL21csrmvn_general_kernelILj256ELj64EiiddddEEvbT2_NS_24const_host_device_scalarIT6_EEPKT1_S7_PKS1_PKT3_PKT4_S4_PT5_21rocsparse_index_base_b.numbered_sgpr, 21
	.set _ZN9rocsparseL21csrmvn_general_kernelILj256ELj64EiiddddEEvbT2_NS_24const_host_device_scalarIT6_EEPKT1_S7_PKS1_PKT3_PKT4_S4_PT5_21rocsparse_index_base_b.num_named_barrier, 0
	.set _ZN9rocsparseL21csrmvn_general_kernelILj256ELj64EiiddddEEvbT2_NS_24const_host_device_scalarIT6_EEPKT1_S7_PKS1_PKT3_PKT4_S4_PT5_21rocsparse_index_base_b.private_seg_size, 0
	.set _ZN9rocsparseL21csrmvn_general_kernelILj256ELj64EiiddddEEvbT2_NS_24const_host_device_scalarIT6_EEPKT1_S7_PKS1_PKT3_PKT4_S4_PT5_21rocsparse_index_base_b.uses_vcc, 1
	.set _ZN9rocsparseL21csrmvn_general_kernelILj256ELj64EiiddddEEvbT2_NS_24const_host_device_scalarIT6_EEPKT1_S7_PKS1_PKT3_PKT4_S4_PT5_21rocsparse_index_base_b.uses_flat_scratch, 0
	.set _ZN9rocsparseL21csrmvn_general_kernelILj256ELj64EiiddddEEvbT2_NS_24const_host_device_scalarIT6_EEPKT1_S7_PKS1_PKT3_PKT4_S4_PT5_21rocsparse_index_base_b.has_dyn_sized_stack, 0
	.set _ZN9rocsparseL21csrmvn_general_kernelILj256ELj64EiiddddEEvbT2_NS_24const_host_device_scalarIT6_EEPKT1_S7_PKS1_PKT3_PKT4_S4_PT5_21rocsparse_index_base_b.has_recursion, 0
	.set _ZN9rocsparseL21csrmvn_general_kernelILj256ELj64EiiddddEEvbT2_NS_24const_host_device_scalarIT6_EEPKT1_S7_PKS1_PKT3_PKT4_S4_PT5_21rocsparse_index_base_b.has_indirect_call, 0
	.section	.AMDGPU.csdata,"",@progbits
; Kernel info:
; codeLenInByte = 944
; TotalNumSgprs: 23
; NumVgprs: 22
; ScratchSize: 0
; MemoryBound: 1
; FloatMode: 240
; IeeeMode: 1
; LDSByteSize: 0 bytes/workgroup (compile time only)
; SGPRBlocks: 0
; VGPRBlocks: 1
; NumSGPRsForWavesPerEU: 23
; NumVGPRsForWavesPerEU: 22
; NamedBarCnt: 0
; Occupancy: 16
; WaveLimiterHint : 1
; COMPUTE_PGM_RSRC2:SCRATCH_EN: 0
; COMPUTE_PGM_RSRC2:USER_SGPR: 2
; COMPUTE_PGM_RSRC2:TRAP_HANDLER: 0
; COMPUTE_PGM_RSRC2:TGID_X_EN: 1
; COMPUTE_PGM_RSRC2:TGID_Y_EN: 0
; COMPUTE_PGM_RSRC2:TGID_Z_EN: 0
; COMPUTE_PGM_RSRC2:TIDIG_COMP_CNT: 0
	.section	.text._ZN9rocsparseL21csrmvt_general_kernelILj256ELj4EiiddddEEvbbT2_NS_24const_host_device_scalarIT6_EEPKT1_S7_PKS1_PKT3_PKT4_PT5_21rocsparse_index_base_b,"axG",@progbits,_ZN9rocsparseL21csrmvt_general_kernelILj256ELj4EiiddddEEvbbT2_NS_24const_host_device_scalarIT6_EEPKT1_S7_PKS1_PKT3_PKT4_PT5_21rocsparse_index_base_b,comdat
	.globl	_ZN9rocsparseL21csrmvt_general_kernelILj256ELj4EiiddddEEvbbT2_NS_24const_host_device_scalarIT6_EEPKT1_S7_PKS1_PKT3_PKT4_PT5_21rocsparse_index_base_b ; -- Begin function _ZN9rocsparseL21csrmvt_general_kernelILj256ELj4EiiddddEEvbbT2_NS_24const_host_device_scalarIT6_EEPKT1_S7_PKS1_PKT3_PKT4_PT5_21rocsparse_index_base_b
	.p2align	8
	.type	_ZN9rocsparseL21csrmvt_general_kernelILj256ELj4EiiddddEEvbbT2_NS_24const_host_device_scalarIT6_EEPKT1_S7_PKS1_PKT3_PKT4_PT5_21rocsparse_index_base_b,@function
_ZN9rocsparseL21csrmvt_general_kernelILj256ELj4EiiddddEEvbbT2_NS_24const_host_device_scalarIT6_EEPKT1_S7_PKS1_PKT3_PKT4_PT5_21rocsparse_index_base_b: ; @_ZN9rocsparseL21csrmvt_general_kernelILj256ELj4EiiddddEEvbbT2_NS_24const_host_device_scalarIT6_EEPKT1_S7_PKS1_PKT3_PKT4_PT5_21rocsparse_index_base_b
; %bb.0:
	s_clause 0x1
	s_load_b64 s[2:3], s[0:1], 0x40
	s_load_b128 s[12:15], s[0:1], 0x8
	s_wait_kmcnt 0x0
	s_bitcmp1_b32 s3, 0
	v_mov_b64_e32 v[2:3], s[12:13]
	s_cselect_b32 s3, -1, 0
	s_delay_alu instid0(SALU_CYCLE_1)
	s_and_b32 vcc_lo, exec_lo, s3
	s_cbranch_vccnz .LBB39_2
; %bb.1:
	v_mov_b32_e32 v1, 0
	flat_load_b64 v[2:3], v1, s[12:13]
.LBB39_2:
	s_mov_b32 s3, exec_lo
	s_wait_loadcnt_dscnt 0x0
	s_delay_alu instid0(VALU_DEP_1)
	v_cmpx_neq_f64_e32 0, v[2:3]
	s_cbranch_execz .LBB39_20
; %bb.3:
	s_clause 0x3
	s_load_b64 s[12:13], s[0:1], 0x0
	s_load_b32 s3, s[0:1], 0x48
	s_load_b64 s[16:17], s[0:1], 0x38
	s_load_b256 s[4:11], s[0:1], 0x18
	s_wait_xcnt 0x0
	s_bfe_u32 s0, ttmp6, 0x4000c
	s_and_b32 s18, ttmp6, 15
	s_add_co_i32 s0, s0, 1
	s_getreg_b32 s19, hwreg(HW_REG_IB_STS2, 6, 4)
	s_mul_i32 s0, ttmp9, s0
	v_and_b32_e32 v5, 3, v0
	s_add_co_i32 s18, s18, s0
	s_wait_kmcnt 0x0
	s_and_b32 s12, s12, 1
	s_lshl_b32 s1, s3, 6
	s_cmp_eq_u32 s19, 0
	s_mov_b32 s3, -1
	s_cselect_b32 s0, ttmp9, s18
	s_cmp_eq_u32 s12, 0
	v_lshl_or_b32 v1, s0, 8, v0
	s_delay_alu instid0(VALU_DEP_1) | instskip(NEXT) | instid1(VALU_DEP_1)
	v_lshrrev_b32_e32 v4, 2, v1
	v_cmp_gt_i32_e64 s0, s13, v4
	s_cbranch_scc0 .LBB39_11
; %bb.4:
	s_and_saveexec_b32 s3, s0
	s_cbranch_execz .LBB39_10
; %bb.5:
	v_subrev_nc_u32_e32 v8, s2, v5
	v_mov_b32_e32 v0, v4
	s_mov_b32 s12, 0
	s_branch .LBB39_7
.LBB39_6:                               ;   in Loop: Header=BB39_7 Depth=1
	s_or_b32 exec_lo, exec_lo, s18
	v_add_nc_u32_e32 v0, s1, v0
	s_delay_alu instid0(VALU_DEP_1) | instskip(SKIP_1) | instid1(SALU_CYCLE_1)
	v_cmp_le_i32_e32 vcc_lo, s13, v0
	s_or_b32 s12, vcc_lo, s12
	s_and_not1_b32 exec_lo, exec_lo, s12
	s_cbranch_execz .LBB39_10
.LBB39_7:                               ; =>This Loop Header: Depth=1
                                        ;     Child Loop BB39_9 Depth 2
	s_clause 0x1
	global_load_b32 v1, v0, s[4:5] scale_offset
	global_load_b32 v6, v0, s[14:15] scale_offset
	s_mov_b32 s18, exec_lo
	s_wait_loadcnt 0x1
	v_subrev_nc_u32_e32 v9, s2, v1
	s_wait_loadcnt 0x0
	v_add_nc_u32_e32 v10, v6, v8
	s_wait_xcnt 0x0
	s_delay_alu instid0(VALU_DEP_1)
	v_cmpx_lt_i32_e64 v10, v9
	s_cbranch_execz .LBB39_6
; %bb.8:                                ;   in Loop: Header=BB39_7 Depth=1
	v_ashrrev_i32_e32 v1, 31, v0
	s_mov_b32 s19, 0
	s_delay_alu instid0(VALU_DEP_1)
	v_lshl_add_u64 v[6:7], v[0:1], 3, s[10:11]
	global_load_b64 v[6:7], v[6:7], off
	s_wait_loadcnt 0x0
	s_wait_xcnt 0x0
	v_mul_f64_e32 v[6:7], v[2:3], v[6:7]
.LBB39_9:                               ;   Parent Loop BB39_7 Depth=1
                                        ; =>  This Inner Loop Header: Depth=2
	s_clause 0x1
	global_load_b64 v[12:13], v10, s[8:9] scale_offset
	global_load_b32 v1, v10, s[6:7] scale_offset
	s_wait_xcnt 0x0
	v_add_nc_u32_e32 v10, 4, v10
	s_delay_alu instid0(VALU_DEP_1)
	v_cmp_ge_i32_e32 vcc_lo, v10, v9
	s_or_b32 s19, vcc_lo, s19
	s_wait_loadcnt 0x1
	v_mul_f64_e32 v[12:13], v[6:7], v[12:13]
	s_wait_loadcnt 0x0
	v_subrev_nc_u32_e32 v1, s2, v1
	global_atomic_add_f64 v1, v[12:13], s[16:17] scale_offset scope:SCOPE_DEV
	s_wait_xcnt 0x0
	s_and_not1_b32 exec_lo, exec_lo, s19
	s_cbranch_execnz .LBB39_9
	s_branch .LBB39_6
.LBB39_10:
	s_or_b32 exec_lo, exec_lo, s3
	s_mov_b32 s3, 0
.LBB39_11:
	s_delay_alu instid0(SALU_CYCLE_1)
	s_and_not1_b32 vcc_lo, exec_lo, s3
	s_cbranch_vccnz .LBB39_20
; %bb.12:
	s_and_b32 exec_lo, exec_lo, s0
	s_cbranch_execz .LBB39_20
; %bb.13:
	v_subrev_nc_u32_e32 v8, s2, v5
	s_mov_b32 s0, 0
	s_branch .LBB39_15
.LBB39_14:                              ;   in Loop: Header=BB39_15 Depth=1
	s_or_b32 exec_lo, exec_lo, s3
	v_add_nc_u32_e32 v4, s1, v4
	s_delay_alu instid0(VALU_DEP_1) | instskip(SKIP_1) | instid1(SALU_CYCLE_1)
	v_cmp_le_i32_e32 vcc_lo, s13, v4
	s_or_b32 s0, vcc_lo, s0
	s_and_not1_b32 exec_lo, exec_lo, s0
	s_cbranch_execz .LBB39_20
.LBB39_15:                              ; =>This Loop Header: Depth=1
                                        ;     Child Loop BB39_18 Depth 2
	s_clause 0x1
	global_load_b32 v0, v4, s[4:5] scale_offset
	global_load_b32 v1, v4, s[14:15] scale_offset
	s_mov_b32 s3, exec_lo
	s_wait_loadcnt 0x1
	v_subrev_nc_u32_e32 v9, s2, v0
	s_wait_loadcnt 0x0
	v_add_nc_u32_e32 v0, v1, v8
	s_wait_xcnt 0x0
	s_delay_alu instid0(VALU_DEP_1)
	v_cmpx_lt_i32_e64 v0, v9
	s_cbranch_execz .LBB39_14
; %bb.16:                               ;   in Loop: Header=BB39_15 Depth=1
	v_ashrrev_i32_e32 v5, 31, v4
	s_mov_b32 s12, 0
	s_delay_alu instid0(VALU_DEP_1)
	v_lshl_add_u64 v[6:7], v[4:5], 3, s[10:11]
	global_load_b64 v[6:7], v[6:7], off
	s_wait_loadcnt 0x0
	v_mul_f64_e32 v[6:7], v[2:3], v[6:7]
	s_branch .LBB39_18
.LBB39_17:                              ;   in Loop: Header=BB39_18 Depth=2
	s_wait_xcnt 0x0
	s_or_b32 exec_lo, exec_lo, s18
	v_add_nc_u32_e32 v0, 4, v0
	s_delay_alu instid0(VALU_DEP_1) | instskip(SKIP_1) | instid1(SALU_CYCLE_1)
	v_cmp_ge_i32_e32 vcc_lo, v0, v9
	s_or_b32 s12, vcc_lo, s12
	s_and_not1_b32 exec_lo, exec_lo, s12
	s_cbranch_execz .LBB39_14
.LBB39_18:                              ;   Parent Loop BB39_15 Depth=1
                                        ; =>  This Inner Loop Header: Depth=2
	global_load_b32 v1, v0, s[6:7] scale_offset
	s_mov_b32 s18, exec_lo
	s_wait_loadcnt 0x0
	v_subrev_nc_u32_e32 v5, s2, v1
	v_ashrrev_i32_e32 v1, 31, v0
	s_wait_xcnt 0x0
	s_delay_alu instid0(VALU_DEP_2)
	v_cmpx_ne_u32_e64 v5, v4
	s_cbranch_execz .LBB39_17
; %bb.19:                               ;   in Loop: Header=BB39_18 Depth=2
	s_delay_alu instid0(VALU_DEP_2)
	v_lshl_add_u64 v[10:11], v[0:1], 3, s[8:9]
	global_load_b64 v[10:11], v[10:11], off
	s_wait_loadcnt 0x0
	v_mul_f64_e32 v[10:11], v[6:7], v[10:11]
	global_atomic_add_f64 v5, v[10:11], s[16:17] scale_offset scope:SCOPE_DEV
	s_branch .LBB39_17
.LBB39_20:
	s_endpgm
	.section	.rodata,"a",@progbits
	.p2align	6, 0x0
	.amdhsa_kernel _ZN9rocsparseL21csrmvt_general_kernelILj256ELj4EiiddddEEvbbT2_NS_24const_host_device_scalarIT6_EEPKT1_S7_PKS1_PKT3_PKT4_PT5_21rocsparse_index_base_b
		.amdhsa_group_segment_fixed_size 0
		.amdhsa_private_segment_fixed_size 0
		.amdhsa_kernarg_size 328
		.amdhsa_user_sgpr_count 2
		.amdhsa_user_sgpr_dispatch_ptr 0
		.amdhsa_user_sgpr_queue_ptr 0
		.amdhsa_user_sgpr_kernarg_segment_ptr 1
		.amdhsa_user_sgpr_dispatch_id 0
		.amdhsa_user_sgpr_kernarg_preload_length 0
		.amdhsa_user_sgpr_kernarg_preload_offset 0
		.amdhsa_user_sgpr_private_segment_size 0
		.amdhsa_wavefront_size32 1
		.amdhsa_uses_dynamic_stack 0
		.amdhsa_enable_private_segment 0
		.amdhsa_system_sgpr_workgroup_id_x 1
		.amdhsa_system_sgpr_workgroup_id_y 0
		.amdhsa_system_sgpr_workgroup_id_z 0
		.amdhsa_system_sgpr_workgroup_info 0
		.amdhsa_system_vgpr_workitem_id 0
		.amdhsa_next_free_vgpr 14
		.amdhsa_next_free_sgpr 20
		.amdhsa_named_barrier_count 0
		.amdhsa_reserve_vcc 1
		.amdhsa_float_round_mode_32 0
		.amdhsa_float_round_mode_16_64 0
		.amdhsa_float_denorm_mode_32 3
		.amdhsa_float_denorm_mode_16_64 3
		.amdhsa_fp16_overflow 0
		.amdhsa_memory_ordered 1
		.amdhsa_forward_progress 1
		.amdhsa_inst_pref_size 7
		.amdhsa_round_robin_scheduling 0
		.amdhsa_exception_fp_ieee_invalid_op 0
		.amdhsa_exception_fp_denorm_src 0
		.amdhsa_exception_fp_ieee_div_zero 0
		.amdhsa_exception_fp_ieee_overflow 0
		.amdhsa_exception_fp_ieee_underflow 0
		.amdhsa_exception_fp_ieee_inexact 0
		.amdhsa_exception_int_div_zero 0
	.end_amdhsa_kernel
	.section	.text._ZN9rocsparseL21csrmvt_general_kernelILj256ELj4EiiddddEEvbbT2_NS_24const_host_device_scalarIT6_EEPKT1_S7_PKS1_PKT3_PKT4_PT5_21rocsparse_index_base_b,"axG",@progbits,_ZN9rocsparseL21csrmvt_general_kernelILj256ELj4EiiddddEEvbbT2_NS_24const_host_device_scalarIT6_EEPKT1_S7_PKS1_PKT3_PKT4_PT5_21rocsparse_index_base_b,comdat
.Lfunc_end39:
	.size	_ZN9rocsparseL21csrmvt_general_kernelILj256ELj4EiiddddEEvbbT2_NS_24const_host_device_scalarIT6_EEPKT1_S7_PKS1_PKT3_PKT4_PT5_21rocsparse_index_base_b, .Lfunc_end39-_ZN9rocsparseL21csrmvt_general_kernelILj256ELj4EiiddddEEvbbT2_NS_24const_host_device_scalarIT6_EEPKT1_S7_PKS1_PKT3_PKT4_PT5_21rocsparse_index_base_b
                                        ; -- End function
	.set _ZN9rocsparseL21csrmvt_general_kernelILj256ELj4EiiddddEEvbbT2_NS_24const_host_device_scalarIT6_EEPKT1_S7_PKS1_PKT3_PKT4_PT5_21rocsparse_index_base_b.num_vgpr, 14
	.set _ZN9rocsparseL21csrmvt_general_kernelILj256ELj4EiiddddEEvbbT2_NS_24const_host_device_scalarIT6_EEPKT1_S7_PKS1_PKT3_PKT4_PT5_21rocsparse_index_base_b.num_agpr, 0
	.set _ZN9rocsparseL21csrmvt_general_kernelILj256ELj4EiiddddEEvbbT2_NS_24const_host_device_scalarIT6_EEPKT1_S7_PKS1_PKT3_PKT4_PT5_21rocsparse_index_base_b.numbered_sgpr, 20
	.set _ZN9rocsparseL21csrmvt_general_kernelILj256ELj4EiiddddEEvbbT2_NS_24const_host_device_scalarIT6_EEPKT1_S7_PKS1_PKT3_PKT4_PT5_21rocsparse_index_base_b.num_named_barrier, 0
	.set _ZN9rocsparseL21csrmvt_general_kernelILj256ELj4EiiddddEEvbbT2_NS_24const_host_device_scalarIT6_EEPKT1_S7_PKS1_PKT3_PKT4_PT5_21rocsparse_index_base_b.private_seg_size, 0
	.set _ZN9rocsparseL21csrmvt_general_kernelILj256ELj4EiiddddEEvbbT2_NS_24const_host_device_scalarIT6_EEPKT1_S7_PKS1_PKT3_PKT4_PT5_21rocsparse_index_base_b.uses_vcc, 1
	.set _ZN9rocsparseL21csrmvt_general_kernelILj256ELj4EiiddddEEvbbT2_NS_24const_host_device_scalarIT6_EEPKT1_S7_PKS1_PKT3_PKT4_PT5_21rocsparse_index_base_b.uses_flat_scratch, 0
	.set _ZN9rocsparseL21csrmvt_general_kernelILj256ELj4EiiddddEEvbbT2_NS_24const_host_device_scalarIT6_EEPKT1_S7_PKS1_PKT3_PKT4_PT5_21rocsparse_index_base_b.has_dyn_sized_stack, 0
	.set _ZN9rocsparseL21csrmvt_general_kernelILj256ELj4EiiddddEEvbbT2_NS_24const_host_device_scalarIT6_EEPKT1_S7_PKS1_PKT3_PKT4_PT5_21rocsparse_index_base_b.has_recursion, 0
	.set _ZN9rocsparseL21csrmvt_general_kernelILj256ELj4EiiddddEEvbbT2_NS_24const_host_device_scalarIT6_EEPKT1_S7_PKS1_PKT3_PKT4_PT5_21rocsparse_index_base_b.has_indirect_call, 0
	.section	.AMDGPU.csdata,"",@progbits
; Kernel info:
; codeLenInByte = 780
; TotalNumSgprs: 22
; NumVgprs: 14
; ScratchSize: 0
; MemoryBound: 0
; FloatMode: 240
; IeeeMode: 1
; LDSByteSize: 0 bytes/workgroup (compile time only)
; SGPRBlocks: 0
; VGPRBlocks: 0
; NumSGPRsForWavesPerEU: 22
; NumVGPRsForWavesPerEU: 14
; NamedBarCnt: 0
; Occupancy: 16
; WaveLimiterHint : 1
; COMPUTE_PGM_RSRC2:SCRATCH_EN: 0
; COMPUTE_PGM_RSRC2:USER_SGPR: 2
; COMPUTE_PGM_RSRC2:TRAP_HANDLER: 0
; COMPUTE_PGM_RSRC2:TGID_X_EN: 1
; COMPUTE_PGM_RSRC2:TGID_Y_EN: 0
; COMPUTE_PGM_RSRC2:TGID_Z_EN: 0
; COMPUTE_PGM_RSRC2:TIDIG_COMP_CNT: 0
	.section	.text._ZN9rocsparseL21csrmvt_general_kernelILj256ELj8EiiddddEEvbbT2_NS_24const_host_device_scalarIT6_EEPKT1_S7_PKS1_PKT3_PKT4_PT5_21rocsparse_index_base_b,"axG",@progbits,_ZN9rocsparseL21csrmvt_general_kernelILj256ELj8EiiddddEEvbbT2_NS_24const_host_device_scalarIT6_EEPKT1_S7_PKS1_PKT3_PKT4_PT5_21rocsparse_index_base_b,comdat
	.globl	_ZN9rocsparseL21csrmvt_general_kernelILj256ELj8EiiddddEEvbbT2_NS_24const_host_device_scalarIT6_EEPKT1_S7_PKS1_PKT3_PKT4_PT5_21rocsparse_index_base_b ; -- Begin function _ZN9rocsparseL21csrmvt_general_kernelILj256ELj8EiiddddEEvbbT2_NS_24const_host_device_scalarIT6_EEPKT1_S7_PKS1_PKT3_PKT4_PT5_21rocsparse_index_base_b
	.p2align	8
	.type	_ZN9rocsparseL21csrmvt_general_kernelILj256ELj8EiiddddEEvbbT2_NS_24const_host_device_scalarIT6_EEPKT1_S7_PKS1_PKT3_PKT4_PT5_21rocsparse_index_base_b,@function
_ZN9rocsparseL21csrmvt_general_kernelILj256ELj8EiiddddEEvbbT2_NS_24const_host_device_scalarIT6_EEPKT1_S7_PKS1_PKT3_PKT4_PT5_21rocsparse_index_base_b: ; @_ZN9rocsparseL21csrmvt_general_kernelILj256ELj8EiiddddEEvbbT2_NS_24const_host_device_scalarIT6_EEPKT1_S7_PKS1_PKT3_PKT4_PT5_21rocsparse_index_base_b
; %bb.0:
	s_clause 0x1
	s_load_b64 s[2:3], s[0:1], 0x40
	s_load_b128 s[12:15], s[0:1], 0x8
	s_wait_kmcnt 0x0
	s_bitcmp1_b32 s3, 0
	v_mov_b64_e32 v[2:3], s[12:13]
	s_cselect_b32 s3, -1, 0
	s_delay_alu instid0(SALU_CYCLE_1)
	s_and_b32 vcc_lo, exec_lo, s3
	s_cbranch_vccnz .LBB40_2
; %bb.1:
	v_mov_b32_e32 v1, 0
	flat_load_b64 v[2:3], v1, s[12:13]
.LBB40_2:
	s_mov_b32 s3, exec_lo
	s_wait_loadcnt_dscnt 0x0
	s_delay_alu instid0(VALU_DEP_1)
	v_cmpx_neq_f64_e32 0, v[2:3]
	s_cbranch_execz .LBB40_20
; %bb.3:
	s_clause 0x3
	s_load_b64 s[12:13], s[0:1], 0x0
	s_load_b32 s3, s[0:1], 0x48
	s_load_b64 s[16:17], s[0:1], 0x38
	s_load_b256 s[4:11], s[0:1], 0x18
	s_wait_xcnt 0x0
	s_bfe_u32 s0, ttmp6, 0x4000c
	s_and_b32 s18, ttmp6, 15
	s_add_co_i32 s0, s0, 1
	s_getreg_b32 s19, hwreg(HW_REG_IB_STS2, 6, 4)
	s_mul_i32 s0, ttmp9, s0
	v_and_b32_e32 v5, 7, v0
	s_add_co_i32 s18, s18, s0
	s_wait_kmcnt 0x0
	s_and_b32 s12, s12, 1
	s_lshl_b32 s1, s3, 5
	s_cmp_eq_u32 s19, 0
	s_mov_b32 s3, -1
	s_cselect_b32 s0, ttmp9, s18
	s_cmp_eq_u32 s12, 0
	v_lshl_or_b32 v1, s0, 8, v0
	s_delay_alu instid0(VALU_DEP_1) | instskip(NEXT) | instid1(VALU_DEP_1)
	v_lshrrev_b32_e32 v4, 3, v1
	v_cmp_gt_i32_e64 s0, s13, v4
	s_cbranch_scc0 .LBB40_11
; %bb.4:
	s_and_saveexec_b32 s3, s0
	s_cbranch_execz .LBB40_10
; %bb.5:
	v_subrev_nc_u32_e32 v8, s2, v5
	v_mov_b32_e32 v0, v4
	s_mov_b32 s12, 0
	s_branch .LBB40_7
.LBB40_6:                               ;   in Loop: Header=BB40_7 Depth=1
	s_or_b32 exec_lo, exec_lo, s18
	v_add_nc_u32_e32 v0, s1, v0
	s_delay_alu instid0(VALU_DEP_1) | instskip(SKIP_1) | instid1(SALU_CYCLE_1)
	v_cmp_le_i32_e32 vcc_lo, s13, v0
	s_or_b32 s12, vcc_lo, s12
	s_and_not1_b32 exec_lo, exec_lo, s12
	s_cbranch_execz .LBB40_10
.LBB40_7:                               ; =>This Loop Header: Depth=1
                                        ;     Child Loop BB40_9 Depth 2
	s_clause 0x1
	global_load_b32 v1, v0, s[4:5] scale_offset
	global_load_b32 v6, v0, s[14:15] scale_offset
	s_mov_b32 s18, exec_lo
	s_wait_loadcnt 0x1
	v_subrev_nc_u32_e32 v9, s2, v1
	s_wait_loadcnt 0x0
	v_add_nc_u32_e32 v10, v6, v8
	s_wait_xcnt 0x0
	s_delay_alu instid0(VALU_DEP_1)
	v_cmpx_lt_i32_e64 v10, v9
	s_cbranch_execz .LBB40_6
; %bb.8:                                ;   in Loop: Header=BB40_7 Depth=1
	v_ashrrev_i32_e32 v1, 31, v0
	s_mov_b32 s19, 0
	s_delay_alu instid0(VALU_DEP_1)
	v_lshl_add_u64 v[6:7], v[0:1], 3, s[10:11]
	global_load_b64 v[6:7], v[6:7], off
	s_wait_loadcnt 0x0
	s_wait_xcnt 0x0
	v_mul_f64_e32 v[6:7], v[2:3], v[6:7]
.LBB40_9:                               ;   Parent Loop BB40_7 Depth=1
                                        ; =>  This Inner Loop Header: Depth=2
	s_clause 0x1
	global_load_b64 v[12:13], v10, s[8:9] scale_offset
	global_load_b32 v1, v10, s[6:7] scale_offset
	s_wait_xcnt 0x0
	v_add_nc_u32_e32 v10, 8, v10
	s_delay_alu instid0(VALU_DEP_1)
	v_cmp_ge_i32_e32 vcc_lo, v10, v9
	s_or_b32 s19, vcc_lo, s19
	s_wait_loadcnt 0x1
	v_mul_f64_e32 v[12:13], v[6:7], v[12:13]
	s_wait_loadcnt 0x0
	v_subrev_nc_u32_e32 v1, s2, v1
	global_atomic_add_f64 v1, v[12:13], s[16:17] scale_offset scope:SCOPE_DEV
	s_wait_xcnt 0x0
	s_and_not1_b32 exec_lo, exec_lo, s19
	s_cbranch_execnz .LBB40_9
	s_branch .LBB40_6
.LBB40_10:
	s_or_b32 exec_lo, exec_lo, s3
	s_mov_b32 s3, 0
.LBB40_11:
	s_delay_alu instid0(SALU_CYCLE_1)
	s_and_not1_b32 vcc_lo, exec_lo, s3
	s_cbranch_vccnz .LBB40_20
; %bb.12:
	s_and_b32 exec_lo, exec_lo, s0
	s_cbranch_execz .LBB40_20
; %bb.13:
	v_subrev_nc_u32_e32 v8, s2, v5
	s_mov_b32 s0, 0
	s_branch .LBB40_15
.LBB40_14:                              ;   in Loop: Header=BB40_15 Depth=1
	s_or_b32 exec_lo, exec_lo, s3
	v_add_nc_u32_e32 v4, s1, v4
	s_delay_alu instid0(VALU_DEP_1) | instskip(SKIP_1) | instid1(SALU_CYCLE_1)
	v_cmp_le_i32_e32 vcc_lo, s13, v4
	s_or_b32 s0, vcc_lo, s0
	s_and_not1_b32 exec_lo, exec_lo, s0
	s_cbranch_execz .LBB40_20
.LBB40_15:                              ; =>This Loop Header: Depth=1
                                        ;     Child Loop BB40_18 Depth 2
	s_clause 0x1
	global_load_b32 v0, v4, s[4:5] scale_offset
	global_load_b32 v1, v4, s[14:15] scale_offset
	s_mov_b32 s3, exec_lo
	s_wait_loadcnt 0x1
	v_subrev_nc_u32_e32 v9, s2, v0
	s_wait_loadcnt 0x0
	v_add_nc_u32_e32 v0, v1, v8
	s_wait_xcnt 0x0
	s_delay_alu instid0(VALU_DEP_1)
	v_cmpx_lt_i32_e64 v0, v9
	s_cbranch_execz .LBB40_14
; %bb.16:                               ;   in Loop: Header=BB40_15 Depth=1
	v_ashrrev_i32_e32 v5, 31, v4
	s_mov_b32 s12, 0
	s_delay_alu instid0(VALU_DEP_1)
	v_lshl_add_u64 v[6:7], v[4:5], 3, s[10:11]
	global_load_b64 v[6:7], v[6:7], off
	s_wait_loadcnt 0x0
	v_mul_f64_e32 v[6:7], v[2:3], v[6:7]
	s_branch .LBB40_18
.LBB40_17:                              ;   in Loop: Header=BB40_18 Depth=2
	s_wait_xcnt 0x0
	s_or_b32 exec_lo, exec_lo, s18
	v_add_nc_u32_e32 v0, 8, v0
	s_delay_alu instid0(VALU_DEP_1) | instskip(SKIP_1) | instid1(SALU_CYCLE_1)
	v_cmp_ge_i32_e32 vcc_lo, v0, v9
	s_or_b32 s12, vcc_lo, s12
	s_and_not1_b32 exec_lo, exec_lo, s12
	s_cbranch_execz .LBB40_14
.LBB40_18:                              ;   Parent Loop BB40_15 Depth=1
                                        ; =>  This Inner Loop Header: Depth=2
	global_load_b32 v1, v0, s[6:7] scale_offset
	s_mov_b32 s18, exec_lo
	s_wait_loadcnt 0x0
	v_subrev_nc_u32_e32 v5, s2, v1
	v_ashrrev_i32_e32 v1, 31, v0
	s_wait_xcnt 0x0
	s_delay_alu instid0(VALU_DEP_2)
	v_cmpx_ne_u32_e64 v5, v4
	s_cbranch_execz .LBB40_17
; %bb.19:                               ;   in Loop: Header=BB40_18 Depth=2
	s_delay_alu instid0(VALU_DEP_2)
	v_lshl_add_u64 v[10:11], v[0:1], 3, s[8:9]
	global_load_b64 v[10:11], v[10:11], off
	s_wait_loadcnt 0x0
	v_mul_f64_e32 v[10:11], v[6:7], v[10:11]
	global_atomic_add_f64 v5, v[10:11], s[16:17] scale_offset scope:SCOPE_DEV
	s_branch .LBB40_17
.LBB40_20:
	s_endpgm
	.section	.rodata,"a",@progbits
	.p2align	6, 0x0
	.amdhsa_kernel _ZN9rocsparseL21csrmvt_general_kernelILj256ELj8EiiddddEEvbbT2_NS_24const_host_device_scalarIT6_EEPKT1_S7_PKS1_PKT3_PKT4_PT5_21rocsparse_index_base_b
		.amdhsa_group_segment_fixed_size 0
		.amdhsa_private_segment_fixed_size 0
		.amdhsa_kernarg_size 328
		.amdhsa_user_sgpr_count 2
		.amdhsa_user_sgpr_dispatch_ptr 0
		.amdhsa_user_sgpr_queue_ptr 0
		.amdhsa_user_sgpr_kernarg_segment_ptr 1
		.amdhsa_user_sgpr_dispatch_id 0
		.amdhsa_user_sgpr_kernarg_preload_length 0
		.amdhsa_user_sgpr_kernarg_preload_offset 0
		.amdhsa_user_sgpr_private_segment_size 0
		.amdhsa_wavefront_size32 1
		.amdhsa_uses_dynamic_stack 0
		.amdhsa_enable_private_segment 0
		.amdhsa_system_sgpr_workgroup_id_x 1
		.amdhsa_system_sgpr_workgroup_id_y 0
		.amdhsa_system_sgpr_workgroup_id_z 0
		.amdhsa_system_sgpr_workgroup_info 0
		.amdhsa_system_vgpr_workitem_id 0
		.amdhsa_next_free_vgpr 14
		.amdhsa_next_free_sgpr 20
		.amdhsa_named_barrier_count 0
		.amdhsa_reserve_vcc 1
		.amdhsa_float_round_mode_32 0
		.amdhsa_float_round_mode_16_64 0
		.amdhsa_float_denorm_mode_32 3
		.amdhsa_float_denorm_mode_16_64 3
		.amdhsa_fp16_overflow 0
		.amdhsa_memory_ordered 1
		.amdhsa_forward_progress 1
		.amdhsa_inst_pref_size 7
		.amdhsa_round_robin_scheduling 0
		.amdhsa_exception_fp_ieee_invalid_op 0
		.amdhsa_exception_fp_denorm_src 0
		.amdhsa_exception_fp_ieee_div_zero 0
		.amdhsa_exception_fp_ieee_overflow 0
		.amdhsa_exception_fp_ieee_underflow 0
		.amdhsa_exception_fp_ieee_inexact 0
		.amdhsa_exception_int_div_zero 0
	.end_amdhsa_kernel
	.section	.text._ZN9rocsparseL21csrmvt_general_kernelILj256ELj8EiiddddEEvbbT2_NS_24const_host_device_scalarIT6_EEPKT1_S7_PKS1_PKT3_PKT4_PT5_21rocsparse_index_base_b,"axG",@progbits,_ZN9rocsparseL21csrmvt_general_kernelILj256ELj8EiiddddEEvbbT2_NS_24const_host_device_scalarIT6_EEPKT1_S7_PKS1_PKT3_PKT4_PT5_21rocsparse_index_base_b,comdat
.Lfunc_end40:
	.size	_ZN9rocsparseL21csrmvt_general_kernelILj256ELj8EiiddddEEvbbT2_NS_24const_host_device_scalarIT6_EEPKT1_S7_PKS1_PKT3_PKT4_PT5_21rocsparse_index_base_b, .Lfunc_end40-_ZN9rocsparseL21csrmvt_general_kernelILj256ELj8EiiddddEEvbbT2_NS_24const_host_device_scalarIT6_EEPKT1_S7_PKS1_PKT3_PKT4_PT5_21rocsparse_index_base_b
                                        ; -- End function
	.set _ZN9rocsparseL21csrmvt_general_kernelILj256ELj8EiiddddEEvbbT2_NS_24const_host_device_scalarIT6_EEPKT1_S7_PKS1_PKT3_PKT4_PT5_21rocsparse_index_base_b.num_vgpr, 14
	.set _ZN9rocsparseL21csrmvt_general_kernelILj256ELj8EiiddddEEvbbT2_NS_24const_host_device_scalarIT6_EEPKT1_S7_PKS1_PKT3_PKT4_PT5_21rocsparse_index_base_b.num_agpr, 0
	.set _ZN9rocsparseL21csrmvt_general_kernelILj256ELj8EiiddddEEvbbT2_NS_24const_host_device_scalarIT6_EEPKT1_S7_PKS1_PKT3_PKT4_PT5_21rocsparse_index_base_b.numbered_sgpr, 20
	.set _ZN9rocsparseL21csrmvt_general_kernelILj256ELj8EiiddddEEvbbT2_NS_24const_host_device_scalarIT6_EEPKT1_S7_PKS1_PKT3_PKT4_PT5_21rocsparse_index_base_b.num_named_barrier, 0
	.set _ZN9rocsparseL21csrmvt_general_kernelILj256ELj8EiiddddEEvbbT2_NS_24const_host_device_scalarIT6_EEPKT1_S7_PKS1_PKT3_PKT4_PT5_21rocsparse_index_base_b.private_seg_size, 0
	.set _ZN9rocsparseL21csrmvt_general_kernelILj256ELj8EiiddddEEvbbT2_NS_24const_host_device_scalarIT6_EEPKT1_S7_PKS1_PKT3_PKT4_PT5_21rocsparse_index_base_b.uses_vcc, 1
	.set _ZN9rocsparseL21csrmvt_general_kernelILj256ELj8EiiddddEEvbbT2_NS_24const_host_device_scalarIT6_EEPKT1_S7_PKS1_PKT3_PKT4_PT5_21rocsparse_index_base_b.uses_flat_scratch, 0
	.set _ZN9rocsparseL21csrmvt_general_kernelILj256ELj8EiiddddEEvbbT2_NS_24const_host_device_scalarIT6_EEPKT1_S7_PKS1_PKT3_PKT4_PT5_21rocsparse_index_base_b.has_dyn_sized_stack, 0
	.set _ZN9rocsparseL21csrmvt_general_kernelILj256ELj8EiiddddEEvbbT2_NS_24const_host_device_scalarIT6_EEPKT1_S7_PKS1_PKT3_PKT4_PT5_21rocsparse_index_base_b.has_recursion, 0
	.set _ZN9rocsparseL21csrmvt_general_kernelILj256ELj8EiiddddEEvbbT2_NS_24const_host_device_scalarIT6_EEPKT1_S7_PKS1_PKT3_PKT4_PT5_21rocsparse_index_base_b.has_indirect_call, 0
	.section	.AMDGPU.csdata,"",@progbits
; Kernel info:
; codeLenInByte = 780
; TotalNumSgprs: 22
; NumVgprs: 14
; ScratchSize: 0
; MemoryBound: 0
; FloatMode: 240
; IeeeMode: 1
; LDSByteSize: 0 bytes/workgroup (compile time only)
; SGPRBlocks: 0
; VGPRBlocks: 0
; NumSGPRsForWavesPerEU: 22
; NumVGPRsForWavesPerEU: 14
; NamedBarCnt: 0
; Occupancy: 16
; WaveLimiterHint : 1
; COMPUTE_PGM_RSRC2:SCRATCH_EN: 0
; COMPUTE_PGM_RSRC2:USER_SGPR: 2
; COMPUTE_PGM_RSRC2:TRAP_HANDLER: 0
; COMPUTE_PGM_RSRC2:TGID_X_EN: 1
; COMPUTE_PGM_RSRC2:TGID_Y_EN: 0
; COMPUTE_PGM_RSRC2:TGID_Z_EN: 0
; COMPUTE_PGM_RSRC2:TIDIG_COMP_CNT: 0
	.section	.text._ZN9rocsparseL21csrmvt_general_kernelILj256ELj16EiiddddEEvbbT2_NS_24const_host_device_scalarIT6_EEPKT1_S7_PKS1_PKT3_PKT4_PT5_21rocsparse_index_base_b,"axG",@progbits,_ZN9rocsparseL21csrmvt_general_kernelILj256ELj16EiiddddEEvbbT2_NS_24const_host_device_scalarIT6_EEPKT1_S7_PKS1_PKT3_PKT4_PT5_21rocsparse_index_base_b,comdat
	.globl	_ZN9rocsparseL21csrmvt_general_kernelILj256ELj16EiiddddEEvbbT2_NS_24const_host_device_scalarIT6_EEPKT1_S7_PKS1_PKT3_PKT4_PT5_21rocsparse_index_base_b ; -- Begin function _ZN9rocsparseL21csrmvt_general_kernelILj256ELj16EiiddddEEvbbT2_NS_24const_host_device_scalarIT6_EEPKT1_S7_PKS1_PKT3_PKT4_PT5_21rocsparse_index_base_b
	.p2align	8
	.type	_ZN9rocsparseL21csrmvt_general_kernelILj256ELj16EiiddddEEvbbT2_NS_24const_host_device_scalarIT6_EEPKT1_S7_PKS1_PKT3_PKT4_PT5_21rocsparse_index_base_b,@function
_ZN9rocsparseL21csrmvt_general_kernelILj256ELj16EiiddddEEvbbT2_NS_24const_host_device_scalarIT6_EEPKT1_S7_PKS1_PKT3_PKT4_PT5_21rocsparse_index_base_b: ; @_ZN9rocsparseL21csrmvt_general_kernelILj256ELj16EiiddddEEvbbT2_NS_24const_host_device_scalarIT6_EEPKT1_S7_PKS1_PKT3_PKT4_PT5_21rocsparse_index_base_b
; %bb.0:
	s_clause 0x1
	s_load_b64 s[2:3], s[0:1], 0x40
	s_load_b128 s[12:15], s[0:1], 0x8
	s_wait_kmcnt 0x0
	s_bitcmp1_b32 s3, 0
	v_mov_b64_e32 v[2:3], s[12:13]
	s_cselect_b32 s3, -1, 0
	s_delay_alu instid0(SALU_CYCLE_1)
	s_and_b32 vcc_lo, exec_lo, s3
	s_cbranch_vccnz .LBB41_2
; %bb.1:
	v_mov_b32_e32 v1, 0
	flat_load_b64 v[2:3], v1, s[12:13]
.LBB41_2:
	s_mov_b32 s3, exec_lo
	s_wait_loadcnt_dscnt 0x0
	s_delay_alu instid0(VALU_DEP_1)
	v_cmpx_neq_f64_e32 0, v[2:3]
	s_cbranch_execz .LBB41_20
; %bb.3:
	s_clause 0x3
	s_load_b64 s[12:13], s[0:1], 0x0
	s_load_b32 s3, s[0:1], 0x48
	s_load_b64 s[16:17], s[0:1], 0x38
	s_load_b256 s[4:11], s[0:1], 0x18
	s_wait_xcnt 0x0
	s_bfe_u32 s0, ttmp6, 0x4000c
	s_and_b32 s18, ttmp6, 15
	s_add_co_i32 s0, s0, 1
	s_getreg_b32 s19, hwreg(HW_REG_IB_STS2, 6, 4)
	s_mul_i32 s0, ttmp9, s0
	v_and_b32_e32 v5, 15, v0
	s_add_co_i32 s18, s18, s0
	s_wait_kmcnt 0x0
	s_and_b32 s12, s12, 1
	s_lshl_b32 s1, s3, 4
	s_cmp_eq_u32 s19, 0
	s_mov_b32 s3, -1
	s_cselect_b32 s0, ttmp9, s18
	s_cmp_eq_u32 s12, 0
	v_lshl_or_b32 v1, s0, 8, v0
	s_delay_alu instid0(VALU_DEP_1) | instskip(NEXT) | instid1(VALU_DEP_1)
	v_lshrrev_b32_e32 v4, 4, v1
	v_cmp_gt_i32_e64 s0, s13, v4
	s_cbranch_scc0 .LBB41_11
; %bb.4:
	s_and_saveexec_b32 s3, s0
	s_cbranch_execz .LBB41_10
; %bb.5:
	v_subrev_nc_u32_e32 v8, s2, v5
	v_mov_b32_e32 v0, v4
	s_mov_b32 s12, 0
	s_branch .LBB41_7
.LBB41_6:                               ;   in Loop: Header=BB41_7 Depth=1
	s_or_b32 exec_lo, exec_lo, s18
	v_add_nc_u32_e32 v0, s1, v0
	s_delay_alu instid0(VALU_DEP_1) | instskip(SKIP_1) | instid1(SALU_CYCLE_1)
	v_cmp_le_i32_e32 vcc_lo, s13, v0
	s_or_b32 s12, vcc_lo, s12
	s_and_not1_b32 exec_lo, exec_lo, s12
	s_cbranch_execz .LBB41_10
.LBB41_7:                               ; =>This Loop Header: Depth=1
                                        ;     Child Loop BB41_9 Depth 2
	s_clause 0x1
	global_load_b32 v1, v0, s[4:5] scale_offset
	global_load_b32 v6, v0, s[14:15] scale_offset
	s_mov_b32 s18, exec_lo
	s_wait_loadcnt 0x1
	v_subrev_nc_u32_e32 v9, s2, v1
	s_wait_loadcnt 0x0
	v_add_nc_u32_e32 v10, v6, v8
	s_wait_xcnt 0x0
	s_delay_alu instid0(VALU_DEP_1)
	v_cmpx_lt_i32_e64 v10, v9
	s_cbranch_execz .LBB41_6
; %bb.8:                                ;   in Loop: Header=BB41_7 Depth=1
	v_ashrrev_i32_e32 v1, 31, v0
	s_mov_b32 s19, 0
	s_delay_alu instid0(VALU_DEP_1)
	v_lshl_add_u64 v[6:7], v[0:1], 3, s[10:11]
	global_load_b64 v[6:7], v[6:7], off
	s_wait_loadcnt 0x0
	s_wait_xcnt 0x0
	v_mul_f64_e32 v[6:7], v[2:3], v[6:7]
.LBB41_9:                               ;   Parent Loop BB41_7 Depth=1
                                        ; =>  This Inner Loop Header: Depth=2
	s_clause 0x1
	global_load_b64 v[12:13], v10, s[8:9] scale_offset
	global_load_b32 v1, v10, s[6:7] scale_offset
	s_wait_xcnt 0x0
	v_add_nc_u32_e32 v10, 16, v10
	s_delay_alu instid0(VALU_DEP_1)
	v_cmp_ge_i32_e32 vcc_lo, v10, v9
	s_or_b32 s19, vcc_lo, s19
	s_wait_loadcnt 0x1
	v_mul_f64_e32 v[12:13], v[6:7], v[12:13]
	s_wait_loadcnt 0x0
	v_subrev_nc_u32_e32 v1, s2, v1
	global_atomic_add_f64 v1, v[12:13], s[16:17] scale_offset scope:SCOPE_DEV
	s_wait_xcnt 0x0
	s_and_not1_b32 exec_lo, exec_lo, s19
	s_cbranch_execnz .LBB41_9
	s_branch .LBB41_6
.LBB41_10:
	s_or_b32 exec_lo, exec_lo, s3
	s_mov_b32 s3, 0
.LBB41_11:
	s_delay_alu instid0(SALU_CYCLE_1)
	s_and_not1_b32 vcc_lo, exec_lo, s3
	s_cbranch_vccnz .LBB41_20
; %bb.12:
	s_and_b32 exec_lo, exec_lo, s0
	s_cbranch_execz .LBB41_20
; %bb.13:
	v_subrev_nc_u32_e32 v8, s2, v5
	s_mov_b32 s0, 0
	s_branch .LBB41_15
.LBB41_14:                              ;   in Loop: Header=BB41_15 Depth=1
	s_or_b32 exec_lo, exec_lo, s3
	v_add_nc_u32_e32 v4, s1, v4
	s_delay_alu instid0(VALU_DEP_1) | instskip(SKIP_1) | instid1(SALU_CYCLE_1)
	v_cmp_le_i32_e32 vcc_lo, s13, v4
	s_or_b32 s0, vcc_lo, s0
	s_and_not1_b32 exec_lo, exec_lo, s0
	s_cbranch_execz .LBB41_20
.LBB41_15:                              ; =>This Loop Header: Depth=1
                                        ;     Child Loop BB41_18 Depth 2
	s_clause 0x1
	global_load_b32 v0, v4, s[4:5] scale_offset
	global_load_b32 v1, v4, s[14:15] scale_offset
	s_mov_b32 s3, exec_lo
	s_wait_loadcnt 0x1
	v_subrev_nc_u32_e32 v9, s2, v0
	s_wait_loadcnt 0x0
	v_add_nc_u32_e32 v0, v1, v8
	s_wait_xcnt 0x0
	s_delay_alu instid0(VALU_DEP_1)
	v_cmpx_lt_i32_e64 v0, v9
	s_cbranch_execz .LBB41_14
; %bb.16:                               ;   in Loop: Header=BB41_15 Depth=1
	v_ashrrev_i32_e32 v5, 31, v4
	s_mov_b32 s12, 0
	s_delay_alu instid0(VALU_DEP_1)
	v_lshl_add_u64 v[6:7], v[4:5], 3, s[10:11]
	global_load_b64 v[6:7], v[6:7], off
	s_wait_loadcnt 0x0
	v_mul_f64_e32 v[6:7], v[2:3], v[6:7]
	s_branch .LBB41_18
.LBB41_17:                              ;   in Loop: Header=BB41_18 Depth=2
	s_wait_xcnt 0x0
	s_or_b32 exec_lo, exec_lo, s18
	v_add_nc_u32_e32 v0, 16, v0
	s_delay_alu instid0(VALU_DEP_1) | instskip(SKIP_1) | instid1(SALU_CYCLE_1)
	v_cmp_ge_i32_e32 vcc_lo, v0, v9
	s_or_b32 s12, vcc_lo, s12
	s_and_not1_b32 exec_lo, exec_lo, s12
	s_cbranch_execz .LBB41_14
.LBB41_18:                              ;   Parent Loop BB41_15 Depth=1
                                        ; =>  This Inner Loop Header: Depth=2
	global_load_b32 v1, v0, s[6:7] scale_offset
	s_mov_b32 s18, exec_lo
	s_wait_loadcnt 0x0
	v_subrev_nc_u32_e32 v5, s2, v1
	v_ashrrev_i32_e32 v1, 31, v0
	s_wait_xcnt 0x0
	s_delay_alu instid0(VALU_DEP_2)
	v_cmpx_ne_u32_e64 v5, v4
	s_cbranch_execz .LBB41_17
; %bb.19:                               ;   in Loop: Header=BB41_18 Depth=2
	s_delay_alu instid0(VALU_DEP_2)
	v_lshl_add_u64 v[10:11], v[0:1], 3, s[8:9]
	global_load_b64 v[10:11], v[10:11], off
	s_wait_loadcnt 0x0
	v_mul_f64_e32 v[10:11], v[6:7], v[10:11]
	global_atomic_add_f64 v5, v[10:11], s[16:17] scale_offset scope:SCOPE_DEV
	s_branch .LBB41_17
.LBB41_20:
	s_endpgm
	.section	.rodata,"a",@progbits
	.p2align	6, 0x0
	.amdhsa_kernel _ZN9rocsparseL21csrmvt_general_kernelILj256ELj16EiiddddEEvbbT2_NS_24const_host_device_scalarIT6_EEPKT1_S7_PKS1_PKT3_PKT4_PT5_21rocsparse_index_base_b
		.amdhsa_group_segment_fixed_size 0
		.amdhsa_private_segment_fixed_size 0
		.amdhsa_kernarg_size 328
		.amdhsa_user_sgpr_count 2
		.amdhsa_user_sgpr_dispatch_ptr 0
		.amdhsa_user_sgpr_queue_ptr 0
		.amdhsa_user_sgpr_kernarg_segment_ptr 1
		.amdhsa_user_sgpr_dispatch_id 0
		.amdhsa_user_sgpr_kernarg_preload_length 0
		.amdhsa_user_sgpr_kernarg_preload_offset 0
		.amdhsa_user_sgpr_private_segment_size 0
		.amdhsa_wavefront_size32 1
		.amdhsa_uses_dynamic_stack 0
		.amdhsa_enable_private_segment 0
		.amdhsa_system_sgpr_workgroup_id_x 1
		.amdhsa_system_sgpr_workgroup_id_y 0
		.amdhsa_system_sgpr_workgroup_id_z 0
		.amdhsa_system_sgpr_workgroup_info 0
		.amdhsa_system_vgpr_workitem_id 0
		.amdhsa_next_free_vgpr 14
		.amdhsa_next_free_sgpr 20
		.amdhsa_named_barrier_count 0
		.amdhsa_reserve_vcc 1
		.amdhsa_float_round_mode_32 0
		.amdhsa_float_round_mode_16_64 0
		.amdhsa_float_denorm_mode_32 3
		.amdhsa_float_denorm_mode_16_64 3
		.amdhsa_fp16_overflow 0
		.amdhsa_memory_ordered 1
		.amdhsa_forward_progress 1
		.amdhsa_inst_pref_size 7
		.amdhsa_round_robin_scheduling 0
		.amdhsa_exception_fp_ieee_invalid_op 0
		.amdhsa_exception_fp_denorm_src 0
		.amdhsa_exception_fp_ieee_div_zero 0
		.amdhsa_exception_fp_ieee_overflow 0
		.amdhsa_exception_fp_ieee_underflow 0
		.amdhsa_exception_fp_ieee_inexact 0
		.amdhsa_exception_int_div_zero 0
	.end_amdhsa_kernel
	.section	.text._ZN9rocsparseL21csrmvt_general_kernelILj256ELj16EiiddddEEvbbT2_NS_24const_host_device_scalarIT6_EEPKT1_S7_PKS1_PKT3_PKT4_PT5_21rocsparse_index_base_b,"axG",@progbits,_ZN9rocsparseL21csrmvt_general_kernelILj256ELj16EiiddddEEvbbT2_NS_24const_host_device_scalarIT6_EEPKT1_S7_PKS1_PKT3_PKT4_PT5_21rocsparse_index_base_b,comdat
.Lfunc_end41:
	.size	_ZN9rocsparseL21csrmvt_general_kernelILj256ELj16EiiddddEEvbbT2_NS_24const_host_device_scalarIT6_EEPKT1_S7_PKS1_PKT3_PKT4_PT5_21rocsparse_index_base_b, .Lfunc_end41-_ZN9rocsparseL21csrmvt_general_kernelILj256ELj16EiiddddEEvbbT2_NS_24const_host_device_scalarIT6_EEPKT1_S7_PKS1_PKT3_PKT4_PT5_21rocsparse_index_base_b
                                        ; -- End function
	.set _ZN9rocsparseL21csrmvt_general_kernelILj256ELj16EiiddddEEvbbT2_NS_24const_host_device_scalarIT6_EEPKT1_S7_PKS1_PKT3_PKT4_PT5_21rocsparse_index_base_b.num_vgpr, 14
	.set _ZN9rocsparseL21csrmvt_general_kernelILj256ELj16EiiddddEEvbbT2_NS_24const_host_device_scalarIT6_EEPKT1_S7_PKS1_PKT3_PKT4_PT5_21rocsparse_index_base_b.num_agpr, 0
	.set _ZN9rocsparseL21csrmvt_general_kernelILj256ELj16EiiddddEEvbbT2_NS_24const_host_device_scalarIT6_EEPKT1_S7_PKS1_PKT3_PKT4_PT5_21rocsparse_index_base_b.numbered_sgpr, 20
	.set _ZN9rocsparseL21csrmvt_general_kernelILj256ELj16EiiddddEEvbbT2_NS_24const_host_device_scalarIT6_EEPKT1_S7_PKS1_PKT3_PKT4_PT5_21rocsparse_index_base_b.num_named_barrier, 0
	.set _ZN9rocsparseL21csrmvt_general_kernelILj256ELj16EiiddddEEvbbT2_NS_24const_host_device_scalarIT6_EEPKT1_S7_PKS1_PKT3_PKT4_PT5_21rocsparse_index_base_b.private_seg_size, 0
	.set _ZN9rocsparseL21csrmvt_general_kernelILj256ELj16EiiddddEEvbbT2_NS_24const_host_device_scalarIT6_EEPKT1_S7_PKS1_PKT3_PKT4_PT5_21rocsparse_index_base_b.uses_vcc, 1
	.set _ZN9rocsparseL21csrmvt_general_kernelILj256ELj16EiiddddEEvbbT2_NS_24const_host_device_scalarIT6_EEPKT1_S7_PKS1_PKT3_PKT4_PT5_21rocsparse_index_base_b.uses_flat_scratch, 0
	.set _ZN9rocsparseL21csrmvt_general_kernelILj256ELj16EiiddddEEvbbT2_NS_24const_host_device_scalarIT6_EEPKT1_S7_PKS1_PKT3_PKT4_PT5_21rocsparse_index_base_b.has_dyn_sized_stack, 0
	.set _ZN9rocsparseL21csrmvt_general_kernelILj256ELj16EiiddddEEvbbT2_NS_24const_host_device_scalarIT6_EEPKT1_S7_PKS1_PKT3_PKT4_PT5_21rocsparse_index_base_b.has_recursion, 0
	.set _ZN9rocsparseL21csrmvt_general_kernelILj256ELj16EiiddddEEvbbT2_NS_24const_host_device_scalarIT6_EEPKT1_S7_PKS1_PKT3_PKT4_PT5_21rocsparse_index_base_b.has_indirect_call, 0
	.section	.AMDGPU.csdata,"",@progbits
; Kernel info:
; codeLenInByte = 780
; TotalNumSgprs: 22
; NumVgprs: 14
; ScratchSize: 0
; MemoryBound: 0
; FloatMode: 240
; IeeeMode: 1
; LDSByteSize: 0 bytes/workgroup (compile time only)
; SGPRBlocks: 0
; VGPRBlocks: 0
; NumSGPRsForWavesPerEU: 22
; NumVGPRsForWavesPerEU: 14
; NamedBarCnt: 0
; Occupancy: 16
; WaveLimiterHint : 1
; COMPUTE_PGM_RSRC2:SCRATCH_EN: 0
; COMPUTE_PGM_RSRC2:USER_SGPR: 2
; COMPUTE_PGM_RSRC2:TRAP_HANDLER: 0
; COMPUTE_PGM_RSRC2:TGID_X_EN: 1
; COMPUTE_PGM_RSRC2:TGID_Y_EN: 0
; COMPUTE_PGM_RSRC2:TGID_Z_EN: 0
; COMPUTE_PGM_RSRC2:TIDIG_COMP_CNT: 0
	.section	.text._ZN9rocsparseL21csrmvt_general_kernelILj256ELj32EiiddddEEvbbT2_NS_24const_host_device_scalarIT6_EEPKT1_S7_PKS1_PKT3_PKT4_PT5_21rocsparse_index_base_b,"axG",@progbits,_ZN9rocsparseL21csrmvt_general_kernelILj256ELj32EiiddddEEvbbT2_NS_24const_host_device_scalarIT6_EEPKT1_S7_PKS1_PKT3_PKT4_PT5_21rocsparse_index_base_b,comdat
	.globl	_ZN9rocsparseL21csrmvt_general_kernelILj256ELj32EiiddddEEvbbT2_NS_24const_host_device_scalarIT6_EEPKT1_S7_PKS1_PKT3_PKT4_PT5_21rocsparse_index_base_b ; -- Begin function _ZN9rocsparseL21csrmvt_general_kernelILj256ELj32EiiddddEEvbbT2_NS_24const_host_device_scalarIT6_EEPKT1_S7_PKS1_PKT3_PKT4_PT5_21rocsparse_index_base_b
	.p2align	8
	.type	_ZN9rocsparseL21csrmvt_general_kernelILj256ELj32EiiddddEEvbbT2_NS_24const_host_device_scalarIT6_EEPKT1_S7_PKS1_PKT3_PKT4_PT5_21rocsparse_index_base_b,@function
_ZN9rocsparseL21csrmvt_general_kernelILj256ELj32EiiddddEEvbbT2_NS_24const_host_device_scalarIT6_EEPKT1_S7_PKS1_PKT3_PKT4_PT5_21rocsparse_index_base_b: ; @_ZN9rocsparseL21csrmvt_general_kernelILj256ELj32EiiddddEEvbbT2_NS_24const_host_device_scalarIT6_EEPKT1_S7_PKS1_PKT3_PKT4_PT5_21rocsparse_index_base_b
; %bb.0:
	s_clause 0x1
	s_load_b64 s[2:3], s[0:1], 0x40
	s_load_b128 s[12:15], s[0:1], 0x8
	s_wait_kmcnt 0x0
	s_bitcmp1_b32 s3, 0
	v_mov_b64_e32 v[2:3], s[12:13]
	s_cselect_b32 s3, -1, 0
	s_delay_alu instid0(SALU_CYCLE_1)
	s_and_b32 vcc_lo, exec_lo, s3
	s_cbranch_vccnz .LBB42_2
; %bb.1:
	v_mov_b32_e32 v1, 0
	flat_load_b64 v[2:3], v1, s[12:13]
.LBB42_2:
	s_mov_b32 s3, exec_lo
	s_wait_loadcnt_dscnt 0x0
	s_delay_alu instid0(VALU_DEP_1)
	v_cmpx_neq_f64_e32 0, v[2:3]
	s_cbranch_execz .LBB42_20
; %bb.3:
	s_clause 0x3
	s_load_b64 s[12:13], s[0:1], 0x0
	s_load_b32 s3, s[0:1], 0x48
	s_load_b64 s[16:17], s[0:1], 0x38
	s_load_b256 s[4:11], s[0:1], 0x18
	s_wait_xcnt 0x0
	s_bfe_u32 s0, ttmp6, 0x4000c
	s_and_b32 s18, ttmp6, 15
	s_add_co_i32 s0, s0, 1
	s_getreg_b32 s19, hwreg(HW_REG_IB_STS2, 6, 4)
	s_mul_i32 s0, ttmp9, s0
	v_and_b32_e32 v5, 31, v0
	s_add_co_i32 s18, s18, s0
	s_wait_kmcnt 0x0
	s_and_b32 s12, s12, 1
	s_lshl_b32 s1, s3, 3
	s_cmp_eq_u32 s19, 0
	s_mov_b32 s3, -1
	s_cselect_b32 s0, ttmp9, s18
	s_cmp_eq_u32 s12, 0
	v_lshl_or_b32 v1, s0, 8, v0
	s_delay_alu instid0(VALU_DEP_1) | instskip(NEXT) | instid1(VALU_DEP_1)
	v_lshrrev_b32_e32 v4, 5, v1
	v_cmp_gt_i32_e64 s0, s13, v4
	s_cbranch_scc0 .LBB42_11
; %bb.4:
	s_and_saveexec_b32 s3, s0
	s_cbranch_execz .LBB42_10
; %bb.5:
	v_subrev_nc_u32_e32 v8, s2, v5
	v_mov_b32_e32 v0, v4
	s_mov_b32 s12, 0
	s_branch .LBB42_7
.LBB42_6:                               ;   in Loop: Header=BB42_7 Depth=1
	s_or_b32 exec_lo, exec_lo, s18
	v_add_nc_u32_e32 v0, s1, v0
	s_delay_alu instid0(VALU_DEP_1) | instskip(SKIP_1) | instid1(SALU_CYCLE_1)
	v_cmp_le_i32_e32 vcc_lo, s13, v0
	s_or_b32 s12, vcc_lo, s12
	s_and_not1_b32 exec_lo, exec_lo, s12
	s_cbranch_execz .LBB42_10
.LBB42_7:                               ; =>This Loop Header: Depth=1
                                        ;     Child Loop BB42_9 Depth 2
	s_clause 0x1
	global_load_b32 v1, v0, s[4:5] scale_offset
	global_load_b32 v6, v0, s[14:15] scale_offset
	s_mov_b32 s18, exec_lo
	s_wait_loadcnt 0x1
	v_subrev_nc_u32_e32 v9, s2, v1
	s_wait_loadcnt 0x0
	v_add_nc_u32_e32 v10, v6, v8
	s_wait_xcnt 0x0
	s_delay_alu instid0(VALU_DEP_1)
	v_cmpx_lt_i32_e64 v10, v9
	s_cbranch_execz .LBB42_6
; %bb.8:                                ;   in Loop: Header=BB42_7 Depth=1
	v_ashrrev_i32_e32 v1, 31, v0
	s_mov_b32 s19, 0
	s_delay_alu instid0(VALU_DEP_1)
	v_lshl_add_u64 v[6:7], v[0:1], 3, s[10:11]
	global_load_b64 v[6:7], v[6:7], off
	s_wait_loadcnt 0x0
	s_wait_xcnt 0x0
	v_mul_f64_e32 v[6:7], v[2:3], v[6:7]
.LBB42_9:                               ;   Parent Loop BB42_7 Depth=1
                                        ; =>  This Inner Loop Header: Depth=2
	s_clause 0x1
	global_load_b64 v[12:13], v10, s[8:9] scale_offset
	global_load_b32 v1, v10, s[6:7] scale_offset
	s_wait_xcnt 0x0
	v_add_nc_u32_e32 v10, 32, v10
	s_delay_alu instid0(VALU_DEP_1)
	v_cmp_ge_i32_e32 vcc_lo, v10, v9
	s_or_b32 s19, vcc_lo, s19
	s_wait_loadcnt 0x1
	v_mul_f64_e32 v[12:13], v[6:7], v[12:13]
	s_wait_loadcnt 0x0
	v_subrev_nc_u32_e32 v1, s2, v1
	global_atomic_add_f64 v1, v[12:13], s[16:17] scale_offset scope:SCOPE_DEV
	s_wait_xcnt 0x0
	s_and_not1_b32 exec_lo, exec_lo, s19
	s_cbranch_execnz .LBB42_9
	s_branch .LBB42_6
.LBB42_10:
	s_or_b32 exec_lo, exec_lo, s3
	s_mov_b32 s3, 0
.LBB42_11:
	s_delay_alu instid0(SALU_CYCLE_1)
	s_and_not1_b32 vcc_lo, exec_lo, s3
	s_cbranch_vccnz .LBB42_20
; %bb.12:
	s_and_b32 exec_lo, exec_lo, s0
	s_cbranch_execz .LBB42_20
; %bb.13:
	v_subrev_nc_u32_e32 v8, s2, v5
	s_mov_b32 s0, 0
	s_branch .LBB42_15
.LBB42_14:                              ;   in Loop: Header=BB42_15 Depth=1
	s_or_b32 exec_lo, exec_lo, s3
	v_add_nc_u32_e32 v4, s1, v4
	s_delay_alu instid0(VALU_DEP_1) | instskip(SKIP_1) | instid1(SALU_CYCLE_1)
	v_cmp_le_i32_e32 vcc_lo, s13, v4
	s_or_b32 s0, vcc_lo, s0
	s_and_not1_b32 exec_lo, exec_lo, s0
	s_cbranch_execz .LBB42_20
.LBB42_15:                              ; =>This Loop Header: Depth=1
                                        ;     Child Loop BB42_18 Depth 2
	s_clause 0x1
	global_load_b32 v0, v4, s[4:5] scale_offset
	global_load_b32 v1, v4, s[14:15] scale_offset
	s_mov_b32 s3, exec_lo
	s_wait_loadcnt 0x1
	v_subrev_nc_u32_e32 v9, s2, v0
	s_wait_loadcnt 0x0
	v_add_nc_u32_e32 v0, v1, v8
	s_wait_xcnt 0x0
	s_delay_alu instid0(VALU_DEP_1)
	v_cmpx_lt_i32_e64 v0, v9
	s_cbranch_execz .LBB42_14
; %bb.16:                               ;   in Loop: Header=BB42_15 Depth=1
	v_ashrrev_i32_e32 v5, 31, v4
	s_mov_b32 s12, 0
	s_delay_alu instid0(VALU_DEP_1)
	v_lshl_add_u64 v[6:7], v[4:5], 3, s[10:11]
	global_load_b64 v[6:7], v[6:7], off
	s_wait_loadcnt 0x0
	v_mul_f64_e32 v[6:7], v[2:3], v[6:7]
	s_branch .LBB42_18
.LBB42_17:                              ;   in Loop: Header=BB42_18 Depth=2
	s_wait_xcnt 0x0
	s_or_b32 exec_lo, exec_lo, s18
	v_add_nc_u32_e32 v0, 32, v0
	s_delay_alu instid0(VALU_DEP_1) | instskip(SKIP_1) | instid1(SALU_CYCLE_1)
	v_cmp_ge_i32_e32 vcc_lo, v0, v9
	s_or_b32 s12, vcc_lo, s12
	s_and_not1_b32 exec_lo, exec_lo, s12
	s_cbranch_execz .LBB42_14
.LBB42_18:                              ;   Parent Loop BB42_15 Depth=1
                                        ; =>  This Inner Loop Header: Depth=2
	global_load_b32 v1, v0, s[6:7] scale_offset
	s_mov_b32 s18, exec_lo
	s_wait_loadcnt 0x0
	v_subrev_nc_u32_e32 v5, s2, v1
	v_ashrrev_i32_e32 v1, 31, v0
	s_wait_xcnt 0x0
	s_delay_alu instid0(VALU_DEP_2)
	v_cmpx_ne_u32_e64 v5, v4
	s_cbranch_execz .LBB42_17
; %bb.19:                               ;   in Loop: Header=BB42_18 Depth=2
	s_delay_alu instid0(VALU_DEP_2)
	v_lshl_add_u64 v[10:11], v[0:1], 3, s[8:9]
	global_load_b64 v[10:11], v[10:11], off
	s_wait_loadcnt 0x0
	v_mul_f64_e32 v[10:11], v[6:7], v[10:11]
	global_atomic_add_f64 v5, v[10:11], s[16:17] scale_offset scope:SCOPE_DEV
	s_branch .LBB42_17
.LBB42_20:
	s_endpgm
	.section	.rodata,"a",@progbits
	.p2align	6, 0x0
	.amdhsa_kernel _ZN9rocsparseL21csrmvt_general_kernelILj256ELj32EiiddddEEvbbT2_NS_24const_host_device_scalarIT6_EEPKT1_S7_PKS1_PKT3_PKT4_PT5_21rocsparse_index_base_b
		.amdhsa_group_segment_fixed_size 0
		.amdhsa_private_segment_fixed_size 0
		.amdhsa_kernarg_size 328
		.amdhsa_user_sgpr_count 2
		.amdhsa_user_sgpr_dispatch_ptr 0
		.amdhsa_user_sgpr_queue_ptr 0
		.amdhsa_user_sgpr_kernarg_segment_ptr 1
		.amdhsa_user_sgpr_dispatch_id 0
		.amdhsa_user_sgpr_kernarg_preload_length 0
		.amdhsa_user_sgpr_kernarg_preload_offset 0
		.amdhsa_user_sgpr_private_segment_size 0
		.amdhsa_wavefront_size32 1
		.amdhsa_uses_dynamic_stack 0
		.amdhsa_enable_private_segment 0
		.amdhsa_system_sgpr_workgroup_id_x 1
		.amdhsa_system_sgpr_workgroup_id_y 0
		.amdhsa_system_sgpr_workgroup_id_z 0
		.amdhsa_system_sgpr_workgroup_info 0
		.amdhsa_system_vgpr_workitem_id 0
		.amdhsa_next_free_vgpr 14
		.amdhsa_next_free_sgpr 20
		.amdhsa_named_barrier_count 0
		.amdhsa_reserve_vcc 1
		.amdhsa_float_round_mode_32 0
		.amdhsa_float_round_mode_16_64 0
		.amdhsa_float_denorm_mode_32 3
		.amdhsa_float_denorm_mode_16_64 3
		.amdhsa_fp16_overflow 0
		.amdhsa_memory_ordered 1
		.amdhsa_forward_progress 1
		.amdhsa_inst_pref_size 7
		.amdhsa_round_robin_scheduling 0
		.amdhsa_exception_fp_ieee_invalid_op 0
		.amdhsa_exception_fp_denorm_src 0
		.amdhsa_exception_fp_ieee_div_zero 0
		.amdhsa_exception_fp_ieee_overflow 0
		.amdhsa_exception_fp_ieee_underflow 0
		.amdhsa_exception_fp_ieee_inexact 0
		.amdhsa_exception_int_div_zero 0
	.end_amdhsa_kernel
	.section	.text._ZN9rocsparseL21csrmvt_general_kernelILj256ELj32EiiddddEEvbbT2_NS_24const_host_device_scalarIT6_EEPKT1_S7_PKS1_PKT3_PKT4_PT5_21rocsparse_index_base_b,"axG",@progbits,_ZN9rocsparseL21csrmvt_general_kernelILj256ELj32EiiddddEEvbbT2_NS_24const_host_device_scalarIT6_EEPKT1_S7_PKS1_PKT3_PKT4_PT5_21rocsparse_index_base_b,comdat
.Lfunc_end42:
	.size	_ZN9rocsparseL21csrmvt_general_kernelILj256ELj32EiiddddEEvbbT2_NS_24const_host_device_scalarIT6_EEPKT1_S7_PKS1_PKT3_PKT4_PT5_21rocsparse_index_base_b, .Lfunc_end42-_ZN9rocsparseL21csrmvt_general_kernelILj256ELj32EiiddddEEvbbT2_NS_24const_host_device_scalarIT6_EEPKT1_S7_PKS1_PKT3_PKT4_PT5_21rocsparse_index_base_b
                                        ; -- End function
	.set _ZN9rocsparseL21csrmvt_general_kernelILj256ELj32EiiddddEEvbbT2_NS_24const_host_device_scalarIT6_EEPKT1_S7_PKS1_PKT3_PKT4_PT5_21rocsparse_index_base_b.num_vgpr, 14
	.set _ZN9rocsparseL21csrmvt_general_kernelILj256ELj32EiiddddEEvbbT2_NS_24const_host_device_scalarIT6_EEPKT1_S7_PKS1_PKT3_PKT4_PT5_21rocsparse_index_base_b.num_agpr, 0
	.set _ZN9rocsparseL21csrmvt_general_kernelILj256ELj32EiiddddEEvbbT2_NS_24const_host_device_scalarIT6_EEPKT1_S7_PKS1_PKT3_PKT4_PT5_21rocsparse_index_base_b.numbered_sgpr, 20
	.set _ZN9rocsparseL21csrmvt_general_kernelILj256ELj32EiiddddEEvbbT2_NS_24const_host_device_scalarIT6_EEPKT1_S7_PKS1_PKT3_PKT4_PT5_21rocsparse_index_base_b.num_named_barrier, 0
	.set _ZN9rocsparseL21csrmvt_general_kernelILj256ELj32EiiddddEEvbbT2_NS_24const_host_device_scalarIT6_EEPKT1_S7_PKS1_PKT3_PKT4_PT5_21rocsparse_index_base_b.private_seg_size, 0
	.set _ZN9rocsparseL21csrmvt_general_kernelILj256ELj32EiiddddEEvbbT2_NS_24const_host_device_scalarIT6_EEPKT1_S7_PKS1_PKT3_PKT4_PT5_21rocsparse_index_base_b.uses_vcc, 1
	.set _ZN9rocsparseL21csrmvt_general_kernelILj256ELj32EiiddddEEvbbT2_NS_24const_host_device_scalarIT6_EEPKT1_S7_PKS1_PKT3_PKT4_PT5_21rocsparse_index_base_b.uses_flat_scratch, 0
	.set _ZN9rocsparseL21csrmvt_general_kernelILj256ELj32EiiddddEEvbbT2_NS_24const_host_device_scalarIT6_EEPKT1_S7_PKS1_PKT3_PKT4_PT5_21rocsparse_index_base_b.has_dyn_sized_stack, 0
	.set _ZN9rocsparseL21csrmvt_general_kernelILj256ELj32EiiddddEEvbbT2_NS_24const_host_device_scalarIT6_EEPKT1_S7_PKS1_PKT3_PKT4_PT5_21rocsparse_index_base_b.has_recursion, 0
	.set _ZN9rocsparseL21csrmvt_general_kernelILj256ELj32EiiddddEEvbbT2_NS_24const_host_device_scalarIT6_EEPKT1_S7_PKS1_PKT3_PKT4_PT5_21rocsparse_index_base_b.has_indirect_call, 0
	.section	.AMDGPU.csdata,"",@progbits
; Kernel info:
; codeLenInByte = 780
; TotalNumSgprs: 22
; NumVgprs: 14
; ScratchSize: 0
; MemoryBound: 0
; FloatMode: 240
; IeeeMode: 1
; LDSByteSize: 0 bytes/workgroup (compile time only)
; SGPRBlocks: 0
; VGPRBlocks: 0
; NumSGPRsForWavesPerEU: 22
; NumVGPRsForWavesPerEU: 14
; NamedBarCnt: 0
; Occupancy: 16
; WaveLimiterHint : 1
; COMPUTE_PGM_RSRC2:SCRATCH_EN: 0
; COMPUTE_PGM_RSRC2:USER_SGPR: 2
; COMPUTE_PGM_RSRC2:TRAP_HANDLER: 0
; COMPUTE_PGM_RSRC2:TGID_X_EN: 1
; COMPUTE_PGM_RSRC2:TGID_Y_EN: 0
; COMPUTE_PGM_RSRC2:TGID_Z_EN: 0
; COMPUTE_PGM_RSRC2:TIDIG_COMP_CNT: 0
	.section	.text._ZN9rocsparseL21csrmvt_general_kernelILj256ELj64EiiddddEEvbbT2_NS_24const_host_device_scalarIT6_EEPKT1_S7_PKS1_PKT3_PKT4_PT5_21rocsparse_index_base_b,"axG",@progbits,_ZN9rocsparseL21csrmvt_general_kernelILj256ELj64EiiddddEEvbbT2_NS_24const_host_device_scalarIT6_EEPKT1_S7_PKS1_PKT3_PKT4_PT5_21rocsparse_index_base_b,comdat
	.globl	_ZN9rocsparseL21csrmvt_general_kernelILj256ELj64EiiddddEEvbbT2_NS_24const_host_device_scalarIT6_EEPKT1_S7_PKS1_PKT3_PKT4_PT5_21rocsparse_index_base_b ; -- Begin function _ZN9rocsparseL21csrmvt_general_kernelILj256ELj64EiiddddEEvbbT2_NS_24const_host_device_scalarIT6_EEPKT1_S7_PKS1_PKT3_PKT4_PT5_21rocsparse_index_base_b
	.p2align	8
	.type	_ZN9rocsparseL21csrmvt_general_kernelILj256ELj64EiiddddEEvbbT2_NS_24const_host_device_scalarIT6_EEPKT1_S7_PKS1_PKT3_PKT4_PT5_21rocsparse_index_base_b,@function
_ZN9rocsparseL21csrmvt_general_kernelILj256ELj64EiiddddEEvbbT2_NS_24const_host_device_scalarIT6_EEPKT1_S7_PKS1_PKT3_PKT4_PT5_21rocsparse_index_base_b: ; @_ZN9rocsparseL21csrmvt_general_kernelILj256ELj64EiiddddEEvbbT2_NS_24const_host_device_scalarIT6_EEPKT1_S7_PKS1_PKT3_PKT4_PT5_21rocsparse_index_base_b
; %bb.0:
	s_clause 0x1
	s_load_b64 s[2:3], s[0:1], 0x40
	s_load_b128 s[12:15], s[0:1], 0x8
	s_wait_kmcnt 0x0
	s_bitcmp1_b32 s3, 0
	v_mov_b64_e32 v[2:3], s[12:13]
	s_cselect_b32 s3, -1, 0
	s_delay_alu instid0(SALU_CYCLE_1)
	s_and_b32 vcc_lo, exec_lo, s3
	s_cbranch_vccnz .LBB43_2
; %bb.1:
	v_mov_b32_e32 v1, 0
	flat_load_b64 v[2:3], v1, s[12:13]
.LBB43_2:
	s_mov_b32 s3, exec_lo
	s_wait_loadcnt_dscnt 0x0
	s_delay_alu instid0(VALU_DEP_1)
	v_cmpx_neq_f64_e32 0, v[2:3]
	s_cbranch_execz .LBB43_20
; %bb.3:
	s_clause 0x3
	s_load_b64 s[12:13], s[0:1], 0x0
	s_load_b32 s3, s[0:1], 0x48
	s_load_b64 s[16:17], s[0:1], 0x38
	s_load_b256 s[4:11], s[0:1], 0x18
	s_wait_xcnt 0x0
	s_bfe_u32 s0, ttmp6, 0x4000c
	s_and_b32 s18, ttmp6, 15
	s_add_co_i32 s0, s0, 1
	s_getreg_b32 s19, hwreg(HW_REG_IB_STS2, 6, 4)
	s_mul_i32 s0, ttmp9, s0
	v_and_b32_e32 v5, 63, v0
	s_add_co_i32 s18, s18, s0
	s_wait_kmcnt 0x0
	s_and_b32 s12, s12, 1
	s_lshl_b32 s1, s3, 2
	s_cmp_eq_u32 s19, 0
	s_mov_b32 s3, -1
	s_cselect_b32 s0, ttmp9, s18
	s_cmp_eq_u32 s12, 0
	v_lshl_or_b32 v1, s0, 8, v0
	s_delay_alu instid0(VALU_DEP_1) | instskip(NEXT) | instid1(VALU_DEP_1)
	v_lshrrev_b32_e32 v4, 6, v1
	v_cmp_gt_i32_e64 s0, s13, v4
	s_cbranch_scc0 .LBB43_11
; %bb.4:
	s_and_saveexec_b32 s3, s0
	s_cbranch_execz .LBB43_10
; %bb.5:
	v_subrev_nc_u32_e32 v8, s2, v5
	v_mov_b32_e32 v0, v4
	s_mov_b32 s12, 0
	s_branch .LBB43_7
.LBB43_6:                               ;   in Loop: Header=BB43_7 Depth=1
	s_or_b32 exec_lo, exec_lo, s18
	v_add_nc_u32_e32 v0, s1, v0
	s_delay_alu instid0(VALU_DEP_1) | instskip(SKIP_1) | instid1(SALU_CYCLE_1)
	v_cmp_le_i32_e32 vcc_lo, s13, v0
	s_or_b32 s12, vcc_lo, s12
	s_and_not1_b32 exec_lo, exec_lo, s12
	s_cbranch_execz .LBB43_10
.LBB43_7:                               ; =>This Loop Header: Depth=1
                                        ;     Child Loop BB43_9 Depth 2
	s_clause 0x1
	global_load_b32 v1, v0, s[4:5] scale_offset
	global_load_b32 v6, v0, s[14:15] scale_offset
	s_mov_b32 s18, exec_lo
	s_wait_loadcnt 0x1
	v_subrev_nc_u32_e32 v9, s2, v1
	s_wait_loadcnt 0x0
	v_add_nc_u32_e32 v10, v6, v8
	s_wait_xcnt 0x0
	s_delay_alu instid0(VALU_DEP_1)
	v_cmpx_lt_i32_e64 v10, v9
	s_cbranch_execz .LBB43_6
; %bb.8:                                ;   in Loop: Header=BB43_7 Depth=1
	v_ashrrev_i32_e32 v1, 31, v0
	s_mov_b32 s19, 0
	s_delay_alu instid0(VALU_DEP_1)
	v_lshl_add_u64 v[6:7], v[0:1], 3, s[10:11]
	global_load_b64 v[6:7], v[6:7], off
	s_wait_loadcnt 0x0
	s_wait_xcnt 0x0
	v_mul_f64_e32 v[6:7], v[2:3], v[6:7]
.LBB43_9:                               ;   Parent Loop BB43_7 Depth=1
                                        ; =>  This Inner Loop Header: Depth=2
	s_clause 0x1
	global_load_b64 v[12:13], v10, s[8:9] scale_offset
	global_load_b32 v1, v10, s[6:7] scale_offset
	s_wait_xcnt 0x0
	v_add_nc_u32_e32 v10, 64, v10
	s_delay_alu instid0(VALU_DEP_1)
	v_cmp_ge_i32_e32 vcc_lo, v10, v9
	s_or_b32 s19, vcc_lo, s19
	s_wait_loadcnt 0x1
	v_mul_f64_e32 v[12:13], v[6:7], v[12:13]
	s_wait_loadcnt 0x0
	v_subrev_nc_u32_e32 v1, s2, v1
	global_atomic_add_f64 v1, v[12:13], s[16:17] scale_offset scope:SCOPE_DEV
	s_wait_xcnt 0x0
	s_and_not1_b32 exec_lo, exec_lo, s19
	s_cbranch_execnz .LBB43_9
	s_branch .LBB43_6
.LBB43_10:
	s_or_b32 exec_lo, exec_lo, s3
	s_mov_b32 s3, 0
.LBB43_11:
	s_delay_alu instid0(SALU_CYCLE_1)
	s_and_not1_b32 vcc_lo, exec_lo, s3
	s_cbranch_vccnz .LBB43_20
; %bb.12:
	s_and_b32 exec_lo, exec_lo, s0
	s_cbranch_execz .LBB43_20
; %bb.13:
	v_subrev_nc_u32_e32 v8, s2, v5
	s_mov_b32 s0, 0
	s_branch .LBB43_15
.LBB43_14:                              ;   in Loop: Header=BB43_15 Depth=1
	s_or_b32 exec_lo, exec_lo, s3
	v_add_nc_u32_e32 v4, s1, v4
	s_delay_alu instid0(VALU_DEP_1) | instskip(SKIP_1) | instid1(SALU_CYCLE_1)
	v_cmp_le_i32_e32 vcc_lo, s13, v4
	s_or_b32 s0, vcc_lo, s0
	s_and_not1_b32 exec_lo, exec_lo, s0
	s_cbranch_execz .LBB43_20
.LBB43_15:                              ; =>This Loop Header: Depth=1
                                        ;     Child Loop BB43_18 Depth 2
	s_clause 0x1
	global_load_b32 v0, v4, s[4:5] scale_offset
	global_load_b32 v1, v4, s[14:15] scale_offset
	s_mov_b32 s3, exec_lo
	s_wait_loadcnt 0x1
	v_subrev_nc_u32_e32 v9, s2, v0
	s_wait_loadcnt 0x0
	v_add_nc_u32_e32 v0, v1, v8
	s_wait_xcnt 0x0
	s_delay_alu instid0(VALU_DEP_1)
	v_cmpx_lt_i32_e64 v0, v9
	s_cbranch_execz .LBB43_14
; %bb.16:                               ;   in Loop: Header=BB43_15 Depth=1
	v_ashrrev_i32_e32 v5, 31, v4
	s_mov_b32 s12, 0
	s_delay_alu instid0(VALU_DEP_1)
	v_lshl_add_u64 v[6:7], v[4:5], 3, s[10:11]
	global_load_b64 v[6:7], v[6:7], off
	s_wait_loadcnt 0x0
	v_mul_f64_e32 v[6:7], v[2:3], v[6:7]
	s_branch .LBB43_18
.LBB43_17:                              ;   in Loop: Header=BB43_18 Depth=2
	s_wait_xcnt 0x0
	s_or_b32 exec_lo, exec_lo, s18
	v_add_nc_u32_e32 v0, 64, v0
	s_delay_alu instid0(VALU_DEP_1) | instskip(SKIP_1) | instid1(SALU_CYCLE_1)
	v_cmp_ge_i32_e32 vcc_lo, v0, v9
	s_or_b32 s12, vcc_lo, s12
	s_and_not1_b32 exec_lo, exec_lo, s12
	s_cbranch_execz .LBB43_14
.LBB43_18:                              ;   Parent Loop BB43_15 Depth=1
                                        ; =>  This Inner Loop Header: Depth=2
	global_load_b32 v1, v0, s[6:7] scale_offset
	s_mov_b32 s18, exec_lo
	s_wait_loadcnt 0x0
	v_subrev_nc_u32_e32 v5, s2, v1
	v_ashrrev_i32_e32 v1, 31, v0
	s_wait_xcnt 0x0
	s_delay_alu instid0(VALU_DEP_2)
	v_cmpx_ne_u32_e64 v5, v4
	s_cbranch_execz .LBB43_17
; %bb.19:                               ;   in Loop: Header=BB43_18 Depth=2
	s_delay_alu instid0(VALU_DEP_2)
	v_lshl_add_u64 v[10:11], v[0:1], 3, s[8:9]
	global_load_b64 v[10:11], v[10:11], off
	s_wait_loadcnt 0x0
	v_mul_f64_e32 v[10:11], v[6:7], v[10:11]
	global_atomic_add_f64 v5, v[10:11], s[16:17] scale_offset scope:SCOPE_DEV
	s_branch .LBB43_17
.LBB43_20:
	s_endpgm
	.section	.rodata,"a",@progbits
	.p2align	6, 0x0
	.amdhsa_kernel _ZN9rocsparseL21csrmvt_general_kernelILj256ELj64EiiddddEEvbbT2_NS_24const_host_device_scalarIT6_EEPKT1_S7_PKS1_PKT3_PKT4_PT5_21rocsparse_index_base_b
		.amdhsa_group_segment_fixed_size 0
		.amdhsa_private_segment_fixed_size 0
		.amdhsa_kernarg_size 328
		.amdhsa_user_sgpr_count 2
		.amdhsa_user_sgpr_dispatch_ptr 0
		.amdhsa_user_sgpr_queue_ptr 0
		.amdhsa_user_sgpr_kernarg_segment_ptr 1
		.amdhsa_user_sgpr_dispatch_id 0
		.amdhsa_user_sgpr_kernarg_preload_length 0
		.amdhsa_user_sgpr_kernarg_preload_offset 0
		.amdhsa_user_sgpr_private_segment_size 0
		.amdhsa_wavefront_size32 1
		.amdhsa_uses_dynamic_stack 0
		.amdhsa_enable_private_segment 0
		.amdhsa_system_sgpr_workgroup_id_x 1
		.amdhsa_system_sgpr_workgroup_id_y 0
		.amdhsa_system_sgpr_workgroup_id_z 0
		.amdhsa_system_sgpr_workgroup_info 0
		.amdhsa_system_vgpr_workitem_id 0
		.amdhsa_next_free_vgpr 14
		.amdhsa_next_free_sgpr 20
		.amdhsa_named_barrier_count 0
		.amdhsa_reserve_vcc 1
		.amdhsa_float_round_mode_32 0
		.amdhsa_float_round_mode_16_64 0
		.amdhsa_float_denorm_mode_32 3
		.amdhsa_float_denorm_mode_16_64 3
		.amdhsa_fp16_overflow 0
		.amdhsa_memory_ordered 1
		.amdhsa_forward_progress 1
		.amdhsa_inst_pref_size 7
		.amdhsa_round_robin_scheduling 0
		.amdhsa_exception_fp_ieee_invalid_op 0
		.amdhsa_exception_fp_denorm_src 0
		.amdhsa_exception_fp_ieee_div_zero 0
		.amdhsa_exception_fp_ieee_overflow 0
		.amdhsa_exception_fp_ieee_underflow 0
		.amdhsa_exception_fp_ieee_inexact 0
		.amdhsa_exception_int_div_zero 0
	.end_amdhsa_kernel
	.section	.text._ZN9rocsparseL21csrmvt_general_kernelILj256ELj64EiiddddEEvbbT2_NS_24const_host_device_scalarIT6_EEPKT1_S7_PKS1_PKT3_PKT4_PT5_21rocsparse_index_base_b,"axG",@progbits,_ZN9rocsparseL21csrmvt_general_kernelILj256ELj64EiiddddEEvbbT2_NS_24const_host_device_scalarIT6_EEPKT1_S7_PKS1_PKT3_PKT4_PT5_21rocsparse_index_base_b,comdat
.Lfunc_end43:
	.size	_ZN9rocsparseL21csrmvt_general_kernelILj256ELj64EiiddddEEvbbT2_NS_24const_host_device_scalarIT6_EEPKT1_S7_PKS1_PKT3_PKT4_PT5_21rocsparse_index_base_b, .Lfunc_end43-_ZN9rocsparseL21csrmvt_general_kernelILj256ELj64EiiddddEEvbbT2_NS_24const_host_device_scalarIT6_EEPKT1_S7_PKS1_PKT3_PKT4_PT5_21rocsparse_index_base_b
                                        ; -- End function
	.set _ZN9rocsparseL21csrmvt_general_kernelILj256ELj64EiiddddEEvbbT2_NS_24const_host_device_scalarIT6_EEPKT1_S7_PKS1_PKT3_PKT4_PT5_21rocsparse_index_base_b.num_vgpr, 14
	.set _ZN9rocsparseL21csrmvt_general_kernelILj256ELj64EiiddddEEvbbT2_NS_24const_host_device_scalarIT6_EEPKT1_S7_PKS1_PKT3_PKT4_PT5_21rocsparse_index_base_b.num_agpr, 0
	.set _ZN9rocsparseL21csrmvt_general_kernelILj256ELj64EiiddddEEvbbT2_NS_24const_host_device_scalarIT6_EEPKT1_S7_PKS1_PKT3_PKT4_PT5_21rocsparse_index_base_b.numbered_sgpr, 20
	.set _ZN9rocsparseL21csrmvt_general_kernelILj256ELj64EiiddddEEvbbT2_NS_24const_host_device_scalarIT6_EEPKT1_S7_PKS1_PKT3_PKT4_PT5_21rocsparse_index_base_b.num_named_barrier, 0
	.set _ZN9rocsparseL21csrmvt_general_kernelILj256ELj64EiiddddEEvbbT2_NS_24const_host_device_scalarIT6_EEPKT1_S7_PKS1_PKT3_PKT4_PT5_21rocsparse_index_base_b.private_seg_size, 0
	.set _ZN9rocsparseL21csrmvt_general_kernelILj256ELj64EiiddddEEvbbT2_NS_24const_host_device_scalarIT6_EEPKT1_S7_PKS1_PKT3_PKT4_PT5_21rocsparse_index_base_b.uses_vcc, 1
	.set _ZN9rocsparseL21csrmvt_general_kernelILj256ELj64EiiddddEEvbbT2_NS_24const_host_device_scalarIT6_EEPKT1_S7_PKS1_PKT3_PKT4_PT5_21rocsparse_index_base_b.uses_flat_scratch, 0
	.set _ZN9rocsparseL21csrmvt_general_kernelILj256ELj64EiiddddEEvbbT2_NS_24const_host_device_scalarIT6_EEPKT1_S7_PKS1_PKT3_PKT4_PT5_21rocsparse_index_base_b.has_dyn_sized_stack, 0
	.set _ZN9rocsparseL21csrmvt_general_kernelILj256ELj64EiiddddEEvbbT2_NS_24const_host_device_scalarIT6_EEPKT1_S7_PKS1_PKT3_PKT4_PT5_21rocsparse_index_base_b.has_recursion, 0
	.set _ZN9rocsparseL21csrmvt_general_kernelILj256ELj64EiiddddEEvbbT2_NS_24const_host_device_scalarIT6_EEPKT1_S7_PKS1_PKT3_PKT4_PT5_21rocsparse_index_base_b.has_indirect_call, 0
	.section	.AMDGPU.csdata,"",@progbits
; Kernel info:
; codeLenInByte = 780
; TotalNumSgprs: 22
; NumVgprs: 14
; ScratchSize: 0
; MemoryBound: 0
; FloatMode: 240
; IeeeMode: 1
; LDSByteSize: 0 bytes/workgroup (compile time only)
; SGPRBlocks: 0
; VGPRBlocks: 0
; NumSGPRsForWavesPerEU: 22
; NumVGPRsForWavesPerEU: 14
; NamedBarCnt: 0
; Occupancy: 16
; WaveLimiterHint : 1
; COMPUTE_PGM_RSRC2:SCRATCH_EN: 0
; COMPUTE_PGM_RSRC2:USER_SGPR: 2
; COMPUTE_PGM_RSRC2:TRAP_HANDLER: 0
; COMPUTE_PGM_RSRC2:TGID_X_EN: 1
; COMPUTE_PGM_RSRC2:TGID_Y_EN: 0
; COMPUTE_PGM_RSRC2:TGID_Z_EN: 0
; COMPUTE_PGM_RSRC2:TIDIG_COMP_CNT: 0
	.section	.text._ZN9rocsparseL21csrmvn_general_kernelILj256ELj2EliddddEEvbT2_NS_24const_host_device_scalarIT6_EEPKT1_S7_PKS1_PKT3_PKT4_S4_PT5_21rocsparse_index_base_b,"axG",@progbits,_ZN9rocsparseL21csrmvn_general_kernelILj256ELj2EliddddEEvbT2_NS_24const_host_device_scalarIT6_EEPKT1_S7_PKS1_PKT3_PKT4_S4_PT5_21rocsparse_index_base_b,comdat
	.globl	_ZN9rocsparseL21csrmvn_general_kernelILj256ELj2EliddddEEvbT2_NS_24const_host_device_scalarIT6_EEPKT1_S7_PKS1_PKT3_PKT4_S4_PT5_21rocsparse_index_base_b ; -- Begin function _ZN9rocsparseL21csrmvn_general_kernelILj256ELj2EliddddEEvbT2_NS_24const_host_device_scalarIT6_EEPKT1_S7_PKS1_PKT3_PKT4_S4_PT5_21rocsparse_index_base_b
	.p2align	8
	.type	_ZN9rocsparseL21csrmvn_general_kernelILj256ELj2EliddddEEvbT2_NS_24const_host_device_scalarIT6_EEPKT1_S7_PKS1_PKT3_PKT4_S4_PT5_21rocsparse_index_base_b,@function
_ZN9rocsparseL21csrmvn_general_kernelILj256ELj2EliddddEEvbT2_NS_24const_host_device_scalarIT6_EEPKT1_S7_PKS1_PKT3_PKT4_S4_PT5_21rocsparse_index_base_b: ; @_ZN9rocsparseL21csrmvn_general_kernelILj256ELj2EliddddEEvbT2_NS_24const_host_device_scalarIT6_EEPKT1_S7_PKS1_PKT3_PKT4_S4_PT5_21rocsparse_index_base_b
; %bb.0:
	s_clause 0x2
	s_load_b64 s[16:17], s[0:1], 0x48
	s_load_b128 s[12:15], s[0:1], 0x8
	s_load_b64 s[2:3], s[0:1], 0x38
	s_wait_kmcnt 0x0
	s_bitcmp1_b32 s17, 0
	v_mov_b64_e32 v[2:3], s[12:13]
	s_cselect_b32 s4, -1, 0
	s_delay_alu instid0(SALU_CYCLE_1)
	s_and_b32 vcc_lo, exec_lo, s4
	s_xor_b32 s4, s4, -1
	s_cbranch_vccnz .LBB44_2
; %bb.1:
	v_mov_b32_e32 v1, 0
	flat_load_b64 v[2:3], v1, s[12:13]
.LBB44_2:
	v_mov_b64_e32 v[4:5], s[2:3]
	s_and_not1_b32 vcc_lo, exec_lo, s4
	s_cbranch_vccnz .LBB44_4
; %bb.3:
	s_wait_xcnt 0x0
	v_mov_b32_e32 v1, 0
	flat_load_b64 v[4:5], v1, s[2:3]
.LBB44_4:
	s_wait_loadcnt_dscnt 0x0
	v_cmp_neq_f64_e32 vcc_lo, 0, v[2:3]
	s_delay_alu instid0(VALU_DEP_2) | instskip(SKIP_1) | instid1(SALU_CYCLE_1)
	v_cmp_neq_f64_e64 s2, 1.0, v[4:5]
	s_or_b32 s2, vcc_lo, s2
	s_and_saveexec_b32 s3, s2
	s_cbranch_execz .LBB44_16
; %bb.5:
	s_bfe_u32 s2, ttmp6, 0x4000c
	s_load_b32 s12, s[0:1], 0x4
	s_add_co_i32 s2, s2, 1
	s_and_b32 s3, ttmp6, 15
	s_mul_i32 s2, ttmp9, s2
	s_getreg_b32 s4, hwreg(HW_REG_IB_STS2, 6, 4)
	s_add_co_i32 s3, s3, s2
	s_cmp_eq_u32 s4, 0
	s_mov_b32 s17, 0
	s_cselect_b32 s2, ttmp9, s3
	s_delay_alu instid0(SALU_CYCLE_1) | instskip(NEXT) | instid1(VALU_DEP_1)
	v_lshl_or_b32 v1, s2, 8, v0
	v_lshrrev_b32_e32 v6, 1, v1
	s_wait_kmcnt 0x0
	s_delay_alu instid0(VALU_DEP_1)
	v_cmp_gt_i32_e32 vcc_lo, s12, v6
	s_and_b32 exec_lo, exec_lo, vcc_lo
	s_cbranch_execz .LBB44_16
; %bb.6:
	v_mbcnt_lo_u32_b32 v1, -1, 0
	s_clause 0x2
	s_load_b32 s13, s[0:1], 0x50
	s_load_b256 s[4:11], s[0:1], 0x18
	s_load_b64 s[2:3], s[0:1], 0x40
	s_wait_xcnt 0x0
	s_ashr_i32 s1, s16, 31
	v_cmp_neq_f64_e32 vcc_lo, 0, v[4:5]
	v_dual_mov_b32 v9, 0 :: v_dual_bitop2_b32 v7, 1, v1 bitop3:0x14
	s_delay_alu instid0(VALU_DEP_1) | instskip(NEXT) | instid1(VALU_DEP_1)
	v_cmp_gt_i32_e64 s0, 32, v7
	v_dual_cndmask_b32 v7, v1, v7, s0 :: v_dual_bitop2_b32 v8, 1, v0 bitop3:0x40
	s_mov_b32 s0, s16
	s_delay_alu instid0(VALU_DEP_1)
	v_sub_nc_u64_e64 v[0:1], v[8:9], s[16:17]
	s_lshl_b64 s[18:19], s[0:1], 3
	v_cmp_eq_u32_e64 s0, 1, v8
	v_lshlrev_b32_e32 v18, 2, v7
	s_wait_kmcnt 0x0
	s_lshl_b32 s13, s13, 7
	s_sub_nc_u64 s[10:11], s[10:11], s[18:19]
	s_mov_b32 s18, s17
	s_branch .LBB44_9
.LBB44_7:                               ;   in Loop: Header=BB44_9 Depth=1
	s_wait_xcnt 0x0
	s_or_b32 exec_lo, exec_lo, s19
	global_store_b64 v[10:11], v[8:9], off
.LBB44_8:                               ;   in Loop: Header=BB44_9 Depth=1
	s_wait_xcnt 0x0
	s_or_b32 exec_lo, exec_lo, s1
	v_add_nc_u32_e32 v6, s13, v6
	s_delay_alu instid0(VALU_DEP_1) | instskip(SKIP_1) | instid1(SALU_CYCLE_1)
	v_cmp_le_i32_e64 s1, s12, v6
	s_or_b32 s18, s1, s18
	s_and_not1_b32 exec_lo, exec_lo, s18
	s_cbranch_execz .LBB44_16
.LBB44_9:                               ; =>This Loop Header: Depth=1
                                        ;     Child Loop BB44_11 Depth 2
	s_clause 0x1
	global_load_b64 v[8:9], v6, s[4:5] scale_offset
	global_load_b64 v[12:13], v6, s[14:15] scale_offset
	s_mov_b32 s19, exec_lo
	s_wait_loadcnt_dscnt 0x100
	v_sub_nc_u64_e64 v[10:11], v[8:9], s[16:17]
	s_wait_loadcnt 0x0
	v_add_nc_u64_e32 v[12:13], v[12:13], v[0:1]
	v_mov_b64_e32 v[8:9], 0
	s_wait_xcnt 0x0
	s_delay_alu instid0(VALU_DEP_2)
	v_cmpx_lt_i64_e64 v[12:13], v[10:11]
	s_cbranch_execz .LBB44_13
; %bb.10:                               ;   in Loop: Header=BB44_9 Depth=1
	v_mov_b64_e32 v[8:9], 0
	v_lshl_add_u64 v[14:15], v[12:13], 3, s[8:9]
	v_lshl_add_u64 v[16:17], v[12:13], 2, s[6:7]
	s_mov_b32 s20, 0
.LBB44_11:                              ;   Parent Loop BB44_9 Depth=1
                                        ; =>  This Inner Loop Header: Depth=2
	global_load_b32 v7, v[16:17], off
	global_load_b64 v[20:21], v[14:15], off
	v_add_nc_u64_e32 v[12:13], 2, v[12:13]
	s_wait_xcnt 0x0
	v_add_nc_u64_e32 v[14:15], 16, v[14:15]
	v_add_nc_u64_e32 v[16:17], 8, v[16:17]
	s_delay_alu instid0(VALU_DEP_3)
	v_cmp_ge_i64_e64 s1, v[12:13], v[10:11]
	s_or_b32 s20, s1, s20
	s_wait_loadcnt 0x1
	global_load_b64 v[22:23], v7, s[10:11] scale_offset
	s_wait_loadcnt 0x1
	v_mul_f64_e32 v[20:21], v[2:3], v[20:21]
	s_wait_loadcnt 0x0
	s_delay_alu instid0(VALU_DEP_1)
	v_fmac_f64_e32 v[8:9], v[20:21], v[22:23]
	s_wait_xcnt 0x0
	s_and_not1_b32 exec_lo, exec_lo, s20
	s_cbranch_execnz .LBB44_11
; %bb.12:                               ;   in Loop: Header=BB44_9 Depth=1
	s_or_b32 exec_lo, exec_lo, s20
.LBB44_13:                              ;   in Loop: Header=BB44_9 Depth=1
	s_delay_alu instid0(SALU_CYCLE_1)
	s_or_b32 exec_lo, exec_lo, s19
	ds_bpermute_b32 v10, v18, v8
	ds_bpermute_b32 v11, v18, v9
	v_ashrrev_i32_e32 v7, 31, v6
	s_and_saveexec_b32 s1, s0
	s_cbranch_execz .LBB44_8
; %bb.14:                               ;   in Loop: Header=BB44_9 Depth=1
	s_wait_dscnt 0x0
	v_add_f64_e32 v[8:9], v[8:9], v[10:11]
	v_lshl_add_u64 v[10:11], v[6:7], 3, s[2:3]
	s_and_saveexec_b32 s19, vcc_lo
	s_cbranch_execz .LBB44_7
; %bb.15:                               ;   in Loop: Header=BB44_9 Depth=1
	global_load_b64 v[12:13], v[10:11], off
	s_wait_loadcnt 0x0
	v_fmac_f64_e32 v[8:9], v[4:5], v[12:13]
	s_branch .LBB44_7
.LBB44_16:
	s_endpgm
	.section	.rodata,"a",@progbits
	.p2align	6, 0x0
	.amdhsa_kernel _ZN9rocsparseL21csrmvn_general_kernelILj256ELj2EliddddEEvbT2_NS_24const_host_device_scalarIT6_EEPKT1_S7_PKS1_PKT3_PKT4_S4_PT5_21rocsparse_index_base_b
		.amdhsa_group_segment_fixed_size 0
		.amdhsa_private_segment_fixed_size 0
		.amdhsa_kernarg_size 336
		.amdhsa_user_sgpr_count 2
		.amdhsa_user_sgpr_dispatch_ptr 0
		.amdhsa_user_sgpr_queue_ptr 0
		.amdhsa_user_sgpr_kernarg_segment_ptr 1
		.amdhsa_user_sgpr_dispatch_id 0
		.amdhsa_user_sgpr_kernarg_preload_length 0
		.amdhsa_user_sgpr_kernarg_preload_offset 0
		.amdhsa_user_sgpr_private_segment_size 0
		.amdhsa_wavefront_size32 1
		.amdhsa_uses_dynamic_stack 0
		.amdhsa_enable_private_segment 0
		.amdhsa_system_sgpr_workgroup_id_x 1
		.amdhsa_system_sgpr_workgroup_id_y 0
		.amdhsa_system_sgpr_workgroup_id_z 0
		.amdhsa_system_sgpr_workgroup_info 0
		.amdhsa_system_vgpr_workitem_id 0
		.amdhsa_next_free_vgpr 24
		.amdhsa_next_free_sgpr 21
		.amdhsa_named_barrier_count 0
		.amdhsa_reserve_vcc 1
		.amdhsa_float_round_mode_32 0
		.amdhsa_float_round_mode_16_64 0
		.amdhsa_float_denorm_mode_32 3
		.amdhsa_float_denorm_mode_16_64 3
		.amdhsa_fp16_overflow 0
		.amdhsa_memory_ordered 1
		.amdhsa_forward_progress 1
		.amdhsa_inst_pref_size 6
		.amdhsa_round_robin_scheduling 0
		.amdhsa_exception_fp_ieee_invalid_op 0
		.amdhsa_exception_fp_denorm_src 0
		.amdhsa_exception_fp_ieee_div_zero 0
		.amdhsa_exception_fp_ieee_overflow 0
		.amdhsa_exception_fp_ieee_underflow 0
		.amdhsa_exception_fp_ieee_inexact 0
		.amdhsa_exception_int_div_zero 0
	.end_amdhsa_kernel
	.section	.text._ZN9rocsparseL21csrmvn_general_kernelILj256ELj2EliddddEEvbT2_NS_24const_host_device_scalarIT6_EEPKT1_S7_PKS1_PKT3_PKT4_S4_PT5_21rocsparse_index_base_b,"axG",@progbits,_ZN9rocsparseL21csrmvn_general_kernelILj256ELj2EliddddEEvbT2_NS_24const_host_device_scalarIT6_EEPKT1_S7_PKS1_PKT3_PKT4_S4_PT5_21rocsparse_index_base_b,comdat
.Lfunc_end44:
	.size	_ZN9rocsparseL21csrmvn_general_kernelILj256ELj2EliddddEEvbT2_NS_24const_host_device_scalarIT6_EEPKT1_S7_PKS1_PKT3_PKT4_S4_PT5_21rocsparse_index_base_b, .Lfunc_end44-_ZN9rocsparseL21csrmvn_general_kernelILj256ELj2EliddddEEvbT2_NS_24const_host_device_scalarIT6_EEPKT1_S7_PKS1_PKT3_PKT4_S4_PT5_21rocsparse_index_base_b
                                        ; -- End function
	.set _ZN9rocsparseL21csrmvn_general_kernelILj256ELj2EliddddEEvbT2_NS_24const_host_device_scalarIT6_EEPKT1_S7_PKS1_PKT3_PKT4_S4_PT5_21rocsparse_index_base_b.num_vgpr, 24
	.set _ZN9rocsparseL21csrmvn_general_kernelILj256ELj2EliddddEEvbT2_NS_24const_host_device_scalarIT6_EEPKT1_S7_PKS1_PKT3_PKT4_S4_PT5_21rocsparse_index_base_b.num_agpr, 0
	.set _ZN9rocsparseL21csrmvn_general_kernelILj256ELj2EliddddEEvbT2_NS_24const_host_device_scalarIT6_EEPKT1_S7_PKS1_PKT3_PKT4_S4_PT5_21rocsparse_index_base_b.numbered_sgpr, 21
	.set _ZN9rocsparseL21csrmvn_general_kernelILj256ELj2EliddddEEvbT2_NS_24const_host_device_scalarIT6_EEPKT1_S7_PKS1_PKT3_PKT4_S4_PT5_21rocsparse_index_base_b.num_named_barrier, 0
	.set _ZN9rocsparseL21csrmvn_general_kernelILj256ELj2EliddddEEvbT2_NS_24const_host_device_scalarIT6_EEPKT1_S7_PKS1_PKT3_PKT4_S4_PT5_21rocsparse_index_base_b.private_seg_size, 0
	.set _ZN9rocsparseL21csrmvn_general_kernelILj256ELj2EliddddEEvbT2_NS_24const_host_device_scalarIT6_EEPKT1_S7_PKS1_PKT3_PKT4_S4_PT5_21rocsparse_index_base_b.uses_vcc, 1
	.set _ZN9rocsparseL21csrmvn_general_kernelILj256ELj2EliddddEEvbT2_NS_24const_host_device_scalarIT6_EEPKT1_S7_PKS1_PKT3_PKT4_S4_PT5_21rocsparse_index_base_b.uses_flat_scratch, 0
	.set _ZN9rocsparseL21csrmvn_general_kernelILj256ELj2EliddddEEvbT2_NS_24const_host_device_scalarIT6_EEPKT1_S7_PKS1_PKT3_PKT4_S4_PT5_21rocsparse_index_base_b.has_dyn_sized_stack, 0
	.set _ZN9rocsparseL21csrmvn_general_kernelILj256ELj2EliddddEEvbT2_NS_24const_host_device_scalarIT6_EEPKT1_S7_PKS1_PKT3_PKT4_S4_PT5_21rocsparse_index_base_b.has_recursion, 0
	.set _ZN9rocsparseL21csrmvn_general_kernelILj256ELj2EliddddEEvbT2_NS_24const_host_device_scalarIT6_EEPKT1_S7_PKS1_PKT3_PKT4_S4_PT5_21rocsparse_index_base_b.has_indirect_call, 0
	.section	.AMDGPU.csdata,"",@progbits
; Kernel info:
; codeLenInByte = 712
; TotalNumSgprs: 23
; NumVgprs: 24
; ScratchSize: 0
; MemoryBound: 1
; FloatMode: 240
; IeeeMode: 1
; LDSByteSize: 0 bytes/workgroup (compile time only)
; SGPRBlocks: 0
; VGPRBlocks: 1
; NumSGPRsForWavesPerEU: 23
; NumVGPRsForWavesPerEU: 24
; NamedBarCnt: 0
; Occupancy: 16
; WaveLimiterHint : 1
; COMPUTE_PGM_RSRC2:SCRATCH_EN: 0
; COMPUTE_PGM_RSRC2:USER_SGPR: 2
; COMPUTE_PGM_RSRC2:TRAP_HANDLER: 0
; COMPUTE_PGM_RSRC2:TGID_X_EN: 1
; COMPUTE_PGM_RSRC2:TGID_Y_EN: 0
; COMPUTE_PGM_RSRC2:TGID_Z_EN: 0
; COMPUTE_PGM_RSRC2:TIDIG_COMP_CNT: 0
	.section	.text._ZN9rocsparseL21csrmvn_general_kernelILj256ELj4EliddddEEvbT2_NS_24const_host_device_scalarIT6_EEPKT1_S7_PKS1_PKT3_PKT4_S4_PT5_21rocsparse_index_base_b,"axG",@progbits,_ZN9rocsparseL21csrmvn_general_kernelILj256ELj4EliddddEEvbT2_NS_24const_host_device_scalarIT6_EEPKT1_S7_PKS1_PKT3_PKT4_S4_PT5_21rocsparse_index_base_b,comdat
	.globl	_ZN9rocsparseL21csrmvn_general_kernelILj256ELj4EliddddEEvbT2_NS_24const_host_device_scalarIT6_EEPKT1_S7_PKS1_PKT3_PKT4_S4_PT5_21rocsparse_index_base_b ; -- Begin function _ZN9rocsparseL21csrmvn_general_kernelILj256ELj4EliddddEEvbT2_NS_24const_host_device_scalarIT6_EEPKT1_S7_PKS1_PKT3_PKT4_S4_PT5_21rocsparse_index_base_b
	.p2align	8
	.type	_ZN9rocsparseL21csrmvn_general_kernelILj256ELj4EliddddEEvbT2_NS_24const_host_device_scalarIT6_EEPKT1_S7_PKS1_PKT3_PKT4_S4_PT5_21rocsparse_index_base_b,@function
_ZN9rocsparseL21csrmvn_general_kernelILj256ELj4EliddddEEvbT2_NS_24const_host_device_scalarIT6_EEPKT1_S7_PKS1_PKT3_PKT4_S4_PT5_21rocsparse_index_base_b: ; @_ZN9rocsparseL21csrmvn_general_kernelILj256ELj4EliddddEEvbT2_NS_24const_host_device_scalarIT6_EEPKT1_S7_PKS1_PKT3_PKT4_S4_PT5_21rocsparse_index_base_b
; %bb.0:
	s_clause 0x2
	s_load_b64 s[16:17], s[0:1], 0x48
	s_load_b128 s[12:15], s[0:1], 0x8
	s_load_b64 s[2:3], s[0:1], 0x38
	s_wait_kmcnt 0x0
	s_bitcmp1_b32 s17, 0
	v_mov_b64_e32 v[2:3], s[12:13]
	s_cselect_b32 s4, -1, 0
	s_delay_alu instid0(SALU_CYCLE_1)
	s_and_b32 vcc_lo, exec_lo, s4
	s_xor_b32 s4, s4, -1
	s_cbranch_vccnz .LBB45_2
; %bb.1:
	v_mov_b32_e32 v1, 0
	flat_load_b64 v[2:3], v1, s[12:13]
.LBB45_2:
	v_mov_b64_e32 v[4:5], s[2:3]
	s_and_not1_b32 vcc_lo, exec_lo, s4
	s_cbranch_vccnz .LBB45_4
; %bb.3:
	s_wait_xcnt 0x0
	v_mov_b32_e32 v1, 0
	flat_load_b64 v[4:5], v1, s[2:3]
.LBB45_4:
	s_wait_loadcnt_dscnt 0x0
	v_cmp_neq_f64_e32 vcc_lo, 0, v[2:3]
	s_delay_alu instid0(VALU_DEP_2) | instskip(SKIP_1) | instid1(SALU_CYCLE_1)
	v_cmp_neq_f64_e64 s2, 1.0, v[4:5]
	s_or_b32 s2, vcc_lo, s2
	s_and_saveexec_b32 s3, s2
	s_cbranch_execz .LBB45_16
; %bb.5:
	s_bfe_u32 s2, ttmp6, 0x4000c
	s_load_b32 s12, s[0:1], 0x4
	s_add_co_i32 s2, s2, 1
	s_and_b32 s3, ttmp6, 15
	s_mul_i32 s2, ttmp9, s2
	s_getreg_b32 s4, hwreg(HW_REG_IB_STS2, 6, 4)
	s_add_co_i32 s3, s3, s2
	s_cmp_eq_u32 s4, 0
	s_mov_b32 s17, 0
	s_cselect_b32 s2, ttmp9, s3
	s_delay_alu instid0(SALU_CYCLE_1) | instskip(NEXT) | instid1(VALU_DEP_1)
	v_lshl_or_b32 v1, s2, 8, v0
	v_lshrrev_b32_e32 v6, 2, v1
	s_wait_kmcnt 0x0
	s_delay_alu instid0(VALU_DEP_1)
	v_cmp_gt_i32_e32 vcc_lo, s12, v6
	s_and_b32 exec_lo, exec_lo, vcc_lo
	s_cbranch_execz .LBB45_16
; %bb.6:
	v_mbcnt_lo_u32_b32 v1, -1, 0
	s_clause 0x2
	s_load_b32 s13, s[0:1], 0x50
	s_load_b256 s[4:11], s[0:1], 0x18
	s_load_b64 s[2:3], s[0:1], 0x40
	s_wait_xcnt 0x0
	s_ashr_i32 s1, s16, 31
	v_cmp_neq_f64_e32 vcc_lo, 0, v[4:5]
	v_dual_mov_b32 v9, 0 :: v_dual_bitop2_b32 v7, 2, v1 bitop3:0x14
	s_delay_alu instid0(VALU_DEP_1) | instskip(NEXT) | instid1(VALU_DEP_1)
	v_cmp_gt_i32_e64 s0, 32, v7
	v_dual_cndmask_b32 v7, v1, v7, s0 :: v_dual_bitop2_b32 v8, 3, v0 bitop3:0x40
	s_delay_alu instid0(VALU_DEP_1) | instskip(NEXT) | instid1(VALU_DEP_1)
	v_dual_lshlrev_b32 v18, 2, v7 :: v_dual_bitop2_b32 v0, 1, v1 bitop3:0x14
	v_cmp_gt_i32_e64 s0, 32, v0
	s_wait_kmcnt 0x0
	s_lshl_b32 s13, s13, 6
	v_cndmask_b32_e64 v10, v1, v0, s0
	s_mov_b32 s0, s16
	v_sub_nc_u64_e64 v[0:1], v[8:9], s[16:17]
	s_lshl_b64 s[18:19], s[0:1], 3
	v_cmp_eq_u32_e64 s0, 3, v8
	v_lshlrev_b32_e32 v19, 2, v10
	s_sub_nc_u64 s[10:11], s[10:11], s[18:19]
	s_mov_b32 s18, s17
	s_branch .LBB45_9
.LBB45_7:                               ;   in Loop: Header=BB45_9 Depth=1
	s_wait_xcnt 0x0
	s_or_b32 exec_lo, exec_lo, s19
	global_store_b64 v[10:11], v[8:9], off
.LBB45_8:                               ;   in Loop: Header=BB45_9 Depth=1
	s_wait_xcnt 0x0
	s_or_b32 exec_lo, exec_lo, s1
	v_add_nc_u32_e32 v6, s13, v6
	s_delay_alu instid0(VALU_DEP_1) | instskip(SKIP_1) | instid1(SALU_CYCLE_1)
	v_cmp_le_i32_e64 s1, s12, v6
	s_or_b32 s18, s1, s18
	s_and_not1_b32 exec_lo, exec_lo, s18
	s_cbranch_execz .LBB45_16
.LBB45_9:                               ; =>This Loop Header: Depth=1
                                        ;     Child Loop BB45_11 Depth 2
	s_clause 0x1
	global_load_b64 v[8:9], v6, s[4:5] scale_offset
	global_load_b64 v[12:13], v6, s[14:15] scale_offset
	s_mov_b32 s19, exec_lo
	s_wait_loadcnt_dscnt 0x100
	v_sub_nc_u64_e64 v[10:11], v[8:9], s[16:17]
	s_wait_loadcnt 0x0
	v_add_nc_u64_e32 v[12:13], v[12:13], v[0:1]
	v_mov_b64_e32 v[8:9], 0
	s_wait_xcnt 0x0
	s_delay_alu instid0(VALU_DEP_2)
	v_cmpx_lt_i64_e64 v[12:13], v[10:11]
	s_cbranch_execz .LBB45_13
; %bb.10:                               ;   in Loop: Header=BB45_9 Depth=1
	v_mov_b64_e32 v[8:9], 0
	v_lshl_add_u64 v[14:15], v[12:13], 3, s[8:9]
	v_lshl_add_u64 v[16:17], v[12:13], 2, s[6:7]
	s_mov_b32 s20, 0
.LBB45_11:                              ;   Parent Loop BB45_9 Depth=1
                                        ; =>  This Inner Loop Header: Depth=2
	global_load_b32 v7, v[16:17], off
	global_load_b64 v[20:21], v[14:15], off
	v_add_nc_u64_e32 v[12:13], 4, v[12:13]
	s_wait_xcnt 0x0
	v_add_nc_u64_e32 v[14:15], 32, v[14:15]
	v_add_nc_u64_e32 v[16:17], 16, v[16:17]
	s_delay_alu instid0(VALU_DEP_3)
	v_cmp_ge_i64_e64 s1, v[12:13], v[10:11]
	s_or_b32 s20, s1, s20
	s_wait_loadcnt 0x1
	global_load_b64 v[22:23], v7, s[10:11] scale_offset
	s_wait_loadcnt 0x1
	v_mul_f64_e32 v[20:21], v[2:3], v[20:21]
	s_wait_loadcnt 0x0
	s_delay_alu instid0(VALU_DEP_1)
	v_fmac_f64_e32 v[8:9], v[20:21], v[22:23]
	s_wait_xcnt 0x0
	s_and_not1_b32 exec_lo, exec_lo, s20
	s_cbranch_execnz .LBB45_11
; %bb.12:                               ;   in Loop: Header=BB45_9 Depth=1
	s_or_b32 exec_lo, exec_lo, s20
.LBB45_13:                              ;   in Loop: Header=BB45_9 Depth=1
	s_delay_alu instid0(SALU_CYCLE_1)
	s_or_b32 exec_lo, exec_lo, s19
	ds_bpermute_b32 v10, v18, v8
	ds_bpermute_b32 v11, v18, v9
	v_ashrrev_i32_e32 v7, 31, v6
	s_wait_dscnt 0x0
	v_add_f64_e32 v[8:9], v[8:9], v[10:11]
	ds_bpermute_b32 v10, v19, v8
	ds_bpermute_b32 v11, v19, v9
	s_and_saveexec_b32 s1, s0
	s_cbranch_execz .LBB45_8
; %bb.14:                               ;   in Loop: Header=BB45_9 Depth=1
	s_wait_dscnt 0x0
	v_add_f64_e32 v[8:9], v[8:9], v[10:11]
	v_lshl_add_u64 v[10:11], v[6:7], 3, s[2:3]
	s_and_saveexec_b32 s19, vcc_lo
	s_cbranch_execz .LBB45_7
; %bb.15:                               ;   in Loop: Header=BB45_9 Depth=1
	global_load_b64 v[12:13], v[10:11], off
	s_wait_loadcnt 0x0
	v_fmac_f64_e32 v[8:9], v[4:5], v[12:13]
	s_branch .LBB45_7
.LBB45_16:
	s_endpgm
	.section	.rodata,"a",@progbits
	.p2align	6, 0x0
	.amdhsa_kernel _ZN9rocsparseL21csrmvn_general_kernelILj256ELj4EliddddEEvbT2_NS_24const_host_device_scalarIT6_EEPKT1_S7_PKS1_PKT3_PKT4_S4_PT5_21rocsparse_index_base_b
		.amdhsa_group_segment_fixed_size 0
		.amdhsa_private_segment_fixed_size 0
		.amdhsa_kernarg_size 336
		.amdhsa_user_sgpr_count 2
		.amdhsa_user_sgpr_dispatch_ptr 0
		.amdhsa_user_sgpr_queue_ptr 0
		.amdhsa_user_sgpr_kernarg_segment_ptr 1
		.amdhsa_user_sgpr_dispatch_id 0
		.amdhsa_user_sgpr_kernarg_preload_length 0
		.amdhsa_user_sgpr_kernarg_preload_offset 0
		.amdhsa_user_sgpr_private_segment_size 0
		.amdhsa_wavefront_size32 1
		.amdhsa_uses_dynamic_stack 0
		.amdhsa_enable_private_segment 0
		.amdhsa_system_sgpr_workgroup_id_x 1
		.amdhsa_system_sgpr_workgroup_id_y 0
		.amdhsa_system_sgpr_workgroup_id_z 0
		.amdhsa_system_sgpr_workgroup_info 0
		.amdhsa_system_vgpr_workitem_id 0
		.amdhsa_next_free_vgpr 24
		.amdhsa_next_free_sgpr 21
		.amdhsa_named_barrier_count 0
		.amdhsa_reserve_vcc 1
		.amdhsa_float_round_mode_32 0
		.amdhsa_float_round_mode_16_64 0
		.amdhsa_float_denorm_mode_32 3
		.amdhsa_float_denorm_mode_16_64 3
		.amdhsa_fp16_overflow 0
		.amdhsa_memory_ordered 1
		.amdhsa_forward_progress 1
		.amdhsa_inst_pref_size 6
		.amdhsa_round_robin_scheduling 0
		.amdhsa_exception_fp_ieee_invalid_op 0
		.amdhsa_exception_fp_denorm_src 0
		.amdhsa_exception_fp_ieee_div_zero 0
		.amdhsa_exception_fp_ieee_overflow 0
		.amdhsa_exception_fp_ieee_underflow 0
		.amdhsa_exception_fp_ieee_inexact 0
		.amdhsa_exception_int_div_zero 0
	.end_amdhsa_kernel
	.section	.text._ZN9rocsparseL21csrmvn_general_kernelILj256ELj4EliddddEEvbT2_NS_24const_host_device_scalarIT6_EEPKT1_S7_PKS1_PKT3_PKT4_S4_PT5_21rocsparse_index_base_b,"axG",@progbits,_ZN9rocsparseL21csrmvn_general_kernelILj256ELj4EliddddEEvbT2_NS_24const_host_device_scalarIT6_EEPKT1_S7_PKS1_PKT3_PKT4_S4_PT5_21rocsparse_index_base_b,comdat
.Lfunc_end45:
	.size	_ZN9rocsparseL21csrmvn_general_kernelILj256ELj4EliddddEEvbT2_NS_24const_host_device_scalarIT6_EEPKT1_S7_PKS1_PKT3_PKT4_S4_PT5_21rocsparse_index_base_b, .Lfunc_end45-_ZN9rocsparseL21csrmvn_general_kernelILj256ELj4EliddddEEvbT2_NS_24const_host_device_scalarIT6_EEPKT1_S7_PKS1_PKT3_PKT4_S4_PT5_21rocsparse_index_base_b
                                        ; -- End function
	.set _ZN9rocsparseL21csrmvn_general_kernelILj256ELj4EliddddEEvbT2_NS_24const_host_device_scalarIT6_EEPKT1_S7_PKS1_PKT3_PKT4_S4_PT5_21rocsparse_index_base_b.num_vgpr, 24
	.set _ZN9rocsparseL21csrmvn_general_kernelILj256ELj4EliddddEEvbT2_NS_24const_host_device_scalarIT6_EEPKT1_S7_PKS1_PKT3_PKT4_S4_PT5_21rocsparse_index_base_b.num_agpr, 0
	.set _ZN9rocsparseL21csrmvn_general_kernelILj256ELj4EliddddEEvbT2_NS_24const_host_device_scalarIT6_EEPKT1_S7_PKS1_PKT3_PKT4_S4_PT5_21rocsparse_index_base_b.numbered_sgpr, 21
	.set _ZN9rocsparseL21csrmvn_general_kernelILj256ELj4EliddddEEvbT2_NS_24const_host_device_scalarIT6_EEPKT1_S7_PKS1_PKT3_PKT4_S4_PT5_21rocsparse_index_base_b.num_named_barrier, 0
	.set _ZN9rocsparseL21csrmvn_general_kernelILj256ELj4EliddddEEvbT2_NS_24const_host_device_scalarIT6_EEPKT1_S7_PKS1_PKT3_PKT4_S4_PT5_21rocsparse_index_base_b.private_seg_size, 0
	.set _ZN9rocsparseL21csrmvn_general_kernelILj256ELj4EliddddEEvbT2_NS_24const_host_device_scalarIT6_EEPKT1_S7_PKS1_PKT3_PKT4_S4_PT5_21rocsparse_index_base_b.uses_vcc, 1
	.set _ZN9rocsparseL21csrmvn_general_kernelILj256ELj4EliddddEEvbT2_NS_24const_host_device_scalarIT6_EEPKT1_S7_PKS1_PKT3_PKT4_S4_PT5_21rocsparse_index_base_b.uses_flat_scratch, 0
	.set _ZN9rocsparseL21csrmvn_general_kernelILj256ELj4EliddddEEvbT2_NS_24const_host_device_scalarIT6_EEPKT1_S7_PKS1_PKT3_PKT4_S4_PT5_21rocsparse_index_base_b.has_dyn_sized_stack, 0
	.set _ZN9rocsparseL21csrmvn_general_kernelILj256ELj4EliddddEEvbT2_NS_24const_host_device_scalarIT6_EEPKT1_S7_PKS1_PKT3_PKT4_S4_PT5_21rocsparse_index_base_b.has_recursion, 0
	.set _ZN9rocsparseL21csrmvn_general_kernelILj256ELj4EliddddEEvbT2_NS_24const_host_device_scalarIT6_EEPKT1_S7_PKS1_PKT3_PKT4_S4_PT5_21rocsparse_index_base_b.has_indirect_call, 0
	.section	.AMDGPU.csdata,"",@progbits
; Kernel info:
; codeLenInByte = 764
; TotalNumSgprs: 23
; NumVgprs: 24
; ScratchSize: 0
; MemoryBound: 1
; FloatMode: 240
; IeeeMode: 1
; LDSByteSize: 0 bytes/workgroup (compile time only)
; SGPRBlocks: 0
; VGPRBlocks: 1
; NumSGPRsForWavesPerEU: 23
; NumVGPRsForWavesPerEU: 24
; NamedBarCnt: 0
; Occupancy: 16
; WaveLimiterHint : 1
; COMPUTE_PGM_RSRC2:SCRATCH_EN: 0
; COMPUTE_PGM_RSRC2:USER_SGPR: 2
; COMPUTE_PGM_RSRC2:TRAP_HANDLER: 0
; COMPUTE_PGM_RSRC2:TGID_X_EN: 1
; COMPUTE_PGM_RSRC2:TGID_Y_EN: 0
; COMPUTE_PGM_RSRC2:TGID_Z_EN: 0
; COMPUTE_PGM_RSRC2:TIDIG_COMP_CNT: 0
	.section	.text._ZN9rocsparseL21csrmvn_general_kernelILj256ELj8EliddddEEvbT2_NS_24const_host_device_scalarIT6_EEPKT1_S7_PKS1_PKT3_PKT4_S4_PT5_21rocsparse_index_base_b,"axG",@progbits,_ZN9rocsparseL21csrmvn_general_kernelILj256ELj8EliddddEEvbT2_NS_24const_host_device_scalarIT6_EEPKT1_S7_PKS1_PKT3_PKT4_S4_PT5_21rocsparse_index_base_b,comdat
	.globl	_ZN9rocsparseL21csrmvn_general_kernelILj256ELj8EliddddEEvbT2_NS_24const_host_device_scalarIT6_EEPKT1_S7_PKS1_PKT3_PKT4_S4_PT5_21rocsparse_index_base_b ; -- Begin function _ZN9rocsparseL21csrmvn_general_kernelILj256ELj8EliddddEEvbT2_NS_24const_host_device_scalarIT6_EEPKT1_S7_PKS1_PKT3_PKT4_S4_PT5_21rocsparse_index_base_b
	.p2align	8
	.type	_ZN9rocsparseL21csrmvn_general_kernelILj256ELj8EliddddEEvbT2_NS_24const_host_device_scalarIT6_EEPKT1_S7_PKS1_PKT3_PKT4_S4_PT5_21rocsparse_index_base_b,@function
_ZN9rocsparseL21csrmvn_general_kernelILj256ELj8EliddddEEvbT2_NS_24const_host_device_scalarIT6_EEPKT1_S7_PKS1_PKT3_PKT4_S4_PT5_21rocsparse_index_base_b: ; @_ZN9rocsparseL21csrmvn_general_kernelILj256ELj8EliddddEEvbT2_NS_24const_host_device_scalarIT6_EEPKT1_S7_PKS1_PKT3_PKT4_S4_PT5_21rocsparse_index_base_b
; %bb.0:
	s_clause 0x2
	s_load_b64 s[16:17], s[0:1], 0x48
	s_load_b128 s[12:15], s[0:1], 0x8
	s_load_b64 s[2:3], s[0:1], 0x38
	s_wait_kmcnt 0x0
	s_bitcmp1_b32 s17, 0
	v_mov_b64_e32 v[2:3], s[12:13]
	s_cselect_b32 s4, -1, 0
	s_delay_alu instid0(SALU_CYCLE_1)
	s_and_b32 vcc_lo, exec_lo, s4
	s_xor_b32 s4, s4, -1
	s_cbranch_vccnz .LBB46_2
; %bb.1:
	v_mov_b32_e32 v1, 0
	flat_load_b64 v[2:3], v1, s[12:13]
.LBB46_2:
	v_mov_b64_e32 v[4:5], s[2:3]
	s_and_not1_b32 vcc_lo, exec_lo, s4
	s_cbranch_vccnz .LBB46_4
; %bb.3:
	s_wait_xcnt 0x0
	v_mov_b32_e32 v1, 0
	flat_load_b64 v[4:5], v1, s[2:3]
.LBB46_4:
	s_wait_loadcnt_dscnt 0x0
	v_cmp_neq_f64_e32 vcc_lo, 0, v[2:3]
	s_delay_alu instid0(VALU_DEP_2) | instskip(SKIP_1) | instid1(SALU_CYCLE_1)
	v_cmp_neq_f64_e64 s2, 1.0, v[4:5]
	s_or_b32 s2, vcc_lo, s2
	s_and_saveexec_b32 s3, s2
	s_cbranch_execz .LBB46_16
; %bb.5:
	s_bfe_u32 s2, ttmp6, 0x4000c
	s_load_b32 s12, s[0:1], 0x4
	s_add_co_i32 s2, s2, 1
	s_and_b32 s3, ttmp6, 15
	s_mul_i32 s2, ttmp9, s2
	s_getreg_b32 s4, hwreg(HW_REG_IB_STS2, 6, 4)
	s_add_co_i32 s3, s3, s2
	s_cmp_eq_u32 s4, 0
	s_mov_b32 s17, 0
	s_cselect_b32 s2, ttmp9, s3
	s_delay_alu instid0(SALU_CYCLE_1) | instskip(NEXT) | instid1(VALU_DEP_1)
	v_lshl_or_b32 v1, s2, 8, v0
	v_lshrrev_b32_e32 v6, 3, v1
	s_wait_kmcnt 0x0
	s_delay_alu instid0(VALU_DEP_1)
	v_cmp_gt_i32_e32 vcc_lo, s12, v6
	s_and_b32 exec_lo, exec_lo, vcc_lo
	s_cbranch_execz .LBB46_16
; %bb.6:
	v_mbcnt_lo_u32_b32 v1, -1, 0
	v_dual_mov_b32 v9, 0 :: v_dual_bitop2_b32 v8, 7, v0 bitop3:0x40
	s_clause 0x2
	s_load_b256 s[4:11], s[0:1], 0x18
	s_load_b64 s[2:3], s[0:1], 0x40
	s_load_b32 s13, s[0:1], 0x50
	v_xor_b32_e32 v7, 2, v1
	v_xor_b32_e32 v0, 4, v1
	s_ashr_i32 s19, s16, 31
	s_mov_b32 s18, s16
	v_cmp_neq_f64_e32 vcc_lo, 0, v[4:5]
	s_lshl_b64 s[18:19], s[18:19], 3
	s_wait_xcnt 0x0
	v_cmp_gt_i32_e64 s0, 32, v0
	s_delay_alu instid0(VALU_DEP_1) | instskip(SKIP_1) | instid1(VALU_DEP_2)
	v_dual_cndmask_b32 v11, v1, v0, s0 :: v_dual_bitop2_b32 v10, 1, v1 bitop3:0x14
	v_cmp_gt_i32_e64 s0, 32, v7
	v_lshlrev_b32_e32 v18, 2, v11
	s_delay_alu instid0(VALU_DEP_2) | instskip(NEXT) | instid1(VALU_DEP_4)
	v_cndmask_b32_e64 v7, v1, v7, s0
	v_cmp_gt_i32_e64 s0, 32, v10
	s_wait_kmcnt 0x0
	s_lshl_b32 s13, s13, 5
	s_sub_nc_u64 s[10:11], s[10:11], s[18:19]
	s_mov_b32 s18, s17
	v_dual_lshlrev_b32 v19, 2, v7 :: v_dual_cndmask_b32 v10, v1, v10, s0
	v_sub_nc_u64_e64 v[0:1], v[8:9], s[16:17]
	v_cmp_eq_u32_e64 s0, 7, v8
	s_delay_alu instid0(VALU_DEP_3)
	v_lshlrev_b32_e32 v20, 2, v10
	s_branch .LBB46_9
.LBB46_7:                               ;   in Loop: Header=BB46_9 Depth=1
	s_wait_xcnt 0x0
	s_or_b32 exec_lo, exec_lo, s19
	global_store_b64 v[10:11], v[8:9], off
.LBB46_8:                               ;   in Loop: Header=BB46_9 Depth=1
	s_wait_xcnt 0x0
	s_or_b32 exec_lo, exec_lo, s1
	v_add_nc_u32_e32 v6, s13, v6
	s_delay_alu instid0(VALU_DEP_1) | instskip(SKIP_1) | instid1(SALU_CYCLE_1)
	v_cmp_le_i32_e64 s1, s12, v6
	s_or_b32 s18, s1, s18
	s_and_not1_b32 exec_lo, exec_lo, s18
	s_cbranch_execz .LBB46_16
.LBB46_9:                               ; =>This Loop Header: Depth=1
                                        ;     Child Loop BB46_11 Depth 2
	s_clause 0x1
	global_load_b64 v[8:9], v6, s[4:5] scale_offset
	global_load_b64 v[12:13], v6, s[14:15] scale_offset
	s_mov_b32 s19, exec_lo
	s_wait_loadcnt_dscnt 0x100
	v_sub_nc_u64_e64 v[10:11], v[8:9], s[16:17]
	s_wait_loadcnt 0x0
	v_add_nc_u64_e32 v[12:13], v[12:13], v[0:1]
	v_mov_b64_e32 v[8:9], 0
	s_wait_xcnt 0x0
	s_delay_alu instid0(VALU_DEP_2)
	v_cmpx_lt_i64_e64 v[12:13], v[10:11]
	s_cbranch_execz .LBB46_13
; %bb.10:                               ;   in Loop: Header=BB46_9 Depth=1
	v_mov_b64_e32 v[8:9], 0
	v_lshl_add_u64 v[14:15], v[12:13], 3, s[8:9]
	v_lshl_add_u64 v[16:17], v[12:13], 2, s[6:7]
	s_mov_b32 s20, 0
.LBB46_11:                              ;   Parent Loop BB46_9 Depth=1
                                        ; =>  This Inner Loop Header: Depth=2
	global_load_b32 v7, v[16:17], off
	global_load_b64 v[22:23], v[14:15], off
	v_add_nc_u64_e32 v[12:13], 8, v[12:13]
	s_wait_xcnt 0x0
	v_add_nc_u64_e32 v[14:15], 64, v[14:15]
	v_add_nc_u64_e32 v[16:17], 32, v[16:17]
	s_delay_alu instid0(VALU_DEP_3)
	v_cmp_ge_i64_e64 s1, v[12:13], v[10:11]
	s_or_b32 s20, s1, s20
	s_wait_loadcnt 0x1
	global_load_b64 v[24:25], v7, s[10:11] scale_offset
	s_wait_loadcnt 0x1
	v_mul_f64_e32 v[22:23], v[2:3], v[22:23]
	s_wait_loadcnt 0x0
	s_delay_alu instid0(VALU_DEP_1)
	v_fmac_f64_e32 v[8:9], v[22:23], v[24:25]
	s_wait_xcnt 0x0
	s_and_not1_b32 exec_lo, exec_lo, s20
	s_cbranch_execnz .LBB46_11
; %bb.12:                               ;   in Loop: Header=BB46_9 Depth=1
	s_or_b32 exec_lo, exec_lo, s20
.LBB46_13:                              ;   in Loop: Header=BB46_9 Depth=1
	s_delay_alu instid0(SALU_CYCLE_1)
	s_or_b32 exec_lo, exec_lo, s19
	ds_bpermute_b32 v10, v18, v8
	ds_bpermute_b32 v11, v18, v9
	v_ashrrev_i32_e32 v7, 31, v6
	s_wait_dscnt 0x0
	v_add_f64_e32 v[8:9], v[8:9], v[10:11]
	ds_bpermute_b32 v10, v19, v8
	ds_bpermute_b32 v11, v19, v9
	s_wait_dscnt 0x0
	v_add_f64_e32 v[8:9], v[8:9], v[10:11]
	ds_bpermute_b32 v10, v20, v8
	ds_bpermute_b32 v11, v20, v9
	s_and_saveexec_b32 s1, s0
	s_cbranch_execz .LBB46_8
; %bb.14:                               ;   in Loop: Header=BB46_9 Depth=1
	s_wait_dscnt 0x0
	v_add_f64_e32 v[8:9], v[8:9], v[10:11]
	v_lshl_add_u64 v[10:11], v[6:7], 3, s[2:3]
	s_and_saveexec_b32 s19, vcc_lo
	s_cbranch_execz .LBB46_7
; %bb.15:                               ;   in Loop: Header=BB46_9 Depth=1
	global_load_b64 v[12:13], v[10:11], off
	s_wait_loadcnt 0x0
	v_fmac_f64_e32 v[8:9], v[4:5], v[12:13]
	s_branch .LBB46_7
.LBB46_16:
	s_endpgm
	.section	.rodata,"a",@progbits
	.p2align	6, 0x0
	.amdhsa_kernel _ZN9rocsparseL21csrmvn_general_kernelILj256ELj8EliddddEEvbT2_NS_24const_host_device_scalarIT6_EEPKT1_S7_PKS1_PKT3_PKT4_S4_PT5_21rocsparse_index_base_b
		.amdhsa_group_segment_fixed_size 0
		.amdhsa_private_segment_fixed_size 0
		.amdhsa_kernarg_size 336
		.amdhsa_user_sgpr_count 2
		.amdhsa_user_sgpr_dispatch_ptr 0
		.amdhsa_user_sgpr_queue_ptr 0
		.amdhsa_user_sgpr_kernarg_segment_ptr 1
		.amdhsa_user_sgpr_dispatch_id 0
		.amdhsa_user_sgpr_kernarg_preload_length 0
		.amdhsa_user_sgpr_kernarg_preload_offset 0
		.amdhsa_user_sgpr_private_segment_size 0
		.amdhsa_wavefront_size32 1
		.amdhsa_uses_dynamic_stack 0
		.amdhsa_enable_private_segment 0
		.amdhsa_system_sgpr_workgroup_id_x 1
		.amdhsa_system_sgpr_workgroup_id_y 0
		.amdhsa_system_sgpr_workgroup_id_z 0
		.amdhsa_system_sgpr_workgroup_info 0
		.amdhsa_system_vgpr_workitem_id 0
		.amdhsa_next_free_vgpr 26
		.amdhsa_next_free_sgpr 21
		.amdhsa_named_barrier_count 0
		.amdhsa_reserve_vcc 1
		.amdhsa_float_round_mode_32 0
		.amdhsa_float_round_mode_16_64 0
		.amdhsa_float_denorm_mode_32 3
		.amdhsa_float_denorm_mode_16_64 3
		.amdhsa_fp16_overflow 0
		.amdhsa_memory_ordered 1
		.amdhsa_forward_progress 1
		.amdhsa_inst_pref_size 7
		.amdhsa_round_robin_scheduling 0
		.amdhsa_exception_fp_ieee_invalid_op 0
		.amdhsa_exception_fp_denorm_src 0
		.amdhsa_exception_fp_ieee_div_zero 0
		.amdhsa_exception_fp_ieee_overflow 0
		.amdhsa_exception_fp_ieee_underflow 0
		.amdhsa_exception_fp_ieee_inexact 0
		.amdhsa_exception_int_div_zero 0
	.end_amdhsa_kernel
	.section	.text._ZN9rocsparseL21csrmvn_general_kernelILj256ELj8EliddddEEvbT2_NS_24const_host_device_scalarIT6_EEPKT1_S7_PKS1_PKT3_PKT4_S4_PT5_21rocsparse_index_base_b,"axG",@progbits,_ZN9rocsparseL21csrmvn_general_kernelILj256ELj8EliddddEEvbT2_NS_24const_host_device_scalarIT6_EEPKT1_S7_PKS1_PKT3_PKT4_S4_PT5_21rocsparse_index_base_b,comdat
.Lfunc_end46:
	.size	_ZN9rocsparseL21csrmvn_general_kernelILj256ELj8EliddddEEvbT2_NS_24const_host_device_scalarIT6_EEPKT1_S7_PKS1_PKT3_PKT4_S4_PT5_21rocsparse_index_base_b, .Lfunc_end46-_ZN9rocsparseL21csrmvn_general_kernelILj256ELj8EliddddEEvbT2_NS_24const_host_device_scalarIT6_EEPKT1_S7_PKS1_PKT3_PKT4_S4_PT5_21rocsparse_index_base_b
                                        ; -- End function
	.set _ZN9rocsparseL21csrmvn_general_kernelILj256ELj8EliddddEEvbT2_NS_24const_host_device_scalarIT6_EEPKT1_S7_PKS1_PKT3_PKT4_S4_PT5_21rocsparse_index_base_b.num_vgpr, 26
	.set _ZN9rocsparseL21csrmvn_general_kernelILj256ELj8EliddddEEvbT2_NS_24const_host_device_scalarIT6_EEPKT1_S7_PKS1_PKT3_PKT4_S4_PT5_21rocsparse_index_base_b.num_agpr, 0
	.set _ZN9rocsparseL21csrmvn_general_kernelILj256ELj8EliddddEEvbT2_NS_24const_host_device_scalarIT6_EEPKT1_S7_PKS1_PKT3_PKT4_S4_PT5_21rocsparse_index_base_b.numbered_sgpr, 21
	.set _ZN9rocsparseL21csrmvn_general_kernelILj256ELj8EliddddEEvbT2_NS_24const_host_device_scalarIT6_EEPKT1_S7_PKS1_PKT3_PKT4_S4_PT5_21rocsparse_index_base_b.num_named_barrier, 0
	.set _ZN9rocsparseL21csrmvn_general_kernelILj256ELj8EliddddEEvbT2_NS_24const_host_device_scalarIT6_EEPKT1_S7_PKS1_PKT3_PKT4_S4_PT5_21rocsparse_index_base_b.private_seg_size, 0
	.set _ZN9rocsparseL21csrmvn_general_kernelILj256ELj8EliddddEEvbT2_NS_24const_host_device_scalarIT6_EEPKT1_S7_PKS1_PKT3_PKT4_S4_PT5_21rocsparse_index_base_b.uses_vcc, 1
	.set _ZN9rocsparseL21csrmvn_general_kernelILj256ELj8EliddddEEvbT2_NS_24const_host_device_scalarIT6_EEPKT1_S7_PKS1_PKT3_PKT4_S4_PT5_21rocsparse_index_base_b.uses_flat_scratch, 0
	.set _ZN9rocsparseL21csrmvn_general_kernelILj256ELj8EliddddEEvbT2_NS_24const_host_device_scalarIT6_EEPKT1_S7_PKS1_PKT3_PKT4_S4_PT5_21rocsparse_index_base_b.has_dyn_sized_stack, 0
	.set _ZN9rocsparseL21csrmvn_general_kernelILj256ELj8EliddddEEvbT2_NS_24const_host_device_scalarIT6_EEPKT1_S7_PKS1_PKT3_PKT4_S4_PT5_21rocsparse_index_base_b.has_recursion, 0
	.set _ZN9rocsparseL21csrmvn_general_kernelILj256ELj8EliddddEEvbT2_NS_24const_host_device_scalarIT6_EEPKT1_S7_PKS1_PKT3_PKT4_S4_PT5_21rocsparse_index_base_b.has_indirect_call, 0
	.section	.AMDGPU.csdata,"",@progbits
; Kernel info:
; codeLenInByte = 812
; TotalNumSgprs: 23
; NumVgprs: 26
; ScratchSize: 0
; MemoryBound: 1
; FloatMode: 240
; IeeeMode: 1
; LDSByteSize: 0 bytes/workgroup (compile time only)
; SGPRBlocks: 0
; VGPRBlocks: 1
; NumSGPRsForWavesPerEU: 23
; NumVGPRsForWavesPerEU: 26
; NamedBarCnt: 0
; Occupancy: 16
; WaveLimiterHint : 1
; COMPUTE_PGM_RSRC2:SCRATCH_EN: 0
; COMPUTE_PGM_RSRC2:USER_SGPR: 2
; COMPUTE_PGM_RSRC2:TRAP_HANDLER: 0
; COMPUTE_PGM_RSRC2:TGID_X_EN: 1
; COMPUTE_PGM_RSRC2:TGID_Y_EN: 0
; COMPUTE_PGM_RSRC2:TGID_Z_EN: 0
; COMPUTE_PGM_RSRC2:TIDIG_COMP_CNT: 0
	.section	.text._ZN9rocsparseL21csrmvn_general_kernelILj256ELj16EliddddEEvbT2_NS_24const_host_device_scalarIT6_EEPKT1_S7_PKS1_PKT3_PKT4_S4_PT5_21rocsparse_index_base_b,"axG",@progbits,_ZN9rocsparseL21csrmvn_general_kernelILj256ELj16EliddddEEvbT2_NS_24const_host_device_scalarIT6_EEPKT1_S7_PKS1_PKT3_PKT4_S4_PT5_21rocsparse_index_base_b,comdat
	.globl	_ZN9rocsparseL21csrmvn_general_kernelILj256ELj16EliddddEEvbT2_NS_24const_host_device_scalarIT6_EEPKT1_S7_PKS1_PKT3_PKT4_S4_PT5_21rocsparse_index_base_b ; -- Begin function _ZN9rocsparseL21csrmvn_general_kernelILj256ELj16EliddddEEvbT2_NS_24const_host_device_scalarIT6_EEPKT1_S7_PKS1_PKT3_PKT4_S4_PT5_21rocsparse_index_base_b
	.p2align	8
	.type	_ZN9rocsparseL21csrmvn_general_kernelILj256ELj16EliddddEEvbT2_NS_24const_host_device_scalarIT6_EEPKT1_S7_PKS1_PKT3_PKT4_S4_PT5_21rocsparse_index_base_b,@function
_ZN9rocsparseL21csrmvn_general_kernelILj256ELj16EliddddEEvbT2_NS_24const_host_device_scalarIT6_EEPKT1_S7_PKS1_PKT3_PKT4_S4_PT5_21rocsparse_index_base_b: ; @_ZN9rocsparseL21csrmvn_general_kernelILj256ELj16EliddddEEvbT2_NS_24const_host_device_scalarIT6_EEPKT1_S7_PKS1_PKT3_PKT4_S4_PT5_21rocsparse_index_base_b
; %bb.0:
	s_clause 0x2
	s_load_b64 s[16:17], s[0:1], 0x48
	s_load_b128 s[12:15], s[0:1], 0x8
	s_load_b64 s[2:3], s[0:1], 0x38
	s_wait_kmcnt 0x0
	s_bitcmp1_b32 s17, 0
	v_mov_b64_e32 v[2:3], s[12:13]
	s_cselect_b32 s4, -1, 0
	s_delay_alu instid0(SALU_CYCLE_1)
	s_and_b32 vcc_lo, exec_lo, s4
	s_xor_b32 s4, s4, -1
	s_cbranch_vccnz .LBB47_2
; %bb.1:
	v_mov_b32_e32 v1, 0
	flat_load_b64 v[2:3], v1, s[12:13]
.LBB47_2:
	v_mov_b64_e32 v[4:5], s[2:3]
	s_and_not1_b32 vcc_lo, exec_lo, s4
	s_cbranch_vccnz .LBB47_4
; %bb.3:
	s_wait_xcnt 0x0
	v_mov_b32_e32 v1, 0
	flat_load_b64 v[4:5], v1, s[2:3]
.LBB47_4:
	s_wait_loadcnt_dscnt 0x0
	v_cmp_neq_f64_e32 vcc_lo, 0, v[2:3]
	s_delay_alu instid0(VALU_DEP_2) | instskip(SKIP_1) | instid1(SALU_CYCLE_1)
	v_cmp_neq_f64_e64 s2, 1.0, v[4:5]
	s_or_b32 s2, vcc_lo, s2
	s_and_saveexec_b32 s3, s2
	s_cbranch_execz .LBB47_16
; %bb.5:
	s_bfe_u32 s2, ttmp6, 0x4000c
	s_load_b32 s12, s[0:1], 0x4
	s_add_co_i32 s2, s2, 1
	s_and_b32 s3, ttmp6, 15
	s_mul_i32 s2, ttmp9, s2
	s_getreg_b32 s4, hwreg(HW_REG_IB_STS2, 6, 4)
	s_add_co_i32 s3, s3, s2
	s_cmp_eq_u32 s4, 0
	s_mov_b32 s17, 0
	s_cselect_b32 s2, ttmp9, s3
	s_delay_alu instid0(SALU_CYCLE_1) | instskip(NEXT) | instid1(VALU_DEP_1)
	v_lshl_or_b32 v1, s2, 8, v0
	v_lshrrev_b32_e32 v6, 4, v1
	s_wait_kmcnt 0x0
	s_delay_alu instid0(VALU_DEP_1)
	v_cmp_gt_i32_e32 vcc_lo, s12, v6
	s_and_b32 exec_lo, exec_lo, vcc_lo
	s_cbranch_execz .LBB47_16
; %bb.6:
	v_dual_mov_b32 v9, 0 :: v_dual_bitop2_b32 v8, 15, v0 bitop3:0x40
	v_mbcnt_lo_u32_b32 v7, -1, 0
	s_clause 0x2
	s_load_b256 s[4:11], s[0:1], 0x18
	s_load_b64 s[2:3], s[0:1], 0x40
	s_load_b32 s13, s[0:1], 0x50
	s_ashr_i32 s19, s16, 31
	s_mov_b32 s18, s16
	v_sub_nc_u64_e64 v[0:1], v[8:9], s[16:17]
	v_xor_b32_e32 v10, 4, v7
	v_xor_b32_e32 v9, 8, v7
	s_lshl_b64 s[18:19], s[18:19], 3
	v_cmp_neq_f64_e32 vcc_lo, 0, v[4:5]
	s_wait_xcnt 0x0
	s_delay_alu instid0(VALU_DEP_2) | instskip(NEXT) | instid1(VALU_DEP_1)
	v_cmp_gt_i32_e64 s0, 32, v9
	v_dual_cndmask_b32 v9, v7, v9, s0 :: v_dual_bitop2_b32 v12, 1, v7 bitop3:0x14
	v_cmp_gt_i32_e64 s0, 32, v10
	s_wait_kmcnt 0x0
	s_sub_nc_u64 s[10:11], s[10:11], s[18:19]
	s_mov_b32 s18, s17
	v_dual_lshlrev_b32 v18, 2, v9 :: v_dual_bitop2_b32 v11, 2, v7 bitop3:0x14
	v_cndmask_b32_e64 v10, v7, v10, s0
	s_lshl_b32 s13, s13, 4
	s_delay_alu instid0(VALU_DEP_2) | instskip(NEXT) | instid1(VALU_DEP_1)
	v_cmp_gt_i32_e64 s0, 32, v11
	v_dual_lshlrev_b32 v19, 2, v10 :: v_dual_cndmask_b32 v11, v7, v11, s0
	v_cmp_gt_i32_e64 s0, 32, v12
	s_delay_alu instid0(VALU_DEP_1) | instskip(SKIP_1) | instid1(VALU_DEP_2)
	v_dual_lshlrev_b32 v20, 2, v11 :: v_dual_cndmask_b32 v7, v7, v12, s0
	v_cmp_eq_u32_e64 s0, 15, v8
	v_lshlrev_b32_e32 v21, 2, v7
	s_branch .LBB47_9
.LBB47_7:                               ;   in Loop: Header=BB47_9 Depth=1
	s_wait_xcnt 0x0
	s_or_b32 exec_lo, exec_lo, s19
	global_store_b64 v[10:11], v[8:9], off
.LBB47_8:                               ;   in Loop: Header=BB47_9 Depth=1
	s_wait_xcnt 0x0
	s_or_b32 exec_lo, exec_lo, s1
	v_add_nc_u32_e32 v6, s13, v6
	s_delay_alu instid0(VALU_DEP_1) | instskip(SKIP_1) | instid1(SALU_CYCLE_1)
	v_cmp_le_i32_e64 s1, s12, v6
	s_or_b32 s18, s1, s18
	s_and_not1_b32 exec_lo, exec_lo, s18
	s_cbranch_execz .LBB47_16
.LBB47_9:                               ; =>This Loop Header: Depth=1
                                        ;     Child Loop BB47_11 Depth 2
	s_clause 0x1
	global_load_b64 v[8:9], v6, s[4:5] scale_offset
	global_load_b64 v[12:13], v6, s[14:15] scale_offset
	s_mov_b32 s19, exec_lo
	s_wait_loadcnt_dscnt 0x100
	v_sub_nc_u64_e64 v[10:11], v[8:9], s[16:17]
	s_wait_loadcnt 0x0
	v_add_nc_u64_e32 v[12:13], v[12:13], v[0:1]
	v_mov_b64_e32 v[8:9], 0
	s_wait_xcnt 0x0
	s_delay_alu instid0(VALU_DEP_2)
	v_cmpx_lt_i64_e64 v[12:13], v[10:11]
	s_cbranch_execz .LBB47_13
; %bb.10:                               ;   in Loop: Header=BB47_9 Depth=1
	v_mov_b64_e32 v[8:9], 0
	v_lshl_add_u64 v[14:15], v[12:13], 3, s[8:9]
	v_lshl_add_u64 v[16:17], v[12:13], 2, s[6:7]
	s_mov_b32 s20, 0
.LBB47_11:                              ;   Parent Loop BB47_9 Depth=1
                                        ; =>  This Inner Loop Header: Depth=2
	global_load_b32 v7, v[16:17], off
	global_load_b64 v[22:23], v[14:15], off
	v_add_nc_u64_e32 v[12:13], 16, v[12:13]
	s_wait_xcnt 0x0
	v_add_nc_u64_e32 v[14:15], 0x80, v[14:15]
	v_add_nc_u64_e32 v[16:17], 64, v[16:17]
	s_delay_alu instid0(VALU_DEP_3)
	v_cmp_ge_i64_e64 s1, v[12:13], v[10:11]
	s_or_b32 s20, s1, s20
	s_wait_loadcnt 0x1
	global_load_b64 v[24:25], v7, s[10:11] scale_offset
	s_wait_loadcnt 0x1
	v_mul_f64_e32 v[22:23], v[2:3], v[22:23]
	s_wait_loadcnt 0x0
	s_delay_alu instid0(VALU_DEP_1)
	v_fmac_f64_e32 v[8:9], v[22:23], v[24:25]
	s_wait_xcnt 0x0
	s_and_not1_b32 exec_lo, exec_lo, s20
	s_cbranch_execnz .LBB47_11
; %bb.12:                               ;   in Loop: Header=BB47_9 Depth=1
	s_or_b32 exec_lo, exec_lo, s20
.LBB47_13:                              ;   in Loop: Header=BB47_9 Depth=1
	s_delay_alu instid0(SALU_CYCLE_1)
	s_or_b32 exec_lo, exec_lo, s19
	ds_bpermute_b32 v10, v18, v8
	ds_bpermute_b32 v11, v18, v9
	v_ashrrev_i32_e32 v7, 31, v6
	s_wait_dscnt 0x0
	v_add_f64_e32 v[8:9], v[8:9], v[10:11]
	ds_bpermute_b32 v10, v19, v8
	ds_bpermute_b32 v11, v19, v9
	s_wait_dscnt 0x0
	v_add_f64_e32 v[8:9], v[8:9], v[10:11]
	ds_bpermute_b32 v10, v20, v8
	ds_bpermute_b32 v11, v20, v9
	;; [unrolled: 4-line block ×3, first 2 shown]
	s_and_saveexec_b32 s1, s0
	s_cbranch_execz .LBB47_8
; %bb.14:                               ;   in Loop: Header=BB47_9 Depth=1
	s_wait_dscnt 0x0
	v_add_f64_e32 v[8:9], v[8:9], v[10:11]
	v_lshl_add_u64 v[10:11], v[6:7], 3, s[2:3]
	s_and_saveexec_b32 s19, vcc_lo
	s_cbranch_execz .LBB47_7
; %bb.15:                               ;   in Loop: Header=BB47_9 Depth=1
	global_load_b64 v[12:13], v[10:11], off
	s_wait_loadcnt 0x0
	v_fmac_f64_e32 v[8:9], v[4:5], v[12:13]
	s_branch .LBB47_7
.LBB47_16:
	s_endpgm
	.section	.rodata,"a",@progbits
	.p2align	6, 0x0
	.amdhsa_kernel _ZN9rocsparseL21csrmvn_general_kernelILj256ELj16EliddddEEvbT2_NS_24const_host_device_scalarIT6_EEPKT1_S7_PKS1_PKT3_PKT4_S4_PT5_21rocsparse_index_base_b
		.amdhsa_group_segment_fixed_size 0
		.amdhsa_private_segment_fixed_size 0
		.amdhsa_kernarg_size 336
		.amdhsa_user_sgpr_count 2
		.amdhsa_user_sgpr_dispatch_ptr 0
		.amdhsa_user_sgpr_queue_ptr 0
		.amdhsa_user_sgpr_kernarg_segment_ptr 1
		.amdhsa_user_sgpr_dispatch_id 0
		.amdhsa_user_sgpr_kernarg_preload_length 0
		.amdhsa_user_sgpr_kernarg_preload_offset 0
		.amdhsa_user_sgpr_private_segment_size 0
		.amdhsa_wavefront_size32 1
		.amdhsa_uses_dynamic_stack 0
		.amdhsa_enable_private_segment 0
		.amdhsa_system_sgpr_workgroup_id_x 1
		.amdhsa_system_sgpr_workgroup_id_y 0
		.amdhsa_system_sgpr_workgroup_id_z 0
		.amdhsa_system_sgpr_workgroup_info 0
		.amdhsa_system_vgpr_workitem_id 0
		.amdhsa_next_free_vgpr 26
		.amdhsa_next_free_sgpr 21
		.amdhsa_named_barrier_count 0
		.amdhsa_reserve_vcc 1
		.amdhsa_float_round_mode_32 0
		.amdhsa_float_round_mode_16_64 0
		.amdhsa_float_denorm_mode_32 3
		.amdhsa_float_denorm_mode_16_64 3
		.amdhsa_fp16_overflow 0
		.amdhsa_memory_ordered 1
		.amdhsa_forward_progress 1
		.amdhsa_inst_pref_size 7
		.amdhsa_round_robin_scheduling 0
		.amdhsa_exception_fp_ieee_invalid_op 0
		.amdhsa_exception_fp_denorm_src 0
		.amdhsa_exception_fp_ieee_div_zero 0
		.amdhsa_exception_fp_ieee_overflow 0
		.amdhsa_exception_fp_ieee_underflow 0
		.amdhsa_exception_fp_ieee_inexact 0
		.amdhsa_exception_int_div_zero 0
	.end_amdhsa_kernel
	.section	.text._ZN9rocsparseL21csrmvn_general_kernelILj256ELj16EliddddEEvbT2_NS_24const_host_device_scalarIT6_EEPKT1_S7_PKS1_PKT3_PKT4_S4_PT5_21rocsparse_index_base_b,"axG",@progbits,_ZN9rocsparseL21csrmvn_general_kernelILj256ELj16EliddddEEvbT2_NS_24const_host_device_scalarIT6_EEPKT1_S7_PKS1_PKT3_PKT4_S4_PT5_21rocsparse_index_base_b,comdat
.Lfunc_end47:
	.size	_ZN9rocsparseL21csrmvn_general_kernelILj256ELj16EliddddEEvbT2_NS_24const_host_device_scalarIT6_EEPKT1_S7_PKS1_PKT3_PKT4_S4_PT5_21rocsparse_index_base_b, .Lfunc_end47-_ZN9rocsparseL21csrmvn_general_kernelILj256ELj16EliddddEEvbT2_NS_24const_host_device_scalarIT6_EEPKT1_S7_PKS1_PKT3_PKT4_S4_PT5_21rocsparse_index_base_b
                                        ; -- End function
	.set _ZN9rocsparseL21csrmvn_general_kernelILj256ELj16EliddddEEvbT2_NS_24const_host_device_scalarIT6_EEPKT1_S7_PKS1_PKT3_PKT4_S4_PT5_21rocsparse_index_base_b.num_vgpr, 26
	.set _ZN9rocsparseL21csrmvn_general_kernelILj256ELj16EliddddEEvbT2_NS_24const_host_device_scalarIT6_EEPKT1_S7_PKS1_PKT3_PKT4_S4_PT5_21rocsparse_index_base_b.num_agpr, 0
	.set _ZN9rocsparseL21csrmvn_general_kernelILj256ELj16EliddddEEvbT2_NS_24const_host_device_scalarIT6_EEPKT1_S7_PKS1_PKT3_PKT4_S4_PT5_21rocsparse_index_base_b.numbered_sgpr, 21
	.set _ZN9rocsparseL21csrmvn_general_kernelILj256ELj16EliddddEEvbT2_NS_24const_host_device_scalarIT6_EEPKT1_S7_PKS1_PKT3_PKT4_S4_PT5_21rocsparse_index_base_b.num_named_barrier, 0
	.set _ZN9rocsparseL21csrmvn_general_kernelILj256ELj16EliddddEEvbT2_NS_24const_host_device_scalarIT6_EEPKT1_S7_PKS1_PKT3_PKT4_S4_PT5_21rocsparse_index_base_b.private_seg_size, 0
	.set _ZN9rocsparseL21csrmvn_general_kernelILj256ELj16EliddddEEvbT2_NS_24const_host_device_scalarIT6_EEPKT1_S7_PKS1_PKT3_PKT4_S4_PT5_21rocsparse_index_base_b.uses_vcc, 1
	.set _ZN9rocsparseL21csrmvn_general_kernelILj256ELj16EliddddEEvbT2_NS_24const_host_device_scalarIT6_EEPKT1_S7_PKS1_PKT3_PKT4_S4_PT5_21rocsparse_index_base_b.uses_flat_scratch, 0
	.set _ZN9rocsparseL21csrmvn_general_kernelILj256ELj16EliddddEEvbT2_NS_24const_host_device_scalarIT6_EEPKT1_S7_PKS1_PKT3_PKT4_S4_PT5_21rocsparse_index_base_b.has_dyn_sized_stack, 0
	.set _ZN9rocsparseL21csrmvn_general_kernelILj256ELj16EliddddEEvbT2_NS_24const_host_device_scalarIT6_EEPKT1_S7_PKS1_PKT3_PKT4_S4_PT5_21rocsparse_index_base_b.has_recursion, 0
	.set _ZN9rocsparseL21csrmvn_general_kernelILj256ELj16EliddddEEvbT2_NS_24const_host_device_scalarIT6_EEPKT1_S7_PKS1_PKT3_PKT4_S4_PT5_21rocsparse_index_base_b.has_indirect_call, 0
	.section	.AMDGPU.csdata,"",@progbits
; Kernel info:
; codeLenInByte = 868
; TotalNumSgprs: 23
; NumVgprs: 26
; ScratchSize: 0
; MemoryBound: 1
; FloatMode: 240
; IeeeMode: 1
; LDSByteSize: 0 bytes/workgroup (compile time only)
; SGPRBlocks: 0
; VGPRBlocks: 1
; NumSGPRsForWavesPerEU: 23
; NumVGPRsForWavesPerEU: 26
; NamedBarCnt: 0
; Occupancy: 16
; WaveLimiterHint : 1
; COMPUTE_PGM_RSRC2:SCRATCH_EN: 0
; COMPUTE_PGM_RSRC2:USER_SGPR: 2
; COMPUTE_PGM_RSRC2:TRAP_HANDLER: 0
; COMPUTE_PGM_RSRC2:TGID_X_EN: 1
; COMPUTE_PGM_RSRC2:TGID_Y_EN: 0
; COMPUTE_PGM_RSRC2:TGID_Z_EN: 0
; COMPUTE_PGM_RSRC2:TIDIG_COMP_CNT: 0
	.section	.text._ZN9rocsparseL21csrmvn_general_kernelILj256ELj32EliddddEEvbT2_NS_24const_host_device_scalarIT6_EEPKT1_S7_PKS1_PKT3_PKT4_S4_PT5_21rocsparse_index_base_b,"axG",@progbits,_ZN9rocsparseL21csrmvn_general_kernelILj256ELj32EliddddEEvbT2_NS_24const_host_device_scalarIT6_EEPKT1_S7_PKS1_PKT3_PKT4_S4_PT5_21rocsparse_index_base_b,comdat
	.globl	_ZN9rocsparseL21csrmvn_general_kernelILj256ELj32EliddddEEvbT2_NS_24const_host_device_scalarIT6_EEPKT1_S7_PKS1_PKT3_PKT4_S4_PT5_21rocsparse_index_base_b ; -- Begin function _ZN9rocsparseL21csrmvn_general_kernelILj256ELj32EliddddEEvbT2_NS_24const_host_device_scalarIT6_EEPKT1_S7_PKS1_PKT3_PKT4_S4_PT5_21rocsparse_index_base_b
	.p2align	8
	.type	_ZN9rocsparseL21csrmvn_general_kernelILj256ELj32EliddddEEvbT2_NS_24const_host_device_scalarIT6_EEPKT1_S7_PKS1_PKT3_PKT4_S4_PT5_21rocsparse_index_base_b,@function
_ZN9rocsparseL21csrmvn_general_kernelILj256ELj32EliddddEEvbT2_NS_24const_host_device_scalarIT6_EEPKT1_S7_PKS1_PKT3_PKT4_S4_PT5_21rocsparse_index_base_b: ; @_ZN9rocsparseL21csrmvn_general_kernelILj256ELj32EliddddEEvbT2_NS_24const_host_device_scalarIT6_EEPKT1_S7_PKS1_PKT3_PKT4_S4_PT5_21rocsparse_index_base_b
; %bb.0:
	s_clause 0x2
	s_load_b64 s[16:17], s[0:1], 0x48
	s_load_b128 s[12:15], s[0:1], 0x8
	s_load_b64 s[2:3], s[0:1], 0x38
	s_wait_kmcnt 0x0
	s_bitcmp1_b32 s17, 0
	v_mov_b64_e32 v[2:3], s[12:13]
	s_cselect_b32 s4, -1, 0
	s_delay_alu instid0(SALU_CYCLE_1)
	s_and_b32 vcc_lo, exec_lo, s4
	s_xor_b32 s4, s4, -1
	s_cbranch_vccnz .LBB48_2
; %bb.1:
	v_mov_b32_e32 v1, 0
	flat_load_b64 v[2:3], v1, s[12:13]
.LBB48_2:
	v_mov_b64_e32 v[4:5], s[2:3]
	s_and_not1_b32 vcc_lo, exec_lo, s4
	s_cbranch_vccnz .LBB48_4
; %bb.3:
	s_wait_xcnt 0x0
	v_mov_b32_e32 v1, 0
	flat_load_b64 v[4:5], v1, s[2:3]
.LBB48_4:
	s_wait_loadcnt_dscnt 0x0
	v_cmp_neq_f64_e32 vcc_lo, 0, v[2:3]
	s_delay_alu instid0(VALU_DEP_2) | instskip(SKIP_1) | instid1(SALU_CYCLE_1)
	v_cmp_neq_f64_e64 s2, 1.0, v[4:5]
	s_or_b32 s2, vcc_lo, s2
	s_and_saveexec_b32 s3, s2
	s_cbranch_execz .LBB48_16
; %bb.5:
	s_bfe_u32 s2, ttmp6, 0x4000c
	s_load_b32 s12, s[0:1], 0x4
	s_add_co_i32 s2, s2, 1
	s_and_b32 s3, ttmp6, 15
	s_mul_i32 s2, ttmp9, s2
	s_getreg_b32 s4, hwreg(HW_REG_IB_STS2, 6, 4)
	s_add_co_i32 s3, s3, s2
	s_cmp_eq_u32 s4, 0
	s_mov_b32 s17, 0
	s_cselect_b32 s2, ttmp9, s3
	s_delay_alu instid0(SALU_CYCLE_1) | instskip(NEXT) | instid1(VALU_DEP_1)
	v_lshl_or_b32 v1, s2, 8, v0
	v_lshrrev_b32_e32 v6, 5, v1
	s_wait_kmcnt 0x0
	s_delay_alu instid0(VALU_DEP_1)
	v_cmp_gt_i32_e32 vcc_lo, s12, v6
	s_and_b32 exec_lo, exec_lo, vcc_lo
	s_cbranch_execz .LBB48_16
; %bb.6:
	v_dual_mov_b32 v9, 0 :: v_dual_bitop2_b32 v8, 31, v0 bitop3:0x40
	v_mbcnt_lo_u32_b32 v7, -1, 0
	s_clause 0x2
	s_load_b256 s[4:11], s[0:1], 0x18
	s_load_b64 s[2:3], s[0:1], 0x40
	s_load_b32 s13, s[0:1], 0x50
	s_wait_xcnt 0x0
	s_ashr_i32 s1, s16, 31
	v_sub_nc_u64_e64 v[0:1], v[8:9], s[16:17]
	v_xor_b32_e32 v9, 8, v7
	v_xor_b32_e32 v10, 16, v7
	s_mov_b32 s0, s16
	v_cmp_neq_f64_e32 vcc_lo, 0, v[4:5]
	s_lshl_b64 s[18:19], s[0:1], 3
	s_delay_alu instid0(VALU_DEP_2) | instskip(NEXT) | instid1(VALU_DEP_1)
	v_cmp_gt_i32_e64 s0, 32, v10
	v_cndmask_b32_e64 v10, v7, v10, s0
	v_cmp_gt_i32_e64 s0, 32, v9
	s_delay_alu instid0(VALU_DEP_2) | instskip(SKIP_1) | instid1(VALU_DEP_3)
	v_dual_lshlrev_b32 v18, 2, v10 :: v_dual_bitop2_b32 v13, 1, v7 bitop3:0x14
	v_xor_b32_e32 v12, 2, v7
	v_dual_cndmask_b32 v9, v7, v9, s0 :: v_dual_bitop2_b32 v11, 4, v7 bitop3:0x14
	s_wait_kmcnt 0x0
	s_lshl_b32 s13, s13, 3
	s_sub_nc_u64 s[10:11], s[10:11], s[18:19]
	s_mov_b32 s18, s17
	v_cmp_gt_i32_e64 s0, 32, v11
	s_delay_alu instid0(VALU_DEP_1) | instskip(SKIP_1) | instid1(VALU_DEP_1)
	v_dual_lshlrev_b32 v19, 2, v9 :: v_dual_cndmask_b32 v11, v7, v11, s0
	v_cmp_gt_i32_e64 s0, 32, v12
	v_cndmask_b32_e64 v12, v7, v12, s0
	v_cmp_gt_i32_e64 s0, 32, v13
	s_delay_alu instid0(VALU_DEP_2) | instskip(NEXT) | instid1(VALU_DEP_2)
	v_dual_lshlrev_b32 v20, 2, v11 :: v_dual_lshlrev_b32 v21, 2, v12
	v_cndmask_b32_e64 v7, v7, v13, s0
	v_cmp_eq_u32_e64 s0, 31, v8
	s_delay_alu instid0(VALU_DEP_2)
	v_lshlrev_b32_e32 v22, 2, v7
	s_branch .LBB48_9
.LBB48_7:                               ;   in Loop: Header=BB48_9 Depth=1
	s_wait_xcnt 0x0
	s_or_b32 exec_lo, exec_lo, s19
	global_store_b64 v[10:11], v[8:9], off
.LBB48_8:                               ;   in Loop: Header=BB48_9 Depth=1
	s_wait_xcnt 0x0
	s_or_b32 exec_lo, exec_lo, s1
	v_add_nc_u32_e32 v6, s13, v6
	s_delay_alu instid0(VALU_DEP_1) | instskip(SKIP_1) | instid1(SALU_CYCLE_1)
	v_cmp_le_i32_e64 s1, s12, v6
	s_or_b32 s18, s1, s18
	s_and_not1_b32 exec_lo, exec_lo, s18
	s_cbranch_execz .LBB48_16
.LBB48_9:                               ; =>This Loop Header: Depth=1
                                        ;     Child Loop BB48_11 Depth 2
	s_clause 0x1
	global_load_b64 v[8:9], v6, s[4:5] scale_offset
	global_load_b64 v[12:13], v6, s[14:15] scale_offset
	s_mov_b32 s19, exec_lo
	s_wait_loadcnt_dscnt 0x100
	v_sub_nc_u64_e64 v[10:11], v[8:9], s[16:17]
	s_wait_loadcnt 0x0
	v_add_nc_u64_e32 v[12:13], v[12:13], v[0:1]
	v_mov_b64_e32 v[8:9], 0
	s_wait_xcnt 0x0
	s_delay_alu instid0(VALU_DEP_2)
	v_cmpx_lt_i64_e64 v[12:13], v[10:11]
	s_cbranch_execz .LBB48_13
; %bb.10:                               ;   in Loop: Header=BB48_9 Depth=1
	v_mov_b64_e32 v[8:9], 0
	v_lshl_add_u64 v[14:15], v[12:13], 3, s[8:9]
	v_lshl_add_u64 v[16:17], v[12:13], 2, s[6:7]
	s_mov_b32 s20, 0
.LBB48_11:                              ;   Parent Loop BB48_9 Depth=1
                                        ; =>  This Inner Loop Header: Depth=2
	global_load_b32 v7, v[16:17], off
	global_load_b64 v[24:25], v[14:15], off
	v_add_nc_u64_e32 v[12:13], 32, v[12:13]
	s_wait_xcnt 0x0
	v_add_nc_u64_e32 v[14:15], 0x100, v[14:15]
	v_add_nc_u64_e32 v[16:17], 0x80, v[16:17]
	s_delay_alu instid0(VALU_DEP_3)
	v_cmp_ge_i64_e64 s1, v[12:13], v[10:11]
	s_or_b32 s20, s1, s20
	s_wait_loadcnt 0x1
	global_load_b64 v[26:27], v7, s[10:11] scale_offset
	s_wait_loadcnt 0x1
	v_mul_f64_e32 v[24:25], v[2:3], v[24:25]
	s_wait_loadcnt 0x0
	s_delay_alu instid0(VALU_DEP_1)
	v_fmac_f64_e32 v[8:9], v[24:25], v[26:27]
	s_wait_xcnt 0x0
	s_and_not1_b32 exec_lo, exec_lo, s20
	s_cbranch_execnz .LBB48_11
; %bb.12:                               ;   in Loop: Header=BB48_9 Depth=1
	s_or_b32 exec_lo, exec_lo, s20
.LBB48_13:                              ;   in Loop: Header=BB48_9 Depth=1
	s_delay_alu instid0(SALU_CYCLE_1)
	s_or_b32 exec_lo, exec_lo, s19
	ds_bpermute_b32 v10, v18, v8
	ds_bpermute_b32 v11, v18, v9
	v_ashrrev_i32_e32 v7, 31, v6
	s_wait_dscnt 0x0
	v_add_f64_e32 v[8:9], v[8:9], v[10:11]
	ds_bpermute_b32 v10, v19, v8
	ds_bpermute_b32 v11, v19, v9
	s_wait_dscnt 0x0
	v_add_f64_e32 v[8:9], v[8:9], v[10:11]
	ds_bpermute_b32 v10, v20, v8
	ds_bpermute_b32 v11, v20, v9
	;; [unrolled: 4-line block ×4, first 2 shown]
	s_and_saveexec_b32 s1, s0
	s_cbranch_execz .LBB48_8
; %bb.14:                               ;   in Loop: Header=BB48_9 Depth=1
	s_wait_dscnt 0x0
	v_add_f64_e32 v[8:9], v[8:9], v[10:11]
	v_lshl_add_u64 v[10:11], v[6:7], 3, s[2:3]
	s_and_saveexec_b32 s19, vcc_lo
	s_cbranch_execz .LBB48_7
; %bb.15:                               ;   in Loop: Header=BB48_9 Depth=1
	global_load_b64 v[12:13], v[10:11], off
	s_wait_loadcnt 0x0
	v_fmac_f64_e32 v[8:9], v[4:5], v[12:13]
	s_branch .LBB48_7
.LBB48_16:
	s_endpgm
	.section	.rodata,"a",@progbits
	.p2align	6, 0x0
	.amdhsa_kernel _ZN9rocsparseL21csrmvn_general_kernelILj256ELj32EliddddEEvbT2_NS_24const_host_device_scalarIT6_EEPKT1_S7_PKS1_PKT3_PKT4_S4_PT5_21rocsparse_index_base_b
		.amdhsa_group_segment_fixed_size 0
		.amdhsa_private_segment_fixed_size 0
		.amdhsa_kernarg_size 336
		.amdhsa_user_sgpr_count 2
		.amdhsa_user_sgpr_dispatch_ptr 0
		.amdhsa_user_sgpr_queue_ptr 0
		.amdhsa_user_sgpr_kernarg_segment_ptr 1
		.amdhsa_user_sgpr_dispatch_id 0
		.amdhsa_user_sgpr_kernarg_preload_length 0
		.amdhsa_user_sgpr_kernarg_preload_offset 0
		.amdhsa_user_sgpr_private_segment_size 0
		.amdhsa_wavefront_size32 1
		.amdhsa_uses_dynamic_stack 0
		.amdhsa_enable_private_segment 0
		.amdhsa_system_sgpr_workgroup_id_x 1
		.amdhsa_system_sgpr_workgroup_id_y 0
		.amdhsa_system_sgpr_workgroup_id_z 0
		.amdhsa_system_sgpr_workgroup_info 0
		.amdhsa_system_vgpr_workitem_id 0
		.amdhsa_next_free_vgpr 28
		.amdhsa_next_free_sgpr 21
		.amdhsa_named_barrier_count 0
		.amdhsa_reserve_vcc 1
		.amdhsa_float_round_mode_32 0
		.amdhsa_float_round_mode_16_64 0
		.amdhsa_float_denorm_mode_32 3
		.amdhsa_float_denorm_mode_16_64 3
		.amdhsa_fp16_overflow 0
		.amdhsa_memory_ordered 1
		.amdhsa_forward_progress 1
		.amdhsa_inst_pref_size 8
		.amdhsa_round_robin_scheduling 0
		.amdhsa_exception_fp_ieee_invalid_op 0
		.amdhsa_exception_fp_denorm_src 0
		.amdhsa_exception_fp_ieee_div_zero 0
		.amdhsa_exception_fp_ieee_overflow 0
		.amdhsa_exception_fp_ieee_underflow 0
		.amdhsa_exception_fp_ieee_inexact 0
		.amdhsa_exception_int_div_zero 0
	.end_amdhsa_kernel
	.section	.text._ZN9rocsparseL21csrmvn_general_kernelILj256ELj32EliddddEEvbT2_NS_24const_host_device_scalarIT6_EEPKT1_S7_PKS1_PKT3_PKT4_S4_PT5_21rocsparse_index_base_b,"axG",@progbits,_ZN9rocsparseL21csrmvn_general_kernelILj256ELj32EliddddEEvbT2_NS_24const_host_device_scalarIT6_EEPKT1_S7_PKS1_PKT3_PKT4_S4_PT5_21rocsparse_index_base_b,comdat
.Lfunc_end48:
	.size	_ZN9rocsparseL21csrmvn_general_kernelILj256ELj32EliddddEEvbT2_NS_24const_host_device_scalarIT6_EEPKT1_S7_PKS1_PKT3_PKT4_S4_PT5_21rocsparse_index_base_b, .Lfunc_end48-_ZN9rocsparseL21csrmvn_general_kernelILj256ELj32EliddddEEvbT2_NS_24const_host_device_scalarIT6_EEPKT1_S7_PKS1_PKT3_PKT4_S4_PT5_21rocsparse_index_base_b
                                        ; -- End function
	.set _ZN9rocsparseL21csrmvn_general_kernelILj256ELj32EliddddEEvbT2_NS_24const_host_device_scalarIT6_EEPKT1_S7_PKS1_PKT3_PKT4_S4_PT5_21rocsparse_index_base_b.num_vgpr, 28
	.set _ZN9rocsparseL21csrmvn_general_kernelILj256ELj32EliddddEEvbT2_NS_24const_host_device_scalarIT6_EEPKT1_S7_PKS1_PKT3_PKT4_S4_PT5_21rocsparse_index_base_b.num_agpr, 0
	.set _ZN9rocsparseL21csrmvn_general_kernelILj256ELj32EliddddEEvbT2_NS_24const_host_device_scalarIT6_EEPKT1_S7_PKS1_PKT3_PKT4_S4_PT5_21rocsparse_index_base_b.numbered_sgpr, 21
	.set _ZN9rocsparseL21csrmvn_general_kernelILj256ELj32EliddddEEvbT2_NS_24const_host_device_scalarIT6_EEPKT1_S7_PKS1_PKT3_PKT4_S4_PT5_21rocsparse_index_base_b.num_named_barrier, 0
	.set _ZN9rocsparseL21csrmvn_general_kernelILj256ELj32EliddddEEvbT2_NS_24const_host_device_scalarIT6_EEPKT1_S7_PKS1_PKT3_PKT4_S4_PT5_21rocsparse_index_base_b.private_seg_size, 0
	.set _ZN9rocsparseL21csrmvn_general_kernelILj256ELj32EliddddEEvbT2_NS_24const_host_device_scalarIT6_EEPKT1_S7_PKS1_PKT3_PKT4_S4_PT5_21rocsparse_index_base_b.uses_vcc, 1
	.set _ZN9rocsparseL21csrmvn_general_kernelILj256ELj32EliddddEEvbT2_NS_24const_host_device_scalarIT6_EEPKT1_S7_PKS1_PKT3_PKT4_S4_PT5_21rocsparse_index_base_b.uses_flat_scratch, 0
	.set _ZN9rocsparseL21csrmvn_general_kernelILj256ELj32EliddddEEvbT2_NS_24const_host_device_scalarIT6_EEPKT1_S7_PKS1_PKT3_PKT4_S4_PT5_21rocsparse_index_base_b.has_dyn_sized_stack, 0
	.set _ZN9rocsparseL21csrmvn_general_kernelILj256ELj32EliddddEEvbT2_NS_24const_host_device_scalarIT6_EEPKT1_S7_PKS1_PKT3_PKT4_S4_PT5_21rocsparse_index_base_b.has_recursion, 0
	.set _ZN9rocsparseL21csrmvn_general_kernelILj256ELj32EliddddEEvbT2_NS_24const_host_device_scalarIT6_EEPKT1_S7_PKS1_PKT3_PKT4_S4_PT5_21rocsparse_index_base_b.has_indirect_call, 0
	.section	.AMDGPU.csdata,"",@progbits
; Kernel info:
; codeLenInByte = 932
; TotalNumSgprs: 23
; NumVgprs: 28
; ScratchSize: 0
; MemoryBound: 1
; FloatMode: 240
; IeeeMode: 1
; LDSByteSize: 0 bytes/workgroup (compile time only)
; SGPRBlocks: 0
; VGPRBlocks: 1
; NumSGPRsForWavesPerEU: 23
; NumVGPRsForWavesPerEU: 28
; NamedBarCnt: 0
; Occupancy: 16
; WaveLimiterHint : 1
; COMPUTE_PGM_RSRC2:SCRATCH_EN: 0
; COMPUTE_PGM_RSRC2:USER_SGPR: 2
; COMPUTE_PGM_RSRC2:TRAP_HANDLER: 0
; COMPUTE_PGM_RSRC2:TGID_X_EN: 1
; COMPUTE_PGM_RSRC2:TGID_Y_EN: 0
; COMPUTE_PGM_RSRC2:TGID_Z_EN: 0
; COMPUTE_PGM_RSRC2:TIDIG_COMP_CNT: 0
	.section	.text._ZN9rocsparseL21csrmvn_general_kernelILj256ELj64EliddddEEvbT2_NS_24const_host_device_scalarIT6_EEPKT1_S7_PKS1_PKT3_PKT4_S4_PT5_21rocsparse_index_base_b,"axG",@progbits,_ZN9rocsparseL21csrmvn_general_kernelILj256ELj64EliddddEEvbT2_NS_24const_host_device_scalarIT6_EEPKT1_S7_PKS1_PKT3_PKT4_S4_PT5_21rocsparse_index_base_b,comdat
	.globl	_ZN9rocsparseL21csrmvn_general_kernelILj256ELj64EliddddEEvbT2_NS_24const_host_device_scalarIT6_EEPKT1_S7_PKS1_PKT3_PKT4_S4_PT5_21rocsparse_index_base_b ; -- Begin function _ZN9rocsparseL21csrmvn_general_kernelILj256ELj64EliddddEEvbT2_NS_24const_host_device_scalarIT6_EEPKT1_S7_PKS1_PKT3_PKT4_S4_PT5_21rocsparse_index_base_b
	.p2align	8
	.type	_ZN9rocsparseL21csrmvn_general_kernelILj256ELj64EliddddEEvbT2_NS_24const_host_device_scalarIT6_EEPKT1_S7_PKS1_PKT3_PKT4_S4_PT5_21rocsparse_index_base_b,@function
_ZN9rocsparseL21csrmvn_general_kernelILj256ELj64EliddddEEvbT2_NS_24const_host_device_scalarIT6_EEPKT1_S7_PKS1_PKT3_PKT4_S4_PT5_21rocsparse_index_base_b: ; @_ZN9rocsparseL21csrmvn_general_kernelILj256ELj64EliddddEEvbT2_NS_24const_host_device_scalarIT6_EEPKT1_S7_PKS1_PKT3_PKT4_S4_PT5_21rocsparse_index_base_b
; %bb.0:
	s_clause 0x2
	s_load_b64 s[16:17], s[0:1], 0x48
	s_load_b128 s[12:15], s[0:1], 0x8
	s_load_b64 s[2:3], s[0:1], 0x38
	s_wait_kmcnt 0x0
	s_bitcmp1_b32 s17, 0
	v_mov_b64_e32 v[2:3], s[12:13]
	s_cselect_b32 s4, -1, 0
	s_delay_alu instid0(SALU_CYCLE_1)
	s_and_b32 vcc_lo, exec_lo, s4
	s_xor_b32 s4, s4, -1
	s_cbranch_vccnz .LBB49_2
; %bb.1:
	v_mov_b32_e32 v1, 0
	flat_load_b64 v[2:3], v1, s[12:13]
.LBB49_2:
	v_mov_b64_e32 v[4:5], s[2:3]
	s_and_not1_b32 vcc_lo, exec_lo, s4
	s_cbranch_vccnz .LBB49_4
; %bb.3:
	s_wait_xcnt 0x0
	v_mov_b32_e32 v1, 0
	flat_load_b64 v[4:5], v1, s[2:3]
.LBB49_4:
	s_wait_loadcnt_dscnt 0x0
	v_cmp_neq_f64_e32 vcc_lo, 0, v[2:3]
	s_delay_alu instid0(VALU_DEP_2) | instskip(SKIP_1) | instid1(SALU_CYCLE_1)
	v_cmp_neq_f64_e64 s2, 1.0, v[4:5]
	s_or_b32 s2, vcc_lo, s2
	s_and_saveexec_b32 s3, s2
	s_cbranch_execz .LBB49_16
; %bb.5:
	s_bfe_u32 s2, ttmp6, 0x4000c
	s_load_b32 s12, s[0:1], 0x4
	s_add_co_i32 s2, s2, 1
	s_and_b32 s3, ttmp6, 15
	s_mul_i32 s2, ttmp9, s2
	s_getreg_b32 s4, hwreg(HW_REG_IB_STS2, 6, 4)
	s_add_co_i32 s3, s3, s2
	s_cmp_eq_u32 s4, 0
	s_mov_b32 s17, 0
	s_cselect_b32 s2, ttmp9, s3
	s_delay_alu instid0(SALU_CYCLE_1) | instskip(NEXT) | instid1(VALU_DEP_1)
	v_lshl_or_b32 v1, s2, 8, v0
	v_lshrrev_b32_e32 v6, 6, v1
	s_wait_kmcnt 0x0
	s_delay_alu instid0(VALU_DEP_1)
	v_cmp_gt_i32_e32 vcc_lo, s12, v6
	s_and_b32 exec_lo, exec_lo, vcc_lo
	s_cbranch_execz .LBB49_16
; %bb.6:
	v_mbcnt_lo_u32_b32 v7, -1, 0
	s_clause 0x2
	s_load_b256 s[4:11], s[0:1], 0x18
	s_load_b64 s[2:3], s[0:1], 0x40
	s_load_b32 s13, s[0:1], 0x50
	s_wait_xcnt 0x0
	s_ashr_i32 s1, s16, 31
	v_cmp_neq_f64_e32 vcc_lo, 0, v[4:5]
	v_dual_mov_b32 v9, 0 :: v_dual_bitop2_b32 v1, 32, v7 bitop3:0x54
	v_xor_b32_e32 v12, 2, v7
	s_delay_alu instid0(VALU_DEP_2) | instskip(NEXT) | instid1(VALU_DEP_1)
	v_cmp_gt_i32_e64 s0, 32, v1
	v_dual_cndmask_b32 v10, v7, v1, s0 :: v_dual_bitop2_b32 v8, 63, v0 bitop3:0x40
	v_xor_b32_e32 v11, 16, v7
	s_mov_b32 s0, s16
	s_delay_alu instid0(VALU_DEP_2)
	v_sub_nc_u64_e64 v[0:1], v[8:9], s[16:17]
	s_lshl_b64 s[18:19], s[0:1], 3
	v_dual_lshlrev_b32 v18, 2, v10 :: v_dual_bitop2_b32 v9, 8, v7 bitop3:0x14
	v_cmp_gt_i32_e64 s0, 32, v11
	s_wait_kmcnt 0x0
	s_lshl_b32 s13, s13, 2
	s_sub_nc_u64 s[10:11], s[10:11], s[18:19]
	s_mov_b32 s18, s17
	v_cndmask_b32_e64 v10, v7, v11, s0
	v_cmp_gt_i32_e64 s0, 32, v9
	s_delay_alu instid0(VALU_DEP_1) | instskip(NEXT) | instid1(VALU_DEP_1)
	v_dual_cndmask_b32 v9, v7, v9, s0 :: v_dual_bitop2_b32 v13, 1, v7 bitop3:0x14
	v_dual_lshlrev_b32 v19, 2, v10 :: v_dual_lshlrev_b32 v20, 2, v9
	v_xor_b32_e32 v11, 4, v7
	s_delay_alu instid0(VALU_DEP_1) | instskip(NEXT) | instid1(VALU_DEP_1)
	v_cmp_gt_i32_e64 s0, 32, v11
	v_cndmask_b32_e64 v11, v7, v11, s0
	v_cmp_gt_i32_e64 s0, 32, v12
	s_delay_alu instid0(VALU_DEP_1) | instskip(SKIP_1) | instid1(VALU_DEP_1)
	v_cndmask_b32_e64 v12, v7, v12, s0
	v_cmp_gt_i32_e64 s0, 32, v13
	v_dual_lshlrev_b32 v22, 2, v12 :: v_dual_cndmask_b32 v7, v7, v13, s0
	v_lshlrev_b32_e32 v21, 2, v11
	v_cmp_eq_u32_e64 s0, 63, v8
	s_delay_alu instid0(VALU_DEP_3)
	v_lshlrev_b32_e32 v23, 2, v7
	s_branch .LBB49_9
.LBB49_7:                               ;   in Loop: Header=BB49_9 Depth=1
	s_wait_xcnt 0x0
	s_or_b32 exec_lo, exec_lo, s19
	global_store_b64 v[10:11], v[8:9], off
.LBB49_8:                               ;   in Loop: Header=BB49_9 Depth=1
	s_wait_xcnt 0x0
	s_or_b32 exec_lo, exec_lo, s1
	v_add_nc_u32_e32 v6, s13, v6
	s_delay_alu instid0(VALU_DEP_1) | instskip(SKIP_1) | instid1(SALU_CYCLE_1)
	v_cmp_le_i32_e64 s1, s12, v6
	s_or_b32 s18, s1, s18
	s_and_not1_b32 exec_lo, exec_lo, s18
	s_cbranch_execz .LBB49_16
.LBB49_9:                               ; =>This Loop Header: Depth=1
                                        ;     Child Loop BB49_11 Depth 2
	s_clause 0x1
	global_load_b64 v[8:9], v6, s[4:5] scale_offset
	global_load_b64 v[12:13], v6, s[14:15] scale_offset
	s_mov_b32 s19, exec_lo
	s_wait_loadcnt_dscnt 0x100
	v_sub_nc_u64_e64 v[10:11], v[8:9], s[16:17]
	s_wait_loadcnt 0x0
	v_add_nc_u64_e32 v[12:13], v[12:13], v[0:1]
	v_mov_b64_e32 v[8:9], 0
	s_wait_xcnt 0x0
	s_delay_alu instid0(VALU_DEP_2)
	v_cmpx_lt_i64_e64 v[12:13], v[10:11]
	s_cbranch_execz .LBB49_13
; %bb.10:                               ;   in Loop: Header=BB49_9 Depth=1
	v_mov_b64_e32 v[8:9], 0
	v_lshl_add_u64 v[14:15], v[12:13], 3, s[8:9]
	v_lshl_add_u64 v[16:17], v[12:13], 2, s[6:7]
	s_mov_b32 s20, 0
.LBB49_11:                              ;   Parent Loop BB49_9 Depth=1
                                        ; =>  This Inner Loop Header: Depth=2
	global_load_b32 v7, v[16:17], off
	global_load_b64 v[24:25], v[14:15], off
	v_add_nc_u64_e32 v[12:13], 64, v[12:13]
	s_wait_xcnt 0x0
	v_add_nc_u64_e32 v[14:15], 0x200, v[14:15]
	v_add_nc_u64_e32 v[16:17], 0x100, v[16:17]
	s_delay_alu instid0(VALU_DEP_3)
	v_cmp_ge_i64_e64 s1, v[12:13], v[10:11]
	s_or_b32 s20, s1, s20
	s_wait_loadcnt 0x1
	global_load_b64 v[26:27], v7, s[10:11] scale_offset
	s_wait_loadcnt 0x1
	v_mul_f64_e32 v[24:25], v[2:3], v[24:25]
	s_wait_loadcnt 0x0
	s_delay_alu instid0(VALU_DEP_1)
	v_fmac_f64_e32 v[8:9], v[24:25], v[26:27]
	s_wait_xcnt 0x0
	s_and_not1_b32 exec_lo, exec_lo, s20
	s_cbranch_execnz .LBB49_11
; %bb.12:                               ;   in Loop: Header=BB49_9 Depth=1
	s_or_b32 exec_lo, exec_lo, s20
.LBB49_13:                              ;   in Loop: Header=BB49_9 Depth=1
	s_delay_alu instid0(SALU_CYCLE_1)
	s_or_b32 exec_lo, exec_lo, s19
	ds_bpermute_b32 v10, v18, v8
	ds_bpermute_b32 v11, v18, v9
	v_ashrrev_i32_e32 v7, 31, v6
	s_wait_dscnt 0x0
	v_add_f64_e32 v[8:9], v[8:9], v[10:11]
	ds_bpermute_b32 v10, v19, v8
	ds_bpermute_b32 v11, v19, v9
	s_wait_dscnt 0x0
	v_add_f64_e32 v[8:9], v[8:9], v[10:11]
	ds_bpermute_b32 v10, v20, v8
	ds_bpermute_b32 v11, v20, v9
	;; [unrolled: 4-line block ×5, first 2 shown]
	s_and_saveexec_b32 s1, s0
	s_cbranch_execz .LBB49_8
; %bb.14:                               ;   in Loop: Header=BB49_9 Depth=1
	s_wait_dscnt 0x0
	v_add_f64_e32 v[8:9], v[8:9], v[10:11]
	v_lshl_add_u64 v[10:11], v[6:7], 3, s[2:3]
	s_and_saveexec_b32 s19, vcc_lo
	s_cbranch_execz .LBB49_7
; %bb.15:                               ;   in Loop: Header=BB49_9 Depth=1
	global_load_b64 v[12:13], v[10:11], off
	s_wait_loadcnt 0x0
	v_fmac_f64_e32 v[8:9], v[4:5], v[12:13]
	s_branch .LBB49_7
.LBB49_16:
	s_endpgm
	.section	.rodata,"a",@progbits
	.p2align	6, 0x0
	.amdhsa_kernel _ZN9rocsparseL21csrmvn_general_kernelILj256ELj64EliddddEEvbT2_NS_24const_host_device_scalarIT6_EEPKT1_S7_PKS1_PKT3_PKT4_S4_PT5_21rocsparse_index_base_b
		.amdhsa_group_segment_fixed_size 0
		.amdhsa_private_segment_fixed_size 0
		.amdhsa_kernarg_size 336
		.amdhsa_user_sgpr_count 2
		.amdhsa_user_sgpr_dispatch_ptr 0
		.amdhsa_user_sgpr_queue_ptr 0
		.amdhsa_user_sgpr_kernarg_segment_ptr 1
		.amdhsa_user_sgpr_dispatch_id 0
		.amdhsa_user_sgpr_kernarg_preload_length 0
		.amdhsa_user_sgpr_kernarg_preload_offset 0
		.amdhsa_user_sgpr_private_segment_size 0
		.amdhsa_wavefront_size32 1
		.amdhsa_uses_dynamic_stack 0
		.amdhsa_enable_private_segment 0
		.amdhsa_system_sgpr_workgroup_id_x 1
		.amdhsa_system_sgpr_workgroup_id_y 0
		.amdhsa_system_sgpr_workgroup_id_z 0
		.amdhsa_system_sgpr_workgroup_info 0
		.amdhsa_system_vgpr_workitem_id 0
		.amdhsa_next_free_vgpr 28
		.amdhsa_next_free_sgpr 21
		.amdhsa_named_barrier_count 0
		.amdhsa_reserve_vcc 1
		.amdhsa_float_round_mode_32 0
		.amdhsa_float_round_mode_16_64 0
		.amdhsa_float_denorm_mode_32 3
		.amdhsa_float_denorm_mode_16_64 3
		.amdhsa_fp16_overflow 0
		.amdhsa_memory_ordered 1
		.amdhsa_forward_progress 1
		.amdhsa_inst_pref_size 8
		.amdhsa_round_robin_scheduling 0
		.amdhsa_exception_fp_ieee_invalid_op 0
		.amdhsa_exception_fp_denorm_src 0
		.amdhsa_exception_fp_ieee_div_zero 0
		.amdhsa_exception_fp_ieee_overflow 0
		.amdhsa_exception_fp_ieee_underflow 0
		.amdhsa_exception_fp_ieee_inexact 0
		.amdhsa_exception_int_div_zero 0
	.end_amdhsa_kernel
	.section	.text._ZN9rocsparseL21csrmvn_general_kernelILj256ELj64EliddddEEvbT2_NS_24const_host_device_scalarIT6_EEPKT1_S7_PKS1_PKT3_PKT4_S4_PT5_21rocsparse_index_base_b,"axG",@progbits,_ZN9rocsparseL21csrmvn_general_kernelILj256ELj64EliddddEEvbT2_NS_24const_host_device_scalarIT6_EEPKT1_S7_PKS1_PKT3_PKT4_S4_PT5_21rocsparse_index_base_b,comdat
.Lfunc_end49:
	.size	_ZN9rocsparseL21csrmvn_general_kernelILj256ELj64EliddddEEvbT2_NS_24const_host_device_scalarIT6_EEPKT1_S7_PKS1_PKT3_PKT4_S4_PT5_21rocsparse_index_base_b, .Lfunc_end49-_ZN9rocsparseL21csrmvn_general_kernelILj256ELj64EliddddEEvbT2_NS_24const_host_device_scalarIT6_EEPKT1_S7_PKS1_PKT3_PKT4_S4_PT5_21rocsparse_index_base_b
                                        ; -- End function
	.set _ZN9rocsparseL21csrmvn_general_kernelILj256ELj64EliddddEEvbT2_NS_24const_host_device_scalarIT6_EEPKT1_S7_PKS1_PKT3_PKT4_S4_PT5_21rocsparse_index_base_b.num_vgpr, 28
	.set _ZN9rocsparseL21csrmvn_general_kernelILj256ELj64EliddddEEvbT2_NS_24const_host_device_scalarIT6_EEPKT1_S7_PKS1_PKT3_PKT4_S4_PT5_21rocsparse_index_base_b.num_agpr, 0
	.set _ZN9rocsparseL21csrmvn_general_kernelILj256ELj64EliddddEEvbT2_NS_24const_host_device_scalarIT6_EEPKT1_S7_PKS1_PKT3_PKT4_S4_PT5_21rocsparse_index_base_b.numbered_sgpr, 21
	.set _ZN9rocsparseL21csrmvn_general_kernelILj256ELj64EliddddEEvbT2_NS_24const_host_device_scalarIT6_EEPKT1_S7_PKS1_PKT3_PKT4_S4_PT5_21rocsparse_index_base_b.num_named_barrier, 0
	.set _ZN9rocsparseL21csrmvn_general_kernelILj256ELj64EliddddEEvbT2_NS_24const_host_device_scalarIT6_EEPKT1_S7_PKS1_PKT3_PKT4_S4_PT5_21rocsparse_index_base_b.private_seg_size, 0
	.set _ZN9rocsparseL21csrmvn_general_kernelILj256ELj64EliddddEEvbT2_NS_24const_host_device_scalarIT6_EEPKT1_S7_PKS1_PKT3_PKT4_S4_PT5_21rocsparse_index_base_b.uses_vcc, 1
	.set _ZN9rocsparseL21csrmvn_general_kernelILj256ELj64EliddddEEvbT2_NS_24const_host_device_scalarIT6_EEPKT1_S7_PKS1_PKT3_PKT4_S4_PT5_21rocsparse_index_base_b.uses_flat_scratch, 0
	.set _ZN9rocsparseL21csrmvn_general_kernelILj256ELj64EliddddEEvbT2_NS_24const_host_device_scalarIT6_EEPKT1_S7_PKS1_PKT3_PKT4_S4_PT5_21rocsparse_index_base_b.has_dyn_sized_stack, 0
	.set _ZN9rocsparseL21csrmvn_general_kernelILj256ELj64EliddddEEvbT2_NS_24const_host_device_scalarIT6_EEPKT1_S7_PKS1_PKT3_PKT4_S4_PT5_21rocsparse_index_base_b.has_recursion, 0
	.set _ZN9rocsparseL21csrmvn_general_kernelILj256ELj64EliddddEEvbT2_NS_24const_host_device_scalarIT6_EEPKT1_S7_PKS1_PKT3_PKT4_S4_PT5_21rocsparse_index_base_b.has_indirect_call, 0
	.section	.AMDGPU.csdata,"",@progbits
; Kernel info:
; codeLenInByte = 984
; TotalNumSgprs: 23
; NumVgprs: 28
; ScratchSize: 0
; MemoryBound: 1
; FloatMode: 240
; IeeeMode: 1
; LDSByteSize: 0 bytes/workgroup (compile time only)
; SGPRBlocks: 0
; VGPRBlocks: 1
; NumSGPRsForWavesPerEU: 23
; NumVGPRsForWavesPerEU: 28
; NamedBarCnt: 0
; Occupancy: 16
; WaveLimiterHint : 1
; COMPUTE_PGM_RSRC2:SCRATCH_EN: 0
; COMPUTE_PGM_RSRC2:USER_SGPR: 2
; COMPUTE_PGM_RSRC2:TRAP_HANDLER: 0
; COMPUTE_PGM_RSRC2:TGID_X_EN: 1
; COMPUTE_PGM_RSRC2:TGID_Y_EN: 0
; COMPUTE_PGM_RSRC2:TGID_Z_EN: 0
; COMPUTE_PGM_RSRC2:TIDIG_COMP_CNT: 0
	.section	.text._ZN9rocsparseL21csrmvt_general_kernelILj256ELj4EliddddEEvbbT2_NS_24const_host_device_scalarIT6_EEPKT1_S7_PKS1_PKT3_PKT4_PT5_21rocsparse_index_base_b,"axG",@progbits,_ZN9rocsparseL21csrmvt_general_kernelILj256ELj4EliddddEEvbbT2_NS_24const_host_device_scalarIT6_EEPKT1_S7_PKS1_PKT3_PKT4_PT5_21rocsparse_index_base_b,comdat
	.globl	_ZN9rocsparseL21csrmvt_general_kernelILj256ELj4EliddddEEvbbT2_NS_24const_host_device_scalarIT6_EEPKT1_S7_PKS1_PKT3_PKT4_PT5_21rocsparse_index_base_b ; -- Begin function _ZN9rocsparseL21csrmvt_general_kernelILj256ELj4EliddddEEvbbT2_NS_24const_host_device_scalarIT6_EEPKT1_S7_PKS1_PKT3_PKT4_PT5_21rocsparse_index_base_b
	.p2align	8
	.type	_ZN9rocsparseL21csrmvt_general_kernelILj256ELj4EliddddEEvbbT2_NS_24const_host_device_scalarIT6_EEPKT1_S7_PKS1_PKT3_PKT4_PT5_21rocsparse_index_base_b,@function
_ZN9rocsparseL21csrmvt_general_kernelILj256ELj4EliddddEEvbbT2_NS_24const_host_device_scalarIT6_EEPKT1_S7_PKS1_PKT3_PKT4_PT5_21rocsparse_index_base_b: ; @_ZN9rocsparseL21csrmvt_general_kernelILj256ELj4EliddddEEvbbT2_NS_24const_host_device_scalarIT6_EEPKT1_S7_PKS1_PKT3_PKT4_PT5_21rocsparse_index_base_b
; %bb.0:
	s_clause 0x1
	s_load_b64 s[2:3], s[0:1], 0x40
	s_load_b128 s[12:15], s[0:1], 0x8
	s_wait_kmcnt 0x0
	s_bitcmp1_b32 s3, 0
	v_mov_b64_e32 v[2:3], s[12:13]
	s_cselect_b32 s3, -1, 0
	s_delay_alu instid0(SALU_CYCLE_1)
	s_and_b32 vcc_lo, exec_lo, s3
	s_cbranch_vccnz .LBB50_2
; %bb.1:
	v_mov_b32_e32 v1, 0
	flat_load_b64 v[2:3], v1, s[12:13]
.LBB50_2:
	s_mov_b32 s3, exec_lo
	s_wait_loadcnt_dscnt 0x0
	s_delay_alu instid0(VALU_DEP_1)
	v_cmpx_neq_f64_e32 0, v[2:3]
	s_cbranch_execz .LBB50_20
; %bb.3:
	s_clause 0x3
	s_load_b64 s[12:13], s[0:1], 0x0
	s_load_b32 s3, s[0:1], 0x48
	s_load_b64 s[16:17], s[0:1], 0x38
	s_load_b256 s[4:11], s[0:1], 0x18
	s_wait_xcnt 0x0
	s_bfe_u32 s0, ttmp6, 0x4000c
	s_and_b32 s18, ttmp6, 15
	s_add_co_i32 s0, s0, 1
	s_getreg_b32 s19, hwreg(HW_REG_IB_STS2, 6, 4)
	s_mul_i32 s0, ttmp9, s0
	s_delay_alu instid0(SALU_CYCLE_1)
	s_add_co_i32 s18, s18, s0
	s_wait_kmcnt 0x0
	s_and_b32 s12, s12, 1
	s_lshl_b32 s1, s3, 6
	s_cmp_eq_u32 s19, 0
	s_mov_b32 s3, -1
	s_cselect_b32 s0, ttmp9, s18
	s_cmp_eq_u32 s12, 0
	v_lshl_or_b32 v1, s0, 8, v0
	s_delay_alu instid0(VALU_DEP_1) | instskip(NEXT) | instid1(VALU_DEP_1)
	v_dual_lshrrev_b32 v4, 2, v1 :: v_dual_bitop2_b32 v0, 3, v0 bitop3:0x40
	v_cmp_gt_i32_e64 s0, s13, v4
	s_cbranch_scc0 .LBB50_11
; %bb.4:
	s_and_saveexec_b32 s12, s0
	s_cbranch_execz .LBB50_10
; %bb.5:
	v_dual_mov_b32 v1, 0 :: v_dual_mov_b32 v8, v4
	s_mov_b32 s3, 0
	s_delay_alu instid0(SALU_CYCLE_1) | instskip(NEXT) | instid1(VALU_DEP_1)
	s_mov_b32 s18, s3
	v_sub_nc_u64_e64 v[6:7], v[0:1], s[2:3]
	s_branch .LBB50_7
.LBB50_6:                               ;   in Loop: Header=BB50_7 Depth=1
	s_or_b32 exec_lo, exec_lo, s19
	v_add_nc_u32_e32 v8, s1, v8
	s_delay_alu instid0(VALU_DEP_1) | instskip(SKIP_1) | instid1(SALU_CYCLE_1)
	v_cmp_le_i32_e32 vcc_lo, s13, v8
	s_or_b32 s18, vcc_lo, s18
	s_and_not1_b32 exec_lo, exec_lo, s18
	s_cbranch_execz .LBB50_10
.LBB50_7:                               ; =>This Loop Header: Depth=1
                                        ;     Child Loop BB50_9 Depth 2
	s_clause 0x1
	global_load_b64 v[10:11], v8, s[4:5] scale_offset
	global_load_b64 v[12:13], v8, s[14:15] scale_offset
	s_mov_b32 s19, exec_lo
	s_wait_loadcnt 0x1
	v_sub_nc_u64_e64 v[10:11], v[10:11], s[2:3]
	s_wait_loadcnt 0x0
	v_add_nc_u64_e32 v[12:13], v[12:13], v[6:7]
	s_wait_xcnt 0x0
	s_delay_alu instid0(VALU_DEP_1)
	v_cmpx_lt_i64_e64 v[12:13], v[10:11]
	s_cbranch_execz .LBB50_6
; %bb.8:                                ;   in Loop: Header=BB50_7 Depth=1
	v_ashrrev_i32_e32 v9, 31, v8
	v_lshl_add_u64 v[16:17], v[12:13], 2, s[6:7]
	v_lshl_add_u64 v[18:19], v[12:13], 3, s[8:9]
	s_mov_b32 s20, 0
	s_delay_alu instid0(VALU_DEP_3)
	v_lshl_add_u64 v[14:15], v[8:9], 3, s[10:11]
	global_load_b64 v[14:15], v[14:15], off
	s_wait_loadcnt 0x0
	s_wait_xcnt 0x0
	v_mul_f64_e32 v[14:15], v[2:3], v[14:15]
.LBB50_9:                               ;   Parent Loop BB50_7 Depth=1
                                        ; =>  This Inner Loop Header: Depth=2
	global_load_b64 v[20:21], v[18:19], off
	global_load_b32 v1, v[16:17], off
	v_add_nc_u64_e32 v[12:13], 4, v[12:13]
	s_wait_xcnt 0x0
	v_add_nc_u64_e32 v[16:17], 16, v[16:17]
	v_add_nc_u64_e32 v[18:19], 32, v[18:19]
	s_delay_alu instid0(VALU_DEP_3)
	v_cmp_ge_i64_e32 vcc_lo, v[12:13], v[10:11]
	s_or_b32 s20, vcc_lo, s20
	s_wait_loadcnt 0x1
	v_mul_f64_e32 v[20:21], v[14:15], v[20:21]
	s_wait_loadcnt 0x0
	v_subrev_nc_u32_e32 v1, s2, v1
	global_atomic_add_f64 v1, v[20:21], s[16:17] scale_offset scope:SCOPE_DEV
	s_wait_xcnt 0x0
	s_and_not1_b32 exec_lo, exec_lo, s20
	s_cbranch_execnz .LBB50_9
	s_branch .LBB50_6
.LBB50_10:
	s_or_b32 exec_lo, exec_lo, s12
	s_mov_b32 s3, 0
.LBB50_11:
	s_delay_alu instid0(SALU_CYCLE_1)
	s_and_not1_b32 vcc_lo, exec_lo, s3
	s_cbranch_vccnz .LBB50_20
; %bb.12:
	s_and_b32 exec_lo, exec_lo, s0
	s_cbranch_execz .LBB50_20
; %bb.13:
	v_mov_b32_e32 v1, 0
	s_mov_b32 s3, 0
	s_delay_alu instid0(SALU_CYCLE_1) | instskip(NEXT) | instid1(VALU_DEP_1)
	s_mov_b32 s0, s3
	v_sub_nc_u64_e64 v[0:1], v[0:1], s[2:3]
	s_branch .LBB50_15
.LBB50_14:                              ;   in Loop: Header=BB50_15 Depth=1
	s_or_b32 exec_lo, exec_lo, s12
	v_add_nc_u32_e32 v4, s1, v4
	s_delay_alu instid0(VALU_DEP_1) | instskip(SKIP_1) | instid1(SALU_CYCLE_1)
	v_cmp_le_i32_e32 vcc_lo, s13, v4
	s_or_b32 s0, vcc_lo, s0
	s_and_not1_b32 exec_lo, exec_lo, s0
	s_cbranch_execz .LBB50_20
.LBB50_15:                              ; =>This Loop Header: Depth=1
                                        ;     Child Loop BB50_18 Depth 2
	s_clause 0x1
	global_load_b64 v[6:7], v4, s[4:5] scale_offset
	global_load_b64 v[8:9], v4, s[14:15] scale_offset
	s_mov_b32 s12, exec_lo
	s_wait_loadcnt 0x1
	v_sub_nc_u64_e64 v[6:7], v[6:7], s[2:3]
	s_wait_loadcnt 0x0
	v_add_nc_u64_e32 v[8:9], v[8:9], v[0:1]
	s_wait_xcnt 0x0
	s_delay_alu instid0(VALU_DEP_1)
	v_cmpx_lt_i64_e64 v[8:9], v[6:7]
	s_cbranch_execz .LBB50_14
; %bb.16:                               ;   in Loop: Header=BB50_15 Depth=1
	v_ashrrev_i32_e32 v5, 31, v4
	v_lshl_add_u64 v[12:13], v[8:9], 2, s[6:7]
	v_lshl_add_u64 v[14:15], v[8:9], 3, s[8:9]
	s_mov_b32 s18, 0
	s_delay_alu instid0(VALU_DEP_3)
	v_lshl_add_u64 v[10:11], v[4:5], 3, s[10:11]
	global_load_b64 v[10:11], v[10:11], off
	s_wait_loadcnt 0x0
	v_mul_f64_e32 v[10:11], v[2:3], v[10:11]
	s_branch .LBB50_18
.LBB50_17:                              ;   in Loop: Header=BB50_18 Depth=2
	s_wait_xcnt 0x0
	s_or_b32 exec_lo, exec_lo, s19
	v_add_nc_u64_e32 v[8:9], 4, v[8:9]
	v_add_nc_u64_e32 v[12:13], 16, v[12:13]
	;; [unrolled: 1-line block ×3, first 2 shown]
	s_delay_alu instid0(VALU_DEP_3) | instskip(SKIP_1) | instid1(SALU_CYCLE_1)
	v_cmp_ge_i64_e32 vcc_lo, v[8:9], v[6:7]
	s_or_b32 s18, vcc_lo, s18
	s_and_not1_b32 exec_lo, exec_lo, s18
	s_cbranch_execz .LBB50_14
.LBB50_18:                              ;   Parent Loop BB50_15 Depth=1
                                        ; =>  This Inner Loop Header: Depth=2
	global_load_b32 v5, v[12:13], off
	s_mov_b32 s19, exec_lo
	s_wait_loadcnt 0x0
	v_subrev_nc_u32_e32 v5, s2, v5
	s_wait_xcnt 0x0
	s_delay_alu instid0(VALU_DEP_1)
	v_cmpx_ne_u32_e64 v5, v4
	s_cbranch_execz .LBB50_17
; %bb.19:                               ;   in Loop: Header=BB50_18 Depth=2
	global_load_b64 v[16:17], v[14:15], off
	s_wait_loadcnt 0x0
	v_mul_f64_e32 v[16:17], v[10:11], v[16:17]
	s_wait_xcnt 0x0
	global_atomic_add_f64 v5, v[16:17], s[16:17] scale_offset scope:SCOPE_DEV
	s_branch .LBB50_17
.LBB50_20:
	s_endpgm
	.section	.rodata,"a",@progbits
	.p2align	6, 0x0
	.amdhsa_kernel _ZN9rocsparseL21csrmvt_general_kernelILj256ELj4EliddddEEvbbT2_NS_24const_host_device_scalarIT6_EEPKT1_S7_PKS1_PKT3_PKT4_PT5_21rocsparse_index_base_b
		.amdhsa_group_segment_fixed_size 0
		.amdhsa_private_segment_fixed_size 0
		.amdhsa_kernarg_size 328
		.amdhsa_user_sgpr_count 2
		.amdhsa_user_sgpr_dispatch_ptr 0
		.amdhsa_user_sgpr_queue_ptr 0
		.amdhsa_user_sgpr_kernarg_segment_ptr 1
		.amdhsa_user_sgpr_dispatch_id 0
		.amdhsa_user_sgpr_kernarg_preload_length 0
		.amdhsa_user_sgpr_kernarg_preload_offset 0
		.amdhsa_user_sgpr_private_segment_size 0
		.amdhsa_wavefront_size32 1
		.amdhsa_uses_dynamic_stack 0
		.amdhsa_enable_private_segment 0
		.amdhsa_system_sgpr_workgroup_id_x 1
		.amdhsa_system_sgpr_workgroup_id_y 0
		.amdhsa_system_sgpr_workgroup_id_z 0
		.amdhsa_system_sgpr_workgroup_info 0
		.amdhsa_system_vgpr_workitem_id 0
		.amdhsa_next_free_vgpr 22
		.amdhsa_next_free_sgpr 21
		.amdhsa_named_barrier_count 0
		.amdhsa_reserve_vcc 1
		.amdhsa_float_round_mode_32 0
		.amdhsa_float_round_mode_16_64 0
		.amdhsa_float_denorm_mode_32 3
		.amdhsa_float_denorm_mode_16_64 3
		.amdhsa_fp16_overflow 0
		.amdhsa_memory_ordered 1
		.amdhsa_forward_progress 1
		.amdhsa_inst_pref_size 7
		.amdhsa_round_robin_scheduling 0
		.amdhsa_exception_fp_ieee_invalid_op 0
		.amdhsa_exception_fp_denorm_src 0
		.amdhsa_exception_fp_ieee_div_zero 0
		.amdhsa_exception_fp_ieee_overflow 0
		.amdhsa_exception_fp_ieee_underflow 0
		.amdhsa_exception_fp_ieee_inexact 0
		.amdhsa_exception_int_div_zero 0
	.end_amdhsa_kernel
	.section	.text._ZN9rocsparseL21csrmvt_general_kernelILj256ELj4EliddddEEvbbT2_NS_24const_host_device_scalarIT6_EEPKT1_S7_PKS1_PKT3_PKT4_PT5_21rocsparse_index_base_b,"axG",@progbits,_ZN9rocsparseL21csrmvt_general_kernelILj256ELj4EliddddEEvbbT2_NS_24const_host_device_scalarIT6_EEPKT1_S7_PKS1_PKT3_PKT4_PT5_21rocsparse_index_base_b,comdat
.Lfunc_end50:
	.size	_ZN9rocsparseL21csrmvt_general_kernelILj256ELj4EliddddEEvbbT2_NS_24const_host_device_scalarIT6_EEPKT1_S7_PKS1_PKT3_PKT4_PT5_21rocsparse_index_base_b, .Lfunc_end50-_ZN9rocsparseL21csrmvt_general_kernelILj256ELj4EliddddEEvbbT2_NS_24const_host_device_scalarIT6_EEPKT1_S7_PKS1_PKT3_PKT4_PT5_21rocsparse_index_base_b
                                        ; -- End function
	.set _ZN9rocsparseL21csrmvt_general_kernelILj256ELj4EliddddEEvbbT2_NS_24const_host_device_scalarIT6_EEPKT1_S7_PKS1_PKT3_PKT4_PT5_21rocsparse_index_base_b.num_vgpr, 22
	.set _ZN9rocsparseL21csrmvt_general_kernelILj256ELj4EliddddEEvbbT2_NS_24const_host_device_scalarIT6_EEPKT1_S7_PKS1_PKT3_PKT4_PT5_21rocsparse_index_base_b.num_agpr, 0
	.set _ZN9rocsparseL21csrmvt_general_kernelILj256ELj4EliddddEEvbbT2_NS_24const_host_device_scalarIT6_EEPKT1_S7_PKS1_PKT3_PKT4_PT5_21rocsparse_index_base_b.numbered_sgpr, 21
	.set _ZN9rocsparseL21csrmvt_general_kernelILj256ELj4EliddddEEvbbT2_NS_24const_host_device_scalarIT6_EEPKT1_S7_PKS1_PKT3_PKT4_PT5_21rocsparse_index_base_b.num_named_barrier, 0
	.set _ZN9rocsparseL21csrmvt_general_kernelILj256ELj4EliddddEEvbbT2_NS_24const_host_device_scalarIT6_EEPKT1_S7_PKS1_PKT3_PKT4_PT5_21rocsparse_index_base_b.private_seg_size, 0
	.set _ZN9rocsparseL21csrmvt_general_kernelILj256ELj4EliddddEEvbbT2_NS_24const_host_device_scalarIT6_EEPKT1_S7_PKS1_PKT3_PKT4_PT5_21rocsparse_index_base_b.uses_vcc, 1
	.set _ZN9rocsparseL21csrmvt_general_kernelILj256ELj4EliddddEEvbbT2_NS_24const_host_device_scalarIT6_EEPKT1_S7_PKS1_PKT3_PKT4_PT5_21rocsparse_index_base_b.uses_flat_scratch, 0
	.set _ZN9rocsparseL21csrmvt_general_kernelILj256ELj4EliddddEEvbbT2_NS_24const_host_device_scalarIT6_EEPKT1_S7_PKS1_PKT3_PKT4_PT5_21rocsparse_index_base_b.has_dyn_sized_stack, 0
	.set _ZN9rocsparseL21csrmvt_general_kernelILj256ELj4EliddddEEvbbT2_NS_24const_host_device_scalarIT6_EEPKT1_S7_PKS1_PKT3_PKT4_PT5_21rocsparse_index_base_b.has_recursion, 0
	.set _ZN9rocsparseL21csrmvt_general_kernelILj256ELj4EliddddEEvbbT2_NS_24const_host_device_scalarIT6_EEPKT1_S7_PKS1_PKT3_PKT4_PT5_21rocsparse_index_base_b.has_indirect_call, 0
	.section	.AMDGPU.csdata,"",@progbits
; Kernel info:
; codeLenInByte = 860
; TotalNumSgprs: 23
; NumVgprs: 22
; ScratchSize: 0
; MemoryBound: 0
; FloatMode: 240
; IeeeMode: 1
; LDSByteSize: 0 bytes/workgroup (compile time only)
; SGPRBlocks: 0
; VGPRBlocks: 1
; NumSGPRsForWavesPerEU: 23
; NumVGPRsForWavesPerEU: 22
; NamedBarCnt: 0
; Occupancy: 16
; WaveLimiterHint : 1
; COMPUTE_PGM_RSRC2:SCRATCH_EN: 0
; COMPUTE_PGM_RSRC2:USER_SGPR: 2
; COMPUTE_PGM_RSRC2:TRAP_HANDLER: 0
; COMPUTE_PGM_RSRC2:TGID_X_EN: 1
; COMPUTE_PGM_RSRC2:TGID_Y_EN: 0
; COMPUTE_PGM_RSRC2:TGID_Z_EN: 0
; COMPUTE_PGM_RSRC2:TIDIG_COMP_CNT: 0
	.section	.text._ZN9rocsparseL21csrmvt_general_kernelILj256ELj8EliddddEEvbbT2_NS_24const_host_device_scalarIT6_EEPKT1_S7_PKS1_PKT3_PKT4_PT5_21rocsparse_index_base_b,"axG",@progbits,_ZN9rocsparseL21csrmvt_general_kernelILj256ELj8EliddddEEvbbT2_NS_24const_host_device_scalarIT6_EEPKT1_S7_PKS1_PKT3_PKT4_PT5_21rocsparse_index_base_b,comdat
	.globl	_ZN9rocsparseL21csrmvt_general_kernelILj256ELj8EliddddEEvbbT2_NS_24const_host_device_scalarIT6_EEPKT1_S7_PKS1_PKT3_PKT4_PT5_21rocsparse_index_base_b ; -- Begin function _ZN9rocsparseL21csrmvt_general_kernelILj256ELj8EliddddEEvbbT2_NS_24const_host_device_scalarIT6_EEPKT1_S7_PKS1_PKT3_PKT4_PT5_21rocsparse_index_base_b
	.p2align	8
	.type	_ZN9rocsparseL21csrmvt_general_kernelILj256ELj8EliddddEEvbbT2_NS_24const_host_device_scalarIT6_EEPKT1_S7_PKS1_PKT3_PKT4_PT5_21rocsparse_index_base_b,@function
_ZN9rocsparseL21csrmvt_general_kernelILj256ELj8EliddddEEvbbT2_NS_24const_host_device_scalarIT6_EEPKT1_S7_PKS1_PKT3_PKT4_PT5_21rocsparse_index_base_b: ; @_ZN9rocsparseL21csrmvt_general_kernelILj256ELj8EliddddEEvbbT2_NS_24const_host_device_scalarIT6_EEPKT1_S7_PKS1_PKT3_PKT4_PT5_21rocsparse_index_base_b
; %bb.0:
	s_clause 0x1
	s_load_b64 s[2:3], s[0:1], 0x40
	s_load_b128 s[12:15], s[0:1], 0x8
	s_wait_kmcnt 0x0
	s_bitcmp1_b32 s3, 0
	v_mov_b64_e32 v[2:3], s[12:13]
	s_cselect_b32 s3, -1, 0
	s_delay_alu instid0(SALU_CYCLE_1)
	s_and_b32 vcc_lo, exec_lo, s3
	s_cbranch_vccnz .LBB51_2
; %bb.1:
	v_mov_b32_e32 v1, 0
	flat_load_b64 v[2:3], v1, s[12:13]
.LBB51_2:
	s_mov_b32 s3, exec_lo
	s_wait_loadcnt_dscnt 0x0
	s_delay_alu instid0(VALU_DEP_1)
	v_cmpx_neq_f64_e32 0, v[2:3]
	s_cbranch_execz .LBB51_20
; %bb.3:
	s_clause 0x3
	s_load_b64 s[12:13], s[0:1], 0x0
	s_load_b32 s3, s[0:1], 0x48
	s_load_b64 s[16:17], s[0:1], 0x38
	s_load_b256 s[4:11], s[0:1], 0x18
	s_wait_xcnt 0x0
	s_bfe_u32 s0, ttmp6, 0x4000c
	s_and_b32 s18, ttmp6, 15
	s_add_co_i32 s0, s0, 1
	s_getreg_b32 s19, hwreg(HW_REG_IB_STS2, 6, 4)
	s_mul_i32 s0, ttmp9, s0
	s_delay_alu instid0(SALU_CYCLE_1)
	s_add_co_i32 s18, s18, s0
	s_wait_kmcnt 0x0
	s_and_b32 s12, s12, 1
	s_lshl_b32 s1, s3, 5
	s_cmp_eq_u32 s19, 0
	s_mov_b32 s3, -1
	s_cselect_b32 s0, ttmp9, s18
	s_cmp_eq_u32 s12, 0
	v_lshl_or_b32 v1, s0, 8, v0
	s_delay_alu instid0(VALU_DEP_1) | instskip(NEXT) | instid1(VALU_DEP_1)
	v_dual_lshrrev_b32 v4, 3, v1 :: v_dual_bitop2_b32 v0, 7, v0 bitop3:0x40
	v_cmp_gt_i32_e64 s0, s13, v4
	s_cbranch_scc0 .LBB51_11
; %bb.4:
	s_and_saveexec_b32 s12, s0
	s_cbranch_execz .LBB51_10
; %bb.5:
	v_dual_mov_b32 v1, 0 :: v_dual_mov_b32 v8, v4
	s_mov_b32 s3, 0
	s_delay_alu instid0(SALU_CYCLE_1) | instskip(NEXT) | instid1(VALU_DEP_1)
	s_mov_b32 s18, s3
	v_sub_nc_u64_e64 v[6:7], v[0:1], s[2:3]
	s_branch .LBB51_7
.LBB51_6:                               ;   in Loop: Header=BB51_7 Depth=1
	s_or_b32 exec_lo, exec_lo, s19
	v_add_nc_u32_e32 v8, s1, v8
	s_delay_alu instid0(VALU_DEP_1) | instskip(SKIP_1) | instid1(SALU_CYCLE_1)
	v_cmp_le_i32_e32 vcc_lo, s13, v8
	s_or_b32 s18, vcc_lo, s18
	s_and_not1_b32 exec_lo, exec_lo, s18
	s_cbranch_execz .LBB51_10
.LBB51_7:                               ; =>This Loop Header: Depth=1
                                        ;     Child Loop BB51_9 Depth 2
	s_clause 0x1
	global_load_b64 v[10:11], v8, s[4:5] scale_offset
	global_load_b64 v[12:13], v8, s[14:15] scale_offset
	s_mov_b32 s19, exec_lo
	s_wait_loadcnt 0x1
	v_sub_nc_u64_e64 v[10:11], v[10:11], s[2:3]
	s_wait_loadcnt 0x0
	v_add_nc_u64_e32 v[12:13], v[12:13], v[6:7]
	s_wait_xcnt 0x0
	s_delay_alu instid0(VALU_DEP_1)
	v_cmpx_lt_i64_e64 v[12:13], v[10:11]
	s_cbranch_execz .LBB51_6
; %bb.8:                                ;   in Loop: Header=BB51_7 Depth=1
	v_ashrrev_i32_e32 v9, 31, v8
	v_lshl_add_u64 v[16:17], v[12:13], 2, s[6:7]
	v_lshl_add_u64 v[18:19], v[12:13], 3, s[8:9]
	s_mov_b32 s20, 0
	s_delay_alu instid0(VALU_DEP_3)
	v_lshl_add_u64 v[14:15], v[8:9], 3, s[10:11]
	global_load_b64 v[14:15], v[14:15], off
	s_wait_loadcnt 0x0
	s_wait_xcnt 0x0
	v_mul_f64_e32 v[14:15], v[2:3], v[14:15]
.LBB51_9:                               ;   Parent Loop BB51_7 Depth=1
                                        ; =>  This Inner Loop Header: Depth=2
	global_load_b64 v[20:21], v[18:19], off
	global_load_b32 v1, v[16:17], off
	v_add_nc_u64_e32 v[12:13], 8, v[12:13]
	s_wait_xcnt 0x0
	v_add_nc_u64_e32 v[16:17], 32, v[16:17]
	v_add_nc_u64_e32 v[18:19], 64, v[18:19]
	s_delay_alu instid0(VALU_DEP_3)
	v_cmp_ge_i64_e32 vcc_lo, v[12:13], v[10:11]
	s_or_b32 s20, vcc_lo, s20
	s_wait_loadcnt 0x1
	v_mul_f64_e32 v[20:21], v[14:15], v[20:21]
	s_wait_loadcnt 0x0
	v_subrev_nc_u32_e32 v1, s2, v1
	global_atomic_add_f64 v1, v[20:21], s[16:17] scale_offset scope:SCOPE_DEV
	s_wait_xcnt 0x0
	s_and_not1_b32 exec_lo, exec_lo, s20
	s_cbranch_execnz .LBB51_9
	s_branch .LBB51_6
.LBB51_10:
	s_or_b32 exec_lo, exec_lo, s12
	s_mov_b32 s3, 0
.LBB51_11:
	s_delay_alu instid0(SALU_CYCLE_1)
	s_and_not1_b32 vcc_lo, exec_lo, s3
	s_cbranch_vccnz .LBB51_20
; %bb.12:
	s_and_b32 exec_lo, exec_lo, s0
	s_cbranch_execz .LBB51_20
; %bb.13:
	v_mov_b32_e32 v1, 0
	s_mov_b32 s3, 0
	s_delay_alu instid0(SALU_CYCLE_1) | instskip(NEXT) | instid1(VALU_DEP_1)
	s_mov_b32 s0, s3
	v_sub_nc_u64_e64 v[0:1], v[0:1], s[2:3]
	s_branch .LBB51_15
.LBB51_14:                              ;   in Loop: Header=BB51_15 Depth=1
	s_or_b32 exec_lo, exec_lo, s12
	v_add_nc_u32_e32 v4, s1, v4
	s_delay_alu instid0(VALU_DEP_1) | instskip(SKIP_1) | instid1(SALU_CYCLE_1)
	v_cmp_le_i32_e32 vcc_lo, s13, v4
	s_or_b32 s0, vcc_lo, s0
	s_and_not1_b32 exec_lo, exec_lo, s0
	s_cbranch_execz .LBB51_20
.LBB51_15:                              ; =>This Loop Header: Depth=1
                                        ;     Child Loop BB51_18 Depth 2
	s_clause 0x1
	global_load_b64 v[6:7], v4, s[4:5] scale_offset
	global_load_b64 v[8:9], v4, s[14:15] scale_offset
	s_mov_b32 s12, exec_lo
	s_wait_loadcnt 0x1
	v_sub_nc_u64_e64 v[6:7], v[6:7], s[2:3]
	s_wait_loadcnt 0x0
	v_add_nc_u64_e32 v[8:9], v[8:9], v[0:1]
	s_wait_xcnt 0x0
	s_delay_alu instid0(VALU_DEP_1)
	v_cmpx_lt_i64_e64 v[8:9], v[6:7]
	s_cbranch_execz .LBB51_14
; %bb.16:                               ;   in Loop: Header=BB51_15 Depth=1
	v_ashrrev_i32_e32 v5, 31, v4
	v_lshl_add_u64 v[12:13], v[8:9], 2, s[6:7]
	v_lshl_add_u64 v[14:15], v[8:9], 3, s[8:9]
	s_mov_b32 s18, 0
	s_delay_alu instid0(VALU_DEP_3)
	v_lshl_add_u64 v[10:11], v[4:5], 3, s[10:11]
	global_load_b64 v[10:11], v[10:11], off
	s_wait_loadcnt 0x0
	v_mul_f64_e32 v[10:11], v[2:3], v[10:11]
	s_branch .LBB51_18
.LBB51_17:                              ;   in Loop: Header=BB51_18 Depth=2
	s_wait_xcnt 0x0
	s_or_b32 exec_lo, exec_lo, s19
	v_add_nc_u64_e32 v[8:9], 8, v[8:9]
	v_add_nc_u64_e32 v[12:13], 32, v[12:13]
	;; [unrolled: 1-line block ×3, first 2 shown]
	s_delay_alu instid0(VALU_DEP_3) | instskip(SKIP_1) | instid1(SALU_CYCLE_1)
	v_cmp_ge_i64_e32 vcc_lo, v[8:9], v[6:7]
	s_or_b32 s18, vcc_lo, s18
	s_and_not1_b32 exec_lo, exec_lo, s18
	s_cbranch_execz .LBB51_14
.LBB51_18:                              ;   Parent Loop BB51_15 Depth=1
                                        ; =>  This Inner Loop Header: Depth=2
	global_load_b32 v5, v[12:13], off
	s_mov_b32 s19, exec_lo
	s_wait_loadcnt 0x0
	v_subrev_nc_u32_e32 v5, s2, v5
	s_wait_xcnt 0x0
	s_delay_alu instid0(VALU_DEP_1)
	v_cmpx_ne_u32_e64 v5, v4
	s_cbranch_execz .LBB51_17
; %bb.19:                               ;   in Loop: Header=BB51_18 Depth=2
	global_load_b64 v[16:17], v[14:15], off
	s_wait_loadcnt 0x0
	v_mul_f64_e32 v[16:17], v[10:11], v[16:17]
	s_wait_xcnt 0x0
	global_atomic_add_f64 v5, v[16:17], s[16:17] scale_offset scope:SCOPE_DEV
	s_branch .LBB51_17
.LBB51_20:
	s_endpgm
	.section	.rodata,"a",@progbits
	.p2align	6, 0x0
	.amdhsa_kernel _ZN9rocsparseL21csrmvt_general_kernelILj256ELj8EliddddEEvbbT2_NS_24const_host_device_scalarIT6_EEPKT1_S7_PKS1_PKT3_PKT4_PT5_21rocsparse_index_base_b
		.amdhsa_group_segment_fixed_size 0
		.amdhsa_private_segment_fixed_size 0
		.amdhsa_kernarg_size 328
		.amdhsa_user_sgpr_count 2
		.amdhsa_user_sgpr_dispatch_ptr 0
		.amdhsa_user_sgpr_queue_ptr 0
		.amdhsa_user_sgpr_kernarg_segment_ptr 1
		.amdhsa_user_sgpr_dispatch_id 0
		.amdhsa_user_sgpr_kernarg_preload_length 0
		.amdhsa_user_sgpr_kernarg_preload_offset 0
		.amdhsa_user_sgpr_private_segment_size 0
		.amdhsa_wavefront_size32 1
		.amdhsa_uses_dynamic_stack 0
		.amdhsa_enable_private_segment 0
		.amdhsa_system_sgpr_workgroup_id_x 1
		.amdhsa_system_sgpr_workgroup_id_y 0
		.amdhsa_system_sgpr_workgroup_id_z 0
		.amdhsa_system_sgpr_workgroup_info 0
		.amdhsa_system_vgpr_workitem_id 0
		.amdhsa_next_free_vgpr 22
		.amdhsa_next_free_sgpr 21
		.amdhsa_named_barrier_count 0
		.amdhsa_reserve_vcc 1
		.amdhsa_float_round_mode_32 0
		.amdhsa_float_round_mode_16_64 0
		.amdhsa_float_denorm_mode_32 3
		.amdhsa_float_denorm_mode_16_64 3
		.amdhsa_fp16_overflow 0
		.amdhsa_memory_ordered 1
		.amdhsa_forward_progress 1
		.amdhsa_inst_pref_size 7
		.amdhsa_round_robin_scheduling 0
		.amdhsa_exception_fp_ieee_invalid_op 0
		.amdhsa_exception_fp_denorm_src 0
		.amdhsa_exception_fp_ieee_div_zero 0
		.amdhsa_exception_fp_ieee_overflow 0
		.amdhsa_exception_fp_ieee_underflow 0
		.amdhsa_exception_fp_ieee_inexact 0
		.amdhsa_exception_int_div_zero 0
	.end_amdhsa_kernel
	.section	.text._ZN9rocsparseL21csrmvt_general_kernelILj256ELj8EliddddEEvbbT2_NS_24const_host_device_scalarIT6_EEPKT1_S7_PKS1_PKT3_PKT4_PT5_21rocsparse_index_base_b,"axG",@progbits,_ZN9rocsparseL21csrmvt_general_kernelILj256ELj8EliddddEEvbbT2_NS_24const_host_device_scalarIT6_EEPKT1_S7_PKS1_PKT3_PKT4_PT5_21rocsparse_index_base_b,comdat
.Lfunc_end51:
	.size	_ZN9rocsparseL21csrmvt_general_kernelILj256ELj8EliddddEEvbbT2_NS_24const_host_device_scalarIT6_EEPKT1_S7_PKS1_PKT3_PKT4_PT5_21rocsparse_index_base_b, .Lfunc_end51-_ZN9rocsparseL21csrmvt_general_kernelILj256ELj8EliddddEEvbbT2_NS_24const_host_device_scalarIT6_EEPKT1_S7_PKS1_PKT3_PKT4_PT5_21rocsparse_index_base_b
                                        ; -- End function
	.set _ZN9rocsparseL21csrmvt_general_kernelILj256ELj8EliddddEEvbbT2_NS_24const_host_device_scalarIT6_EEPKT1_S7_PKS1_PKT3_PKT4_PT5_21rocsparse_index_base_b.num_vgpr, 22
	.set _ZN9rocsparseL21csrmvt_general_kernelILj256ELj8EliddddEEvbbT2_NS_24const_host_device_scalarIT6_EEPKT1_S7_PKS1_PKT3_PKT4_PT5_21rocsparse_index_base_b.num_agpr, 0
	.set _ZN9rocsparseL21csrmvt_general_kernelILj256ELj8EliddddEEvbbT2_NS_24const_host_device_scalarIT6_EEPKT1_S7_PKS1_PKT3_PKT4_PT5_21rocsparse_index_base_b.numbered_sgpr, 21
	.set _ZN9rocsparseL21csrmvt_general_kernelILj256ELj8EliddddEEvbbT2_NS_24const_host_device_scalarIT6_EEPKT1_S7_PKS1_PKT3_PKT4_PT5_21rocsparse_index_base_b.num_named_barrier, 0
	.set _ZN9rocsparseL21csrmvt_general_kernelILj256ELj8EliddddEEvbbT2_NS_24const_host_device_scalarIT6_EEPKT1_S7_PKS1_PKT3_PKT4_PT5_21rocsparse_index_base_b.private_seg_size, 0
	.set _ZN9rocsparseL21csrmvt_general_kernelILj256ELj8EliddddEEvbbT2_NS_24const_host_device_scalarIT6_EEPKT1_S7_PKS1_PKT3_PKT4_PT5_21rocsparse_index_base_b.uses_vcc, 1
	.set _ZN9rocsparseL21csrmvt_general_kernelILj256ELj8EliddddEEvbbT2_NS_24const_host_device_scalarIT6_EEPKT1_S7_PKS1_PKT3_PKT4_PT5_21rocsparse_index_base_b.uses_flat_scratch, 0
	.set _ZN9rocsparseL21csrmvt_general_kernelILj256ELj8EliddddEEvbbT2_NS_24const_host_device_scalarIT6_EEPKT1_S7_PKS1_PKT3_PKT4_PT5_21rocsparse_index_base_b.has_dyn_sized_stack, 0
	.set _ZN9rocsparseL21csrmvt_general_kernelILj256ELj8EliddddEEvbbT2_NS_24const_host_device_scalarIT6_EEPKT1_S7_PKS1_PKT3_PKT4_PT5_21rocsparse_index_base_b.has_recursion, 0
	.set _ZN9rocsparseL21csrmvt_general_kernelILj256ELj8EliddddEEvbbT2_NS_24const_host_device_scalarIT6_EEPKT1_S7_PKS1_PKT3_PKT4_PT5_21rocsparse_index_base_b.has_indirect_call, 0
	.section	.AMDGPU.csdata,"",@progbits
; Kernel info:
; codeLenInByte = 860
; TotalNumSgprs: 23
; NumVgprs: 22
; ScratchSize: 0
; MemoryBound: 0
; FloatMode: 240
; IeeeMode: 1
; LDSByteSize: 0 bytes/workgroup (compile time only)
; SGPRBlocks: 0
; VGPRBlocks: 1
; NumSGPRsForWavesPerEU: 23
; NumVGPRsForWavesPerEU: 22
; NamedBarCnt: 0
; Occupancy: 16
; WaveLimiterHint : 1
; COMPUTE_PGM_RSRC2:SCRATCH_EN: 0
; COMPUTE_PGM_RSRC2:USER_SGPR: 2
; COMPUTE_PGM_RSRC2:TRAP_HANDLER: 0
; COMPUTE_PGM_RSRC2:TGID_X_EN: 1
; COMPUTE_PGM_RSRC2:TGID_Y_EN: 0
; COMPUTE_PGM_RSRC2:TGID_Z_EN: 0
; COMPUTE_PGM_RSRC2:TIDIG_COMP_CNT: 0
	.section	.text._ZN9rocsparseL21csrmvt_general_kernelILj256ELj16EliddddEEvbbT2_NS_24const_host_device_scalarIT6_EEPKT1_S7_PKS1_PKT3_PKT4_PT5_21rocsparse_index_base_b,"axG",@progbits,_ZN9rocsparseL21csrmvt_general_kernelILj256ELj16EliddddEEvbbT2_NS_24const_host_device_scalarIT6_EEPKT1_S7_PKS1_PKT3_PKT4_PT5_21rocsparse_index_base_b,comdat
	.globl	_ZN9rocsparseL21csrmvt_general_kernelILj256ELj16EliddddEEvbbT2_NS_24const_host_device_scalarIT6_EEPKT1_S7_PKS1_PKT3_PKT4_PT5_21rocsparse_index_base_b ; -- Begin function _ZN9rocsparseL21csrmvt_general_kernelILj256ELj16EliddddEEvbbT2_NS_24const_host_device_scalarIT6_EEPKT1_S7_PKS1_PKT3_PKT4_PT5_21rocsparse_index_base_b
	.p2align	8
	.type	_ZN9rocsparseL21csrmvt_general_kernelILj256ELj16EliddddEEvbbT2_NS_24const_host_device_scalarIT6_EEPKT1_S7_PKS1_PKT3_PKT4_PT5_21rocsparse_index_base_b,@function
_ZN9rocsparseL21csrmvt_general_kernelILj256ELj16EliddddEEvbbT2_NS_24const_host_device_scalarIT6_EEPKT1_S7_PKS1_PKT3_PKT4_PT5_21rocsparse_index_base_b: ; @_ZN9rocsparseL21csrmvt_general_kernelILj256ELj16EliddddEEvbbT2_NS_24const_host_device_scalarIT6_EEPKT1_S7_PKS1_PKT3_PKT4_PT5_21rocsparse_index_base_b
; %bb.0:
	s_clause 0x1
	s_load_b64 s[2:3], s[0:1], 0x40
	s_load_b128 s[12:15], s[0:1], 0x8
	s_wait_kmcnt 0x0
	s_bitcmp1_b32 s3, 0
	v_mov_b64_e32 v[2:3], s[12:13]
	s_cselect_b32 s3, -1, 0
	s_delay_alu instid0(SALU_CYCLE_1)
	s_and_b32 vcc_lo, exec_lo, s3
	s_cbranch_vccnz .LBB52_2
; %bb.1:
	v_mov_b32_e32 v1, 0
	flat_load_b64 v[2:3], v1, s[12:13]
.LBB52_2:
	s_mov_b32 s3, exec_lo
	s_wait_loadcnt_dscnt 0x0
	s_delay_alu instid0(VALU_DEP_1)
	v_cmpx_neq_f64_e32 0, v[2:3]
	s_cbranch_execz .LBB52_20
; %bb.3:
	s_clause 0x3
	s_load_b64 s[12:13], s[0:1], 0x0
	s_load_b32 s3, s[0:1], 0x48
	s_load_b64 s[16:17], s[0:1], 0x38
	s_load_b256 s[4:11], s[0:1], 0x18
	s_wait_xcnt 0x0
	s_bfe_u32 s0, ttmp6, 0x4000c
	s_and_b32 s18, ttmp6, 15
	s_add_co_i32 s0, s0, 1
	s_getreg_b32 s19, hwreg(HW_REG_IB_STS2, 6, 4)
	s_mul_i32 s0, ttmp9, s0
	s_delay_alu instid0(SALU_CYCLE_1)
	s_add_co_i32 s18, s18, s0
	s_wait_kmcnt 0x0
	s_and_b32 s12, s12, 1
	s_lshl_b32 s1, s3, 4
	s_cmp_eq_u32 s19, 0
	s_mov_b32 s3, -1
	s_cselect_b32 s0, ttmp9, s18
	s_cmp_eq_u32 s12, 0
	v_lshl_or_b32 v1, s0, 8, v0
	s_delay_alu instid0(VALU_DEP_1) | instskip(NEXT) | instid1(VALU_DEP_1)
	v_dual_lshrrev_b32 v4, 4, v1 :: v_dual_bitop2_b32 v0, 15, v0 bitop3:0x40
	v_cmp_gt_i32_e64 s0, s13, v4
	s_cbranch_scc0 .LBB52_11
; %bb.4:
	s_and_saveexec_b32 s12, s0
	s_cbranch_execz .LBB52_10
; %bb.5:
	v_dual_mov_b32 v1, 0 :: v_dual_mov_b32 v8, v4
	s_mov_b32 s3, 0
	s_delay_alu instid0(SALU_CYCLE_1) | instskip(NEXT) | instid1(VALU_DEP_1)
	s_mov_b32 s18, s3
	v_sub_nc_u64_e64 v[6:7], v[0:1], s[2:3]
	s_branch .LBB52_7
.LBB52_6:                               ;   in Loop: Header=BB52_7 Depth=1
	s_or_b32 exec_lo, exec_lo, s19
	v_add_nc_u32_e32 v8, s1, v8
	s_delay_alu instid0(VALU_DEP_1) | instskip(SKIP_1) | instid1(SALU_CYCLE_1)
	v_cmp_le_i32_e32 vcc_lo, s13, v8
	s_or_b32 s18, vcc_lo, s18
	s_and_not1_b32 exec_lo, exec_lo, s18
	s_cbranch_execz .LBB52_10
.LBB52_7:                               ; =>This Loop Header: Depth=1
                                        ;     Child Loop BB52_9 Depth 2
	s_clause 0x1
	global_load_b64 v[10:11], v8, s[4:5] scale_offset
	global_load_b64 v[12:13], v8, s[14:15] scale_offset
	s_mov_b32 s19, exec_lo
	s_wait_loadcnt 0x1
	v_sub_nc_u64_e64 v[10:11], v[10:11], s[2:3]
	s_wait_loadcnt 0x0
	v_add_nc_u64_e32 v[12:13], v[12:13], v[6:7]
	s_wait_xcnt 0x0
	s_delay_alu instid0(VALU_DEP_1)
	v_cmpx_lt_i64_e64 v[12:13], v[10:11]
	s_cbranch_execz .LBB52_6
; %bb.8:                                ;   in Loop: Header=BB52_7 Depth=1
	v_ashrrev_i32_e32 v9, 31, v8
	v_lshl_add_u64 v[16:17], v[12:13], 2, s[6:7]
	v_lshl_add_u64 v[18:19], v[12:13], 3, s[8:9]
	s_mov_b32 s20, 0
	s_delay_alu instid0(VALU_DEP_3)
	v_lshl_add_u64 v[14:15], v[8:9], 3, s[10:11]
	global_load_b64 v[14:15], v[14:15], off
	s_wait_loadcnt 0x0
	s_wait_xcnt 0x0
	v_mul_f64_e32 v[14:15], v[2:3], v[14:15]
.LBB52_9:                               ;   Parent Loop BB52_7 Depth=1
                                        ; =>  This Inner Loop Header: Depth=2
	global_load_b64 v[20:21], v[18:19], off
	global_load_b32 v1, v[16:17], off
	v_add_nc_u64_e32 v[12:13], 16, v[12:13]
	s_wait_xcnt 0x0
	v_add_nc_u64_e32 v[16:17], 64, v[16:17]
	v_add_nc_u64_e32 v[18:19], 0x80, v[18:19]
	s_delay_alu instid0(VALU_DEP_3)
	v_cmp_ge_i64_e32 vcc_lo, v[12:13], v[10:11]
	s_or_b32 s20, vcc_lo, s20
	s_wait_loadcnt 0x1
	v_mul_f64_e32 v[20:21], v[14:15], v[20:21]
	s_wait_loadcnt 0x0
	v_subrev_nc_u32_e32 v1, s2, v1
	global_atomic_add_f64 v1, v[20:21], s[16:17] scale_offset scope:SCOPE_DEV
	s_wait_xcnt 0x0
	s_and_not1_b32 exec_lo, exec_lo, s20
	s_cbranch_execnz .LBB52_9
	s_branch .LBB52_6
.LBB52_10:
	s_or_b32 exec_lo, exec_lo, s12
	s_mov_b32 s3, 0
.LBB52_11:
	s_delay_alu instid0(SALU_CYCLE_1)
	s_and_not1_b32 vcc_lo, exec_lo, s3
	s_cbranch_vccnz .LBB52_20
; %bb.12:
	s_and_b32 exec_lo, exec_lo, s0
	s_cbranch_execz .LBB52_20
; %bb.13:
	v_mov_b32_e32 v1, 0
	s_mov_b32 s3, 0
	s_delay_alu instid0(SALU_CYCLE_1) | instskip(NEXT) | instid1(VALU_DEP_1)
	s_mov_b32 s0, s3
	v_sub_nc_u64_e64 v[0:1], v[0:1], s[2:3]
	s_branch .LBB52_15
.LBB52_14:                              ;   in Loop: Header=BB52_15 Depth=1
	s_or_b32 exec_lo, exec_lo, s12
	v_add_nc_u32_e32 v4, s1, v4
	s_delay_alu instid0(VALU_DEP_1) | instskip(SKIP_1) | instid1(SALU_CYCLE_1)
	v_cmp_le_i32_e32 vcc_lo, s13, v4
	s_or_b32 s0, vcc_lo, s0
	s_and_not1_b32 exec_lo, exec_lo, s0
	s_cbranch_execz .LBB52_20
.LBB52_15:                              ; =>This Loop Header: Depth=1
                                        ;     Child Loop BB52_18 Depth 2
	s_clause 0x1
	global_load_b64 v[6:7], v4, s[4:5] scale_offset
	global_load_b64 v[8:9], v4, s[14:15] scale_offset
	s_mov_b32 s12, exec_lo
	s_wait_loadcnt 0x1
	v_sub_nc_u64_e64 v[6:7], v[6:7], s[2:3]
	s_wait_loadcnt 0x0
	v_add_nc_u64_e32 v[8:9], v[8:9], v[0:1]
	s_wait_xcnt 0x0
	s_delay_alu instid0(VALU_DEP_1)
	v_cmpx_lt_i64_e64 v[8:9], v[6:7]
	s_cbranch_execz .LBB52_14
; %bb.16:                               ;   in Loop: Header=BB52_15 Depth=1
	v_ashrrev_i32_e32 v5, 31, v4
	v_lshl_add_u64 v[12:13], v[8:9], 2, s[6:7]
	v_lshl_add_u64 v[14:15], v[8:9], 3, s[8:9]
	s_mov_b32 s18, 0
	s_delay_alu instid0(VALU_DEP_3)
	v_lshl_add_u64 v[10:11], v[4:5], 3, s[10:11]
	global_load_b64 v[10:11], v[10:11], off
	s_wait_loadcnt 0x0
	v_mul_f64_e32 v[10:11], v[2:3], v[10:11]
	s_branch .LBB52_18
.LBB52_17:                              ;   in Loop: Header=BB52_18 Depth=2
	s_wait_xcnt 0x0
	s_or_b32 exec_lo, exec_lo, s19
	v_add_nc_u64_e32 v[8:9], 16, v[8:9]
	v_add_nc_u64_e32 v[12:13], 64, v[12:13]
	;; [unrolled: 1-line block ×3, first 2 shown]
	s_delay_alu instid0(VALU_DEP_3) | instskip(SKIP_1) | instid1(SALU_CYCLE_1)
	v_cmp_ge_i64_e32 vcc_lo, v[8:9], v[6:7]
	s_or_b32 s18, vcc_lo, s18
	s_and_not1_b32 exec_lo, exec_lo, s18
	s_cbranch_execz .LBB52_14
.LBB52_18:                              ;   Parent Loop BB52_15 Depth=1
                                        ; =>  This Inner Loop Header: Depth=2
	global_load_b32 v5, v[12:13], off
	s_mov_b32 s19, exec_lo
	s_wait_loadcnt 0x0
	v_subrev_nc_u32_e32 v5, s2, v5
	s_wait_xcnt 0x0
	s_delay_alu instid0(VALU_DEP_1)
	v_cmpx_ne_u32_e64 v5, v4
	s_cbranch_execz .LBB52_17
; %bb.19:                               ;   in Loop: Header=BB52_18 Depth=2
	global_load_b64 v[16:17], v[14:15], off
	s_wait_loadcnt 0x0
	v_mul_f64_e32 v[16:17], v[10:11], v[16:17]
	s_wait_xcnt 0x0
	global_atomic_add_f64 v5, v[16:17], s[16:17] scale_offset scope:SCOPE_DEV
	s_branch .LBB52_17
.LBB52_20:
	s_endpgm
	.section	.rodata,"a",@progbits
	.p2align	6, 0x0
	.amdhsa_kernel _ZN9rocsparseL21csrmvt_general_kernelILj256ELj16EliddddEEvbbT2_NS_24const_host_device_scalarIT6_EEPKT1_S7_PKS1_PKT3_PKT4_PT5_21rocsparse_index_base_b
		.amdhsa_group_segment_fixed_size 0
		.amdhsa_private_segment_fixed_size 0
		.amdhsa_kernarg_size 328
		.amdhsa_user_sgpr_count 2
		.amdhsa_user_sgpr_dispatch_ptr 0
		.amdhsa_user_sgpr_queue_ptr 0
		.amdhsa_user_sgpr_kernarg_segment_ptr 1
		.amdhsa_user_sgpr_dispatch_id 0
		.amdhsa_user_sgpr_kernarg_preload_length 0
		.amdhsa_user_sgpr_kernarg_preload_offset 0
		.amdhsa_user_sgpr_private_segment_size 0
		.amdhsa_wavefront_size32 1
		.amdhsa_uses_dynamic_stack 0
		.amdhsa_enable_private_segment 0
		.amdhsa_system_sgpr_workgroup_id_x 1
		.amdhsa_system_sgpr_workgroup_id_y 0
		.amdhsa_system_sgpr_workgroup_id_z 0
		.amdhsa_system_sgpr_workgroup_info 0
		.amdhsa_system_vgpr_workitem_id 0
		.amdhsa_next_free_vgpr 22
		.amdhsa_next_free_sgpr 21
		.amdhsa_named_barrier_count 0
		.amdhsa_reserve_vcc 1
		.amdhsa_float_round_mode_32 0
		.amdhsa_float_round_mode_16_64 0
		.amdhsa_float_denorm_mode_32 3
		.amdhsa_float_denorm_mode_16_64 3
		.amdhsa_fp16_overflow 0
		.amdhsa_memory_ordered 1
		.amdhsa_forward_progress 1
		.amdhsa_inst_pref_size 7
		.amdhsa_round_robin_scheduling 0
		.amdhsa_exception_fp_ieee_invalid_op 0
		.amdhsa_exception_fp_denorm_src 0
		.amdhsa_exception_fp_ieee_div_zero 0
		.amdhsa_exception_fp_ieee_overflow 0
		.amdhsa_exception_fp_ieee_underflow 0
		.amdhsa_exception_fp_ieee_inexact 0
		.amdhsa_exception_int_div_zero 0
	.end_amdhsa_kernel
	.section	.text._ZN9rocsparseL21csrmvt_general_kernelILj256ELj16EliddddEEvbbT2_NS_24const_host_device_scalarIT6_EEPKT1_S7_PKS1_PKT3_PKT4_PT5_21rocsparse_index_base_b,"axG",@progbits,_ZN9rocsparseL21csrmvt_general_kernelILj256ELj16EliddddEEvbbT2_NS_24const_host_device_scalarIT6_EEPKT1_S7_PKS1_PKT3_PKT4_PT5_21rocsparse_index_base_b,comdat
.Lfunc_end52:
	.size	_ZN9rocsparseL21csrmvt_general_kernelILj256ELj16EliddddEEvbbT2_NS_24const_host_device_scalarIT6_EEPKT1_S7_PKS1_PKT3_PKT4_PT5_21rocsparse_index_base_b, .Lfunc_end52-_ZN9rocsparseL21csrmvt_general_kernelILj256ELj16EliddddEEvbbT2_NS_24const_host_device_scalarIT6_EEPKT1_S7_PKS1_PKT3_PKT4_PT5_21rocsparse_index_base_b
                                        ; -- End function
	.set _ZN9rocsparseL21csrmvt_general_kernelILj256ELj16EliddddEEvbbT2_NS_24const_host_device_scalarIT6_EEPKT1_S7_PKS1_PKT3_PKT4_PT5_21rocsparse_index_base_b.num_vgpr, 22
	.set _ZN9rocsparseL21csrmvt_general_kernelILj256ELj16EliddddEEvbbT2_NS_24const_host_device_scalarIT6_EEPKT1_S7_PKS1_PKT3_PKT4_PT5_21rocsparse_index_base_b.num_agpr, 0
	.set _ZN9rocsparseL21csrmvt_general_kernelILj256ELj16EliddddEEvbbT2_NS_24const_host_device_scalarIT6_EEPKT1_S7_PKS1_PKT3_PKT4_PT5_21rocsparse_index_base_b.numbered_sgpr, 21
	.set _ZN9rocsparseL21csrmvt_general_kernelILj256ELj16EliddddEEvbbT2_NS_24const_host_device_scalarIT6_EEPKT1_S7_PKS1_PKT3_PKT4_PT5_21rocsparse_index_base_b.num_named_barrier, 0
	.set _ZN9rocsparseL21csrmvt_general_kernelILj256ELj16EliddddEEvbbT2_NS_24const_host_device_scalarIT6_EEPKT1_S7_PKS1_PKT3_PKT4_PT5_21rocsparse_index_base_b.private_seg_size, 0
	.set _ZN9rocsparseL21csrmvt_general_kernelILj256ELj16EliddddEEvbbT2_NS_24const_host_device_scalarIT6_EEPKT1_S7_PKS1_PKT3_PKT4_PT5_21rocsparse_index_base_b.uses_vcc, 1
	.set _ZN9rocsparseL21csrmvt_general_kernelILj256ELj16EliddddEEvbbT2_NS_24const_host_device_scalarIT6_EEPKT1_S7_PKS1_PKT3_PKT4_PT5_21rocsparse_index_base_b.uses_flat_scratch, 0
	.set _ZN9rocsparseL21csrmvt_general_kernelILj256ELj16EliddddEEvbbT2_NS_24const_host_device_scalarIT6_EEPKT1_S7_PKS1_PKT3_PKT4_PT5_21rocsparse_index_base_b.has_dyn_sized_stack, 0
	.set _ZN9rocsparseL21csrmvt_general_kernelILj256ELj16EliddddEEvbbT2_NS_24const_host_device_scalarIT6_EEPKT1_S7_PKS1_PKT3_PKT4_PT5_21rocsparse_index_base_b.has_recursion, 0
	.set _ZN9rocsparseL21csrmvt_general_kernelILj256ELj16EliddddEEvbbT2_NS_24const_host_device_scalarIT6_EEPKT1_S7_PKS1_PKT3_PKT4_PT5_21rocsparse_index_base_b.has_indirect_call, 0
	.section	.AMDGPU.csdata,"",@progbits
; Kernel info:
; codeLenInByte = 868
; TotalNumSgprs: 23
; NumVgprs: 22
; ScratchSize: 0
; MemoryBound: 0
; FloatMode: 240
; IeeeMode: 1
; LDSByteSize: 0 bytes/workgroup (compile time only)
; SGPRBlocks: 0
; VGPRBlocks: 1
; NumSGPRsForWavesPerEU: 23
; NumVGPRsForWavesPerEU: 22
; NamedBarCnt: 0
; Occupancy: 16
; WaveLimiterHint : 1
; COMPUTE_PGM_RSRC2:SCRATCH_EN: 0
; COMPUTE_PGM_RSRC2:USER_SGPR: 2
; COMPUTE_PGM_RSRC2:TRAP_HANDLER: 0
; COMPUTE_PGM_RSRC2:TGID_X_EN: 1
; COMPUTE_PGM_RSRC2:TGID_Y_EN: 0
; COMPUTE_PGM_RSRC2:TGID_Z_EN: 0
; COMPUTE_PGM_RSRC2:TIDIG_COMP_CNT: 0
	.section	.text._ZN9rocsparseL21csrmvt_general_kernelILj256ELj32EliddddEEvbbT2_NS_24const_host_device_scalarIT6_EEPKT1_S7_PKS1_PKT3_PKT4_PT5_21rocsparse_index_base_b,"axG",@progbits,_ZN9rocsparseL21csrmvt_general_kernelILj256ELj32EliddddEEvbbT2_NS_24const_host_device_scalarIT6_EEPKT1_S7_PKS1_PKT3_PKT4_PT5_21rocsparse_index_base_b,comdat
	.globl	_ZN9rocsparseL21csrmvt_general_kernelILj256ELj32EliddddEEvbbT2_NS_24const_host_device_scalarIT6_EEPKT1_S7_PKS1_PKT3_PKT4_PT5_21rocsparse_index_base_b ; -- Begin function _ZN9rocsparseL21csrmvt_general_kernelILj256ELj32EliddddEEvbbT2_NS_24const_host_device_scalarIT6_EEPKT1_S7_PKS1_PKT3_PKT4_PT5_21rocsparse_index_base_b
	.p2align	8
	.type	_ZN9rocsparseL21csrmvt_general_kernelILj256ELj32EliddddEEvbbT2_NS_24const_host_device_scalarIT6_EEPKT1_S7_PKS1_PKT3_PKT4_PT5_21rocsparse_index_base_b,@function
_ZN9rocsparseL21csrmvt_general_kernelILj256ELj32EliddddEEvbbT2_NS_24const_host_device_scalarIT6_EEPKT1_S7_PKS1_PKT3_PKT4_PT5_21rocsparse_index_base_b: ; @_ZN9rocsparseL21csrmvt_general_kernelILj256ELj32EliddddEEvbbT2_NS_24const_host_device_scalarIT6_EEPKT1_S7_PKS1_PKT3_PKT4_PT5_21rocsparse_index_base_b
; %bb.0:
	s_clause 0x1
	s_load_b64 s[2:3], s[0:1], 0x40
	s_load_b128 s[12:15], s[0:1], 0x8
	s_wait_kmcnt 0x0
	s_bitcmp1_b32 s3, 0
	v_mov_b64_e32 v[2:3], s[12:13]
	s_cselect_b32 s3, -1, 0
	s_delay_alu instid0(SALU_CYCLE_1)
	s_and_b32 vcc_lo, exec_lo, s3
	s_cbranch_vccnz .LBB53_2
; %bb.1:
	v_mov_b32_e32 v1, 0
	flat_load_b64 v[2:3], v1, s[12:13]
.LBB53_2:
	s_mov_b32 s3, exec_lo
	s_wait_loadcnt_dscnt 0x0
	s_delay_alu instid0(VALU_DEP_1)
	v_cmpx_neq_f64_e32 0, v[2:3]
	s_cbranch_execz .LBB53_20
; %bb.3:
	s_clause 0x3
	s_load_b64 s[12:13], s[0:1], 0x0
	s_load_b32 s3, s[0:1], 0x48
	s_load_b64 s[16:17], s[0:1], 0x38
	s_load_b256 s[4:11], s[0:1], 0x18
	s_wait_xcnt 0x0
	s_bfe_u32 s0, ttmp6, 0x4000c
	s_and_b32 s18, ttmp6, 15
	s_add_co_i32 s0, s0, 1
	s_getreg_b32 s19, hwreg(HW_REG_IB_STS2, 6, 4)
	s_mul_i32 s0, ttmp9, s0
	s_delay_alu instid0(SALU_CYCLE_1)
	s_add_co_i32 s18, s18, s0
	s_wait_kmcnt 0x0
	s_and_b32 s12, s12, 1
	s_lshl_b32 s1, s3, 3
	s_cmp_eq_u32 s19, 0
	s_mov_b32 s3, -1
	s_cselect_b32 s0, ttmp9, s18
	s_cmp_eq_u32 s12, 0
	v_lshl_or_b32 v1, s0, 8, v0
	s_delay_alu instid0(VALU_DEP_1) | instskip(NEXT) | instid1(VALU_DEP_1)
	v_dual_lshrrev_b32 v4, 5, v1 :: v_dual_bitop2_b32 v0, 31, v0 bitop3:0x40
	v_cmp_gt_i32_e64 s0, s13, v4
	s_cbranch_scc0 .LBB53_11
; %bb.4:
	s_and_saveexec_b32 s12, s0
	s_cbranch_execz .LBB53_10
; %bb.5:
	v_dual_mov_b32 v1, 0 :: v_dual_mov_b32 v8, v4
	s_mov_b32 s3, 0
	s_delay_alu instid0(SALU_CYCLE_1) | instskip(NEXT) | instid1(VALU_DEP_1)
	s_mov_b32 s18, s3
	v_sub_nc_u64_e64 v[6:7], v[0:1], s[2:3]
	s_branch .LBB53_7
.LBB53_6:                               ;   in Loop: Header=BB53_7 Depth=1
	s_or_b32 exec_lo, exec_lo, s19
	v_add_nc_u32_e32 v8, s1, v8
	s_delay_alu instid0(VALU_DEP_1) | instskip(SKIP_1) | instid1(SALU_CYCLE_1)
	v_cmp_le_i32_e32 vcc_lo, s13, v8
	s_or_b32 s18, vcc_lo, s18
	s_and_not1_b32 exec_lo, exec_lo, s18
	s_cbranch_execz .LBB53_10
.LBB53_7:                               ; =>This Loop Header: Depth=1
                                        ;     Child Loop BB53_9 Depth 2
	s_clause 0x1
	global_load_b64 v[10:11], v8, s[4:5] scale_offset
	global_load_b64 v[12:13], v8, s[14:15] scale_offset
	s_mov_b32 s19, exec_lo
	s_wait_loadcnt 0x1
	v_sub_nc_u64_e64 v[10:11], v[10:11], s[2:3]
	s_wait_loadcnt 0x0
	v_add_nc_u64_e32 v[12:13], v[12:13], v[6:7]
	s_wait_xcnt 0x0
	s_delay_alu instid0(VALU_DEP_1)
	v_cmpx_lt_i64_e64 v[12:13], v[10:11]
	s_cbranch_execz .LBB53_6
; %bb.8:                                ;   in Loop: Header=BB53_7 Depth=1
	v_ashrrev_i32_e32 v9, 31, v8
	v_lshl_add_u64 v[16:17], v[12:13], 2, s[6:7]
	v_lshl_add_u64 v[18:19], v[12:13], 3, s[8:9]
	s_mov_b32 s20, 0
	s_delay_alu instid0(VALU_DEP_3)
	v_lshl_add_u64 v[14:15], v[8:9], 3, s[10:11]
	global_load_b64 v[14:15], v[14:15], off
	s_wait_loadcnt 0x0
	s_wait_xcnt 0x0
	v_mul_f64_e32 v[14:15], v[2:3], v[14:15]
.LBB53_9:                               ;   Parent Loop BB53_7 Depth=1
                                        ; =>  This Inner Loop Header: Depth=2
	global_load_b64 v[20:21], v[18:19], off
	global_load_b32 v1, v[16:17], off
	v_add_nc_u64_e32 v[12:13], 32, v[12:13]
	s_wait_xcnt 0x0
	v_add_nc_u64_e32 v[16:17], 0x80, v[16:17]
	v_add_nc_u64_e32 v[18:19], 0x100, v[18:19]
	s_delay_alu instid0(VALU_DEP_3)
	v_cmp_ge_i64_e32 vcc_lo, v[12:13], v[10:11]
	s_or_b32 s20, vcc_lo, s20
	s_wait_loadcnt 0x1
	v_mul_f64_e32 v[20:21], v[14:15], v[20:21]
	s_wait_loadcnt 0x0
	v_subrev_nc_u32_e32 v1, s2, v1
	global_atomic_add_f64 v1, v[20:21], s[16:17] scale_offset scope:SCOPE_DEV
	s_wait_xcnt 0x0
	s_and_not1_b32 exec_lo, exec_lo, s20
	s_cbranch_execnz .LBB53_9
	s_branch .LBB53_6
.LBB53_10:
	s_or_b32 exec_lo, exec_lo, s12
	s_mov_b32 s3, 0
.LBB53_11:
	s_delay_alu instid0(SALU_CYCLE_1)
	s_and_not1_b32 vcc_lo, exec_lo, s3
	s_cbranch_vccnz .LBB53_20
; %bb.12:
	s_and_b32 exec_lo, exec_lo, s0
	s_cbranch_execz .LBB53_20
; %bb.13:
	v_mov_b32_e32 v1, 0
	s_mov_b32 s3, 0
	s_delay_alu instid0(SALU_CYCLE_1) | instskip(NEXT) | instid1(VALU_DEP_1)
	s_mov_b32 s0, s3
	v_sub_nc_u64_e64 v[0:1], v[0:1], s[2:3]
	s_branch .LBB53_15
.LBB53_14:                              ;   in Loop: Header=BB53_15 Depth=1
	s_or_b32 exec_lo, exec_lo, s12
	v_add_nc_u32_e32 v4, s1, v4
	s_delay_alu instid0(VALU_DEP_1) | instskip(SKIP_1) | instid1(SALU_CYCLE_1)
	v_cmp_le_i32_e32 vcc_lo, s13, v4
	s_or_b32 s0, vcc_lo, s0
	s_and_not1_b32 exec_lo, exec_lo, s0
	s_cbranch_execz .LBB53_20
.LBB53_15:                              ; =>This Loop Header: Depth=1
                                        ;     Child Loop BB53_18 Depth 2
	s_clause 0x1
	global_load_b64 v[6:7], v4, s[4:5] scale_offset
	global_load_b64 v[8:9], v4, s[14:15] scale_offset
	s_mov_b32 s12, exec_lo
	s_wait_loadcnt 0x1
	v_sub_nc_u64_e64 v[6:7], v[6:7], s[2:3]
	s_wait_loadcnt 0x0
	v_add_nc_u64_e32 v[8:9], v[8:9], v[0:1]
	s_wait_xcnt 0x0
	s_delay_alu instid0(VALU_DEP_1)
	v_cmpx_lt_i64_e64 v[8:9], v[6:7]
	s_cbranch_execz .LBB53_14
; %bb.16:                               ;   in Loop: Header=BB53_15 Depth=1
	v_ashrrev_i32_e32 v5, 31, v4
	v_lshl_add_u64 v[12:13], v[8:9], 2, s[6:7]
	v_lshl_add_u64 v[14:15], v[8:9], 3, s[8:9]
	s_mov_b32 s18, 0
	s_delay_alu instid0(VALU_DEP_3)
	v_lshl_add_u64 v[10:11], v[4:5], 3, s[10:11]
	global_load_b64 v[10:11], v[10:11], off
	s_wait_loadcnt 0x0
	v_mul_f64_e32 v[10:11], v[2:3], v[10:11]
	s_branch .LBB53_18
.LBB53_17:                              ;   in Loop: Header=BB53_18 Depth=2
	s_wait_xcnt 0x0
	s_or_b32 exec_lo, exec_lo, s19
	v_add_nc_u64_e32 v[8:9], 32, v[8:9]
	v_add_nc_u64_e32 v[12:13], 0x80, v[12:13]
	;; [unrolled: 1-line block ×3, first 2 shown]
	s_delay_alu instid0(VALU_DEP_3) | instskip(SKIP_1) | instid1(SALU_CYCLE_1)
	v_cmp_ge_i64_e32 vcc_lo, v[8:9], v[6:7]
	s_or_b32 s18, vcc_lo, s18
	s_and_not1_b32 exec_lo, exec_lo, s18
	s_cbranch_execz .LBB53_14
.LBB53_18:                              ;   Parent Loop BB53_15 Depth=1
                                        ; =>  This Inner Loop Header: Depth=2
	global_load_b32 v5, v[12:13], off
	s_mov_b32 s19, exec_lo
	s_wait_loadcnt 0x0
	v_subrev_nc_u32_e32 v5, s2, v5
	s_wait_xcnt 0x0
	s_delay_alu instid0(VALU_DEP_1)
	v_cmpx_ne_u32_e64 v5, v4
	s_cbranch_execz .LBB53_17
; %bb.19:                               ;   in Loop: Header=BB53_18 Depth=2
	global_load_b64 v[16:17], v[14:15], off
	s_wait_loadcnt 0x0
	v_mul_f64_e32 v[16:17], v[10:11], v[16:17]
	s_wait_xcnt 0x0
	global_atomic_add_f64 v5, v[16:17], s[16:17] scale_offset scope:SCOPE_DEV
	s_branch .LBB53_17
.LBB53_20:
	s_endpgm
	.section	.rodata,"a",@progbits
	.p2align	6, 0x0
	.amdhsa_kernel _ZN9rocsparseL21csrmvt_general_kernelILj256ELj32EliddddEEvbbT2_NS_24const_host_device_scalarIT6_EEPKT1_S7_PKS1_PKT3_PKT4_PT5_21rocsparse_index_base_b
		.amdhsa_group_segment_fixed_size 0
		.amdhsa_private_segment_fixed_size 0
		.amdhsa_kernarg_size 328
		.amdhsa_user_sgpr_count 2
		.amdhsa_user_sgpr_dispatch_ptr 0
		.amdhsa_user_sgpr_queue_ptr 0
		.amdhsa_user_sgpr_kernarg_segment_ptr 1
		.amdhsa_user_sgpr_dispatch_id 0
		.amdhsa_user_sgpr_kernarg_preload_length 0
		.amdhsa_user_sgpr_kernarg_preload_offset 0
		.amdhsa_user_sgpr_private_segment_size 0
		.amdhsa_wavefront_size32 1
		.amdhsa_uses_dynamic_stack 0
		.amdhsa_enable_private_segment 0
		.amdhsa_system_sgpr_workgroup_id_x 1
		.amdhsa_system_sgpr_workgroup_id_y 0
		.amdhsa_system_sgpr_workgroup_id_z 0
		.amdhsa_system_sgpr_workgroup_info 0
		.amdhsa_system_vgpr_workitem_id 0
		.amdhsa_next_free_vgpr 22
		.amdhsa_next_free_sgpr 21
		.amdhsa_named_barrier_count 0
		.amdhsa_reserve_vcc 1
		.amdhsa_float_round_mode_32 0
		.amdhsa_float_round_mode_16_64 0
		.amdhsa_float_denorm_mode_32 3
		.amdhsa_float_denorm_mode_16_64 3
		.amdhsa_fp16_overflow 0
		.amdhsa_memory_ordered 1
		.amdhsa_forward_progress 1
		.amdhsa_inst_pref_size 7
		.amdhsa_round_robin_scheduling 0
		.amdhsa_exception_fp_ieee_invalid_op 0
		.amdhsa_exception_fp_denorm_src 0
		.amdhsa_exception_fp_ieee_div_zero 0
		.amdhsa_exception_fp_ieee_overflow 0
		.amdhsa_exception_fp_ieee_underflow 0
		.amdhsa_exception_fp_ieee_inexact 0
		.amdhsa_exception_int_div_zero 0
	.end_amdhsa_kernel
	.section	.text._ZN9rocsparseL21csrmvt_general_kernelILj256ELj32EliddddEEvbbT2_NS_24const_host_device_scalarIT6_EEPKT1_S7_PKS1_PKT3_PKT4_PT5_21rocsparse_index_base_b,"axG",@progbits,_ZN9rocsparseL21csrmvt_general_kernelILj256ELj32EliddddEEvbbT2_NS_24const_host_device_scalarIT6_EEPKT1_S7_PKS1_PKT3_PKT4_PT5_21rocsparse_index_base_b,comdat
.Lfunc_end53:
	.size	_ZN9rocsparseL21csrmvt_general_kernelILj256ELj32EliddddEEvbbT2_NS_24const_host_device_scalarIT6_EEPKT1_S7_PKS1_PKT3_PKT4_PT5_21rocsparse_index_base_b, .Lfunc_end53-_ZN9rocsparseL21csrmvt_general_kernelILj256ELj32EliddddEEvbbT2_NS_24const_host_device_scalarIT6_EEPKT1_S7_PKS1_PKT3_PKT4_PT5_21rocsparse_index_base_b
                                        ; -- End function
	.set _ZN9rocsparseL21csrmvt_general_kernelILj256ELj32EliddddEEvbbT2_NS_24const_host_device_scalarIT6_EEPKT1_S7_PKS1_PKT3_PKT4_PT5_21rocsparse_index_base_b.num_vgpr, 22
	.set _ZN9rocsparseL21csrmvt_general_kernelILj256ELj32EliddddEEvbbT2_NS_24const_host_device_scalarIT6_EEPKT1_S7_PKS1_PKT3_PKT4_PT5_21rocsparse_index_base_b.num_agpr, 0
	.set _ZN9rocsparseL21csrmvt_general_kernelILj256ELj32EliddddEEvbbT2_NS_24const_host_device_scalarIT6_EEPKT1_S7_PKS1_PKT3_PKT4_PT5_21rocsparse_index_base_b.numbered_sgpr, 21
	.set _ZN9rocsparseL21csrmvt_general_kernelILj256ELj32EliddddEEvbbT2_NS_24const_host_device_scalarIT6_EEPKT1_S7_PKS1_PKT3_PKT4_PT5_21rocsparse_index_base_b.num_named_barrier, 0
	.set _ZN9rocsparseL21csrmvt_general_kernelILj256ELj32EliddddEEvbbT2_NS_24const_host_device_scalarIT6_EEPKT1_S7_PKS1_PKT3_PKT4_PT5_21rocsparse_index_base_b.private_seg_size, 0
	.set _ZN9rocsparseL21csrmvt_general_kernelILj256ELj32EliddddEEvbbT2_NS_24const_host_device_scalarIT6_EEPKT1_S7_PKS1_PKT3_PKT4_PT5_21rocsparse_index_base_b.uses_vcc, 1
	.set _ZN9rocsparseL21csrmvt_general_kernelILj256ELj32EliddddEEvbbT2_NS_24const_host_device_scalarIT6_EEPKT1_S7_PKS1_PKT3_PKT4_PT5_21rocsparse_index_base_b.uses_flat_scratch, 0
	.set _ZN9rocsparseL21csrmvt_general_kernelILj256ELj32EliddddEEvbbT2_NS_24const_host_device_scalarIT6_EEPKT1_S7_PKS1_PKT3_PKT4_PT5_21rocsparse_index_base_b.has_dyn_sized_stack, 0
	.set _ZN9rocsparseL21csrmvt_general_kernelILj256ELj32EliddddEEvbbT2_NS_24const_host_device_scalarIT6_EEPKT1_S7_PKS1_PKT3_PKT4_PT5_21rocsparse_index_base_b.has_recursion, 0
	.set _ZN9rocsparseL21csrmvt_general_kernelILj256ELj32EliddddEEvbbT2_NS_24const_host_device_scalarIT6_EEPKT1_S7_PKS1_PKT3_PKT4_PT5_21rocsparse_index_base_b.has_indirect_call, 0
	.section	.AMDGPU.csdata,"",@progbits
; Kernel info:
; codeLenInByte = 876
; TotalNumSgprs: 23
; NumVgprs: 22
; ScratchSize: 0
; MemoryBound: 0
; FloatMode: 240
; IeeeMode: 1
; LDSByteSize: 0 bytes/workgroup (compile time only)
; SGPRBlocks: 0
; VGPRBlocks: 1
; NumSGPRsForWavesPerEU: 23
; NumVGPRsForWavesPerEU: 22
; NamedBarCnt: 0
; Occupancy: 16
; WaveLimiterHint : 1
; COMPUTE_PGM_RSRC2:SCRATCH_EN: 0
; COMPUTE_PGM_RSRC2:USER_SGPR: 2
; COMPUTE_PGM_RSRC2:TRAP_HANDLER: 0
; COMPUTE_PGM_RSRC2:TGID_X_EN: 1
; COMPUTE_PGM_RSRC2:TGID_Y_EN: 0
; COMPUTE_PGM_RSRC2:TGID_Z_EN: 0
; COMPUTE_PGM_RSRC2:TIDIG_COMP_CNT: 0
	.section	.text._ZN9rocsparseL21csrmvt_general_kernelILj256ELj64EliddddEEvbbT2_NS_24const_host_device_scalarIT6_EEPKT1_S7_PKS1_PKT3_PKT4_PT5_21rocsparse_index_base_b,"axG",@progbits,_ZN9rocsparseL21csrmvt_general_kernelILj256ELj64EliddddEEvbbT2_NS_24const_host_device_scalarIT6_EEPKT1_S7_PKS1_PKT3_PKT4_PT5_21rocsparse_index_base_b,comdat
	.globl	_ZN9rocsparseL21csrmvt_general_kernelILj256ELj64EliddddEEvbbT2_NS_24const_host_device_scalarIT6_EEPKT1_S7_PKS1_PKT3_PKT4_PT5_21rocsparse_index_base_b ; -- Begin function _ZN9rocsparseL21csrmvt_general_kernelILj256ELj64EliddddEEvbbT2_NS_24const_host_device_scalarIT6_EEPKT1_S7_PKS1_PKT3_PKT4_PT5_21rocsparse_index_base_b
	.p2align	8
	.type	_ZN9rocsparseL21csrmvt_general_kernelILj256ELj64EliddddEEvbbT2_NS_24const_host_device_scalarIT6_EEPKT1_S7_PKS1_PKT3_PKT4_PT5_21rocsparse_index_base_b,@function
_ZN9rocsparseL21csrmvt_general_kernelILj256ELj64EliddddEEvbbT2_NS_24const_host_device_scalarIT6_EEPKT1_S7_PKS1_PKT3_PKT4_PT5_21rocsparse_index_base_b: ; @_ZN9rocsparseL21csrmvt_general_kernelILj256ELj64EliddddEEvbbT2_NS_24const_host_device_scalarIT6_EEPKT1_S7_PKS1_PKT3_PKT4_PT5_21rocsparse_index_base_b
; %bb.0:
	s_clause 0x1
	s_load_b64 s[2:3], s[0:1], 0x40
	s_load_b128 s[12:15], s[0:1], 0x8
	s_wait_kmcnt 0x0
	s_bitcmp1_b32 s3, 0
	v_mov_b64_e32 v[2:3], s[12:13]
	s_cselect_b32 s3, -1, 0
	s_delay_alu instid0(SALU_CYCLE_1)
	s_and_b32 vcc_lo, exec_lo, s3
	s_cbranch_vccnz .LBB54_2
; %bb.1:
	v_mov_b32_e32 v1, 0
	flat_load_b64 v[2:3], v1, s[12:13]
.LBB54_2:
	s_mov_b32 s3, exec_lo
	s_wait_loadcnt_dscnt 0x0
	s_delay_alu instid0(VALU_DEP_1)
	v_cmpx_neq_f64_e32 0, v[2:3]
	s_cbranch_execz .LBB54_20
; %bb.3:
	s_clause 0x3
	s_load_b64 s[12:13], s[0:1], 0x0
	s_load_b32 s3, s[0:1], 0x48
	s_load_b64 s[16:17], s[0:1], 0x38
	s_load_b256 s[4:11], s[0:1], 0x18
	s_wait_xcnt 0x0
	s_bfe_u32 s0, ttmp6, 0x4000c
	s_and_b32 s18, ttmp6, 15
	s_add_co_i32 s0, s0, 1
	s_getreg_b32 s19, hwreg(HW_REG_IB_STS2, 6, 4)
	s_mul_i32 s0, ttmp9, s0
	s_delay_alu instid0(SALU_CYCLE_1)
	s_add_co_i32 s18, s18, s0
	s_wait_kmcnt 0x0
	s_and_b32 s12, s12, 1
	s_lshl_b32 s1, s3, 2
	s_cmp_eq_u32 s19, 0
	s_mov_b32 s3, -1
	s_cselect_b32 s0, ttmp9, s18
	s_cmp_eq_u32 s12, 0
	v_lshl_or_b32 v1, s0, 8, v0
	s_delay_alu instid0(VALU_DEP_1) | instskip(NEXT) | instid1(VALU_DEP_1)
	v_dual_lshrrev_b32 v4, 6, v1 :: v_dual_bitop2_b32 v0, 63, v0 bitop3:0x40
	v_cmp_gt_i32_e64 s0, s13, v4
	s_cbranch_scc0 .LBB54_11
; %bb.4:
	s_and_saveexec_b32 s12, s0
	s_cbranch_execz .LBB54_10
; %bb.5:
	v_dual_mov_b32 v1, 0 :: v_dual_mov_b32 v8, v4
	s_mov_b32 s3, 0
	s_delay_alu instid0(SALU_CYCLE_1) | instskip(NEXT) | instid1(VALU_DEP_1)
	s_mov_b32 s18, s3
	v_sub_nc_u64_e64 v[6:7], v[0:1], s[2:3]
	s_branch .LBB54_7
.LBB54_6:                               ;   in Loop: Header=BB54_7 Depth=1
	s_or_b32 exec_lo, exec_lo, s19
	v_add_nc_u32_e32 v8, s1, v8
	s_delay_alu instid0(VALU_DEP_1) | instskip(SKIP_1) | instid1(SALU_CYCLE_1)
	v_cmp_le_i32_e32 vcc_lo, s13, v8
	s_or_b32 s18, vcc_lo, s18
	s_and_not1_b32 exec_lo, exec_lo, s18
	s_cbranch_execz .LBB54_10
.LBB54_7:                               ; =>This Loop Header: Depth=1
                                        ;     Child Loop BB54_9 Depth 2
	s_clause 0x1
	global_load_b64 v[10:11], v8, s[4:5] scale_offset
	global_load_b64 v[12:13], v8, s[14:15] scale_offset
	s_mov_b32 s19, exec_lo
	s_wait_loadcnt 0x1
	v_sub_nc_u64_e64 v[10:11], v[10:11], s[2:3]
	s_wait_loadcnt 0x0
	v_add_nc_u64_e32 v[12:13], v[12:13], v[6:7]
	s_wait_xcnt 0x0
	s_delay_alu instid0(VALU_DEP_1)
	v_cmpx_lt_i64_e64 v[12:13], v[10:11]
	s_cbranch_execz .LBB54_6
; %bb.8:                                ;   in Loop: Header=BB54_7 Depth=1
	v_ashrrev_i32_e32 v9, 31, v8
	v_lshl_add_u64 v[16:17], v[12:13], 2, s[6:7]
	v_lshl_add_u64 v[18:19], v[12:13], 3, s[8:9]
	s_mov_b32 s20, 0
	s_delay_alu instid0(VALU_DEP_3)
	v_lshl_add_u64 v[14:15], v[8:9], 3, s[10:11]
	global_load_b64 v[14:15], v[14:15], off
	s_wait_loadcnt 0x0
	s_wait_xcnt 0x0
	v_mul_f64_e32 v[14:15], v[2:3], v[14:15]
.LBB54_9:                               ;   Parent Loop BB54_7 Depth=1
                                        ; =>  This Inner Loop Header: Depth=2
	global_load_b64 v[20:21], v[18:19], off
	global_load_b32 v1, v[16:17], off
	v_add_nc_u64_e32 v[12:13], 64, v[12:13]
	s_wait_xcnt 0x0
	v_add_nc_u64_e32 v[16:17], 0x100, v[16:17]
	v_add_nc_u64_e32 v[18:19], 0x200, v[18:19]
	s_delay_alu instid0(VALU_DEP_3)
	v_cmp_ge_i64_e32 vcc_lo, v[12:13], v[10:11]
	s_or_b32 s20, vcc_lo, s20
	s_wait_loadcnt 0x1
	v_mul_f64_e32 v[20:21], v[14:15], v[20:21]
	s_wait_loadcnt 0x0
	v_subrev_nc_u32_e32 v1, s2, v1
	global_atomic_add_f64 v1, v[20:21], s[16:17] scale_offset scope:SCOPE_DEV
	s_wait_xcnt 0x0
	s_and_not1_b32 exec_lo, exec_lo, s20
	s_cbranch_execnz .LBB54_9
	s_branch .LBB54_6
.LBB54_10:
	s_or_b32 exec_lo, exec_lo, s12
	s_mov_b32 s3, 0
.LBB54_11:
	s_delay_alu instid0(SALU_CYCLE_1)
	s_and_not1_b32 vcc_lo, exec_lo, s3
	s_cbranch_vccnz .LBB54_20
; %bb.12:
	s_and_b32 exec_lo, exec_lo, s0
	s_cbranch_execz .LBB54_20
; %bb.13:
	v_mov_b32_e32 v1, 0
	s_mov_b32 s3, 0
	s_delay_alu instid0(SALU_CYCLE_1) | instskip(NEXT) | instid1(VALU_DEP_1)
	s_mov_b32 s0, s3
	v_sub_nc_u64_e64 v[0:1], v[0:1], s[2:3]
	s_branch .LBB54_15
.LBB54_14:                              ;   in Loop: Header=BB54_15 Depth=1
	s_or_b32 exec_lo, exec_lo, s12
	v_add_nc_u32_e32 v4, s1, v4
	s_delay_alu instid0(VALU_DEP_1) | instskip(SKIP_1) | instid1(SALU_CYCLE_1)
	v_cmp_le_i32_e32 vcc_lo, s13, v4
	s_or_b32 s0, vcc_lo, s0
	s_and_not1_b32 exec_lo, exec_lo, s0
	s_cbranch_execz .LBB54_20
.LBB54_15:                              ; =>This Loop Header: Depth=1
                                        ;     Child Loop BB54_18 Depth 2
	s_clause 0x1
	global_load_b64 v[6:7], v4, s[4:5] scale_offset
	global_load_b64 v[8:9], v4, s[14:15] scale_offset
	s_mov_b32 s12, exec_lo
	s_wait_loadcnt 0x1
	v_sub_nc_u64_e64 v[6:7], v[6:7], s[2:3]
	s_wait_loadcnt 0x0
	v_add_nc_u64_e32 v[8:9], v[8:9], v[0:1]
	s_wait_xcnt 0x0
	s_delay_alu instid0(VALU_DEP_1)
	v_cmpx_lt_i64_e64 v[8:9], v[6:7]
	s_cbranch_execz .LBB54_14
; %bb.16:                               ;   in Loop: Header=BB54_15 Depth=1
	v_ashrrev_i32_e32 v5, 31, v4
	v_lshl_add_u64 v[12:13], v[8:9], 2, s[6:7]
	v_lshl_add_u64 v[14:15], v[8:9], 3, s[8:9]
	s_mov_b32 s18, 0
	s_delay_alu instid0(VALU_DEP_3)
	v_lshl_add_u64 v[10:11], v[4:5], 3, s[10:11]
	global_load_b64 v[10:11], v[10:11], off
	s_wait_loadcnt 0x0
	v_mul_f64_e32 v[10:11], v[2:3], v[10:11]
	s_branch .LBB54_18
.LBB54_17:                              ;   in Loop: Header=BB54_18 Depth=2
	s_wait_xcnt 0x0
	s_or_b32 exec_lo, exec_lo, s19
	v_add_nc_u64_e32 v[8:9], 64, v[8:9]
	v_add_nc_u64_e32 v[12:13], 0x100, v[12:13]
	;; [unrolled: 1-line block ×3, first 2 shown]
	s_delay_alu instid0(VALU_DEP_3) | instskip(SKIP_1) | instid1(SALU_CYCLE_1)
	v_cmp_ge_i64_e32 vcc_lo, v[8:9], v[6:7]
	s_or_b32 s18, vcc_lo, s18
	s_and_not1_b32 exec_lo, exec_lo, s18
	s_cbranch_execz .LBB54_14
.LBB54_18:                              ;   Parent Loop BB54_15 Depth=1
                                        ; =>  This Inner Loop Header: Depth=2
	global_load_b32 v5, v[12:13], off
	s_mov_b32 s19, exec_lo
	s_wait_loadcnt 0x0
	v_subrev_nc_u32_e32 v5, s2, v5
	s_wait_xcnt 0x0
	s_delay_alu instid0(VALU_DEP_1)
	v_cmpx_ne_u32_e64 v5, v4
	s_cbranch_execz .LBB54_17
; %bb.19:                               ;   in Loop: Header=BB54_18 Depth=2
	global_load_b64 v[16:17], v[14:15], off
	s_wait_loadcnt 0x0
	v_mul_f64_e32 v[16:17], v[10:11], v[16:17]
	s_wait_xcnt 0x0
	global_atomic_add_f64 v5, v[16:17], s[16:17] scale_offset scope:SCOPE_DEV
	s_branch .LBB54_17
.LBB54_20:
	s_endpgm
	.section	.rodata,"a",@progbits
	.p2align	6, 0x0
	.amdhsa_kernel _ZN9rocsparseL21csrmvt_general_kernelILj256ELj64EliddddEEvbbT2_NS_24const_host_device_scalarIT6_EEPKT1_S7_PKS1_PKT3_PKT4_PT5_21rocsparse_index_base_b
		.amdhsa_group_segment_fixed_size 0
		.amdhsa_private_segment_fixed_size 0
		.amdhsa_kernarg_size 328
		.amdhsa_user_sgpr_count 2
		.amdhsa_user_sgpr_dispatch_ptr 0
		.amdhsa_user_sgpr_queue_ptr 0
		.amdhsa_user_sgpr_kernarg_segment_ptr 1
		.amdhsa_user_sgpr_dispatch_id 0
		.amdhsa_user_sgpr_kernarg_preload_length 0
		.amdhsa_user_sgpr_kernarg_preload_offset 0
		.amdhsa_user_sgpr_private_segment_size 0
		.amdhsa_wavefront_size32 1
		.amdhsa_uses_dynamic_stack 0
		.amdhsa_enable_private_segment 0
		.amdhsa_system_sgpr_workgroup_id_x 1
		.amdhsa_system_sgpr_workgroup_id_y 0
		.amdhsa_system_sgpr_workgroup_id_z 0
		.amdhsa_system_sgpr_workgroup_info 0
		.amdhsa_system_vgpr_workitem_id 0
		.amdhsa_next_free_vgpr 22
		.amdhsa_next_free_sgpr 21
		.amdhsa_named_barrier_count 0
		.amdhsa_reserve_vcc 1
		.amdhsa_float_round_mode_32 0
		.amdhsa_float_round_mode_16_64 0
		.amdhsa_float_denorm_mode_32 3
		.amdhsa_float_denorm_mode_16_64 3
		.amdhsa_fp16_overflow 0
		.amdhsa_memory_ordered 1
		.amdhsa_forward_progress 1
		.amdhsa_inst_pref_size 7
		.amdhsa_round_robin_scheduling 0
		.amdhsa_exception_fp_ieee_invalid_op 0
		.amdhsa_exception_fp_denorm_src 0
		.amdhsa_exception_fp_ieee_div_zero 0
		.amdhsa_exception_fp_ieee_overflow 0
		.amdhsa_exception_fp_ieee_underflow 0
		.amdhsa_exception_fp_ieee_inexact 0
		.amdhsa_exception_int_div_zero 0
	.end_amdhsa_kernel
	.section	.text._ZN9rocsparseL21csrmvt_general_kernelILj256ELj64EliddddEEvbbT2_NS_24const_host_device_scalarIT6_EEPKT1_S7_PKS1_PKT3_PKT4_PT5_21rocsparse_index_base_b,"axG",@progbits,_ZN9rocsparseL21csrmvt_general_kernelILj256ELj64EliddddEEvbbT2_NS_24const_host_device_scalarIT6_EEPKT1_S7_PKS1_PKT3_PKT4_PT5_21rocsparse_index_base_b,comdat
.Lfunc_end54:
	.size	_ZN9rocsparseL21csrmvt_general_kernelILj256ELj64EliddddEEvbbT2_NS_24const_host_device_scalarIT6_EEPKT1_S7_PKS1_PKT3_PKT4_PT5_21rocsparse_index_base_b, .Lfunc_end54-_ZN9rocsparseL21csrmvt_general_kernelILj256ELj64EliddddEEvbbT2_NS_24const_host_device_scalarIT6_EEPKT1_S7_PKS1_PKT3_PKT4_PT5_21rocsparse_index_base_b
                                        ; -- End function
	.set _ZN9rocsparseL21csrmvt_general_kernelILj256ELj64EliddddEEvbbT2_NS_24const_host_device_scalarIT6_EEPKT1_S7_PKS1_PKT3_PKT4_PT5_21rocsparse_index_base_b.num_vgpr, 22
	.set _ZN9rocsparseL21csrmvt_general_kernelILj256ELj64EliddddEEvbbT2_NS_24const_host_device_scalarIT6_EEPKT1_S7_PKS1_PKT3_PKT4_PT5_21rocsparse_index_base_b.num_agpr, 0
	.set _ZN9rocsparseL21csrmvt_general_kernelILj256ELj64EliddddEEvbbT2_NS_24const_host_device_scalarIT6_EEPKT1_S7_PKS1_PKT3_PKT4_PT5_21rocsparse_index_base_b.numbered_sgpr, 21
	.set _ZN9rocsparseL21csrmvt_general_kernelILj256ELj64EliddddEEvbbT2_NS_24const_host_device_scalarIT6_EEPKT1_S7_PKS1_PKT3_PKT4_PT5_21rocsparse_index_base_b.num_named_barrier, 0
	.set _ZN9rocsparseL21csrmvt_general_kernelILj256ELj64EliddddEEvbbT2_NS_24const_host_device_scalarIT6_EEPKT1_S7_PKS1_PKT3_PKT4_PT5_21rocsparse_index_base_b.private_seg_size, 0
	.set _ZN9rocsparseL21csrmvt_general_kernelILj256ELj64EliddddEEvbbT2_NS_24const_host_device_scalarIT6_EEPKT1_S7_PKS1_PKT3_PKT4_PT5_21rocsparse_index_base_b.uses_vcc, 1
	.set _ZN9rocsparseL21csrmvt_general_kernelILj256ELj64EliddddEEvbbT2_NS_24const_host_device_scalarIT6_EEPKT1_S7_PKS1_PKT3_PKT4_PT5_21rocsparse_index_base_b.uses_flat_scratch, 0
	.set _ZN9rocsparseL21csrmvt_general_kernelILj256ELj64EliddddEEvbbT2_NS_24const_host_device_scalarIT6_EEPKT1_S7_PKS1_PKT3_PKT4_PT5_21rocsparse_index_base_b.has_dyn_sized_stack, 0
	.set _ZN9rocsparseL21csrmvt_general_kernelILj256ELj64EliddddEEvbbT2_NS_24const_host_device_scalarIT6_EEPKT1_S7_PKS1_PKT3_PKT4_PT5_21rocsparse_index_base_b.has_recursion, 0
	.set _ZN9rocsparseL21csrmvt_general_kernelILj256ELj64EliddddEEvbbT2_NS_24const_host_device_scalarIT6_EEPKT1_S7_PKS1_PKT3_PKT4_PT5_21rocsparse_index_base_b.has_indirect_call, 0
	.section	.AMDGPU.csdata,"",@progbits
; Kernel info:
; codeLenInByte = 876
; TotalNumSgprs: 23
; NumVgprs: 22
; ScratchSize: 0
; MemoryBound: 0
; FloatMode: 240
; IeeeMode: 1
; LDSByteSize: 0 bytes/workgroup (compile time only)
; SGPRBlocks: 0
; VGPRBlocks: 1
; NumSGPRsForWavesPerEU: 23
; NumVGPRsForWavesPerEU: 22
; NamedBarCnt: 0
; Occupancy: 16
; WaveLimiterHint : 1
; COMPUTE_PGM_RSRC2:SCRATCH_EN: 0
; COMPUTE_PGM_RSRC2:USER_SGPR: 2
; COMPUTE_PGM_RSRC2:TRAP_HANDLER: 0
; COMPUTE_PGM_RSRC2:TGID_X_EN: 1
; COMPUTE_PGM_RSRC2:TGID_Y_EN: 0
; COMPUTE_PGM_RSRC2:TGID_Z_EN: 0
; COMPUTE_PGM_RSRC2:TIDIG_COMP_CNT: 0
	.section	.text._ZN9rocsparseL21csrmvn_general_kernelILj256ELj2EllddddEEvbT2_NS_24const_host_device_scalarIT6_EEPKT1_S7_PKS1_PKT3_PKT4_S4_PT5_21rocsparse_index_base_b,"axG",@progbits,_ZN9rocsparseL21csrmvn_general_kernelILj256ELj2EllddddEEvbT2_NS_24const_host_device_scalarIT6_EEPKT1_S7_PKS1_PKT3_PKT4_S4_PT5_21rocsparse_index_base_b,comdat
	.globl	_ZN9rocsparseL21csrmvn_general_kernelILj256ELj2EllddddEEvbT2_NS_24const_host_device_scalarIT6_EEPKT1_S7_PKS1_PKT3_PKT4_S4_PT5_21rocsparse_index_base_b ; -- Begin function _ZN9rocsparseL21csrmvn_general_kernelILj256ELj2EllddddEEvbT2_NS_24const_host_device_scalarIT6_EEPKT1_S7_PKS1_PKT3_PKT4_S4_PT5_21rocsparse_index_base_b
	.p2align	8
	.type	_ZN9rocsparseL21csrmvn_general_kernelILj256ELj2EllddddEEvbT2_NS_24const_host_device_scalarIT6_EEPKT1_S7_PKS1_PKT3_PKT4_S4_PT5_21rocsparse_index_base_b,@function
_ZN9rocsparseL21csrmvn_general_kernelILj256ELj2EllddddEEvbT2_NS_24const_host_device_scalarIT6_EEPKT1_S7_PKS1_PKT3_PKT4_S4_PT5_21rocsparse_index_base_b: ; @_ZN9rocsparseL21csrmvn_general_kernelILj256ELj2EllddddEEvbT2_NS_24const_host_device_scalarIT6_EEPKT1_S7_PKS1_PKT3_PKT4_S4_PT5_21rocsparse_index_base_b
; %bb.0:
	s_clause 0x2
	s_load_b64 s[16:17], s[0:1], 0x50
	s_load_b256 s[4:11], s[0:1], 0x8
	s_load_b64 s[2:3], s[0:1], 0x40
	s_wait_kmcnt 0x0
	s_bitcmp1_b32 s17, 0
	v_mov_b64_e32 v[2:3], s[6:7]
	s_cselect_b32 s12, -1, 0
	s_delay_alu instid0(SALU_CYCLE_1)
	s_and_b32 vcc_lo, exec_lo, s12
	s_xor_b32 s12, s12, -1
	s_cbranch_vccnz .LBB55_2
; %bb.1:
	v_mov_b32_e32 v1, 0
	flat_load_b64 v[2:3], v1, s[6:7]
.LBB55_2:
	v_mov_b64_e32 v[4:5], s[2:3]
	s_and_not1_b32 vcc_lo, exec_lo, s12
	s_cbranch_vccnz .LBB55_4
; %bb.3:
	s_wait_xcnt 0x0
	v_mov_b32_e32 v1, 0
	flat_load_b64 v[4:5], v1, s[2:3]
.LBB55_4:
	s_wait_loadcnt_dscnt 0x0
	v_cmp_neq_f64_e32 vcc_lo, 0, v[2:3]
	s_delay_alu instid0(VALU_DEP_2) | instskip(SKIP_1) | instid1(SALU_CYCLE_1)
	v_cmp_neq_f64_e64 s2, 1.0, v[4:5]
	s_or_b32 s2, vcc_lo, s2
	s_and_saveexec_b32 s3, s2
	s_cbranch_execz .LBB55_16
; %bb.5:
	s_bfe_u32 s2, ttmp6, 0x4000c
	s_and_b32 s3, ttmp6, 15
	s_add_co_i32 s2, s2, 1
	s_getreg_b32 s6, hwreg(HW_REG_IB_STS2, 6, 4)
	s_mul_i32 s2, ttmp9, s2
	v_mov_b32_e32 v7, 0
	s_add_co_i32 s3, s3, s2
	s_cmp_eq_u32 s6, 0
	s_cselect_b32 s2, ttmp9, s3
	s_mov_b32 s3, 0
	v_lshl_or_b32 v1, s2, 8, v0
	s_delay_alu instid0(VALU_DEP_1) | instskip(NEXT) | instid1(VALU_DEP_1)
	v_lshrrev_b32_e32 v6, 1, v1
	v_cmp_gt_i64_e32 vcc_lo, s[4:5], v[6:7]
	s_and_b32 exec_lo, exec_lo, vcc_lo
	s_cbranch_execz .LBB55_16
; %bb.6:
	v_mbcnt_lo_u32_b32 v1, -1, 0
	s_clause 0x3
	s_load_b32 s2, s[0:1], 0x58
	s_load_b64 s[18:19], s[0:1], 0x38
	s_load_b64 s[6:7], s[0:1], 0x48
	s_load_b128 s[12:15], s[0:1], 0x28
	s_mov_b32 s17, s3
	s_wait_xcnt 0x0
	s_ashr_i32 s1, s16, 31
	v_dual_mov_b32 v9, v7 :: v_dual_bitop2_b32 v10, 1, v1 bitop3:0x14
	v_cmp_neq_f64_e32 vcc_lo, 0, v[4:5]
	s_delay_alu instid0(VALU_DEP_2) | instskip(NEXT) | instid1(VALU_DEP_1)
	v_cmp_gt_i32_e64 s0, 32, v10
	v_dual_cndmask_b32 v10, v1, v10, s0 :: v_dual_bitop2_b32 v8, 1, v0 bitop3:0x40
	s_mov_b32 s0, s16
	s_delay_alu instid0(VALU_DEP_1)
	v_sub_nc_u64_e64 v[0:1], v[8:9], s[16:17]
	s_lshl_b64 s[20:21], s[0:1], 3
	v_cmp_eq_u32_e64 s0, 1, v8
	v_lshlrev_b32_e32 v18, 2, v10
	s_wait_kmcnt 0x0
	s_lshl_b32 s2, s2, 7
	s_sub_nc_u64 s[18:19], s[18:19], s[20:21]
	s_mov_b32 s20, s3
	s_branch .LBB55_9
.LBB55_7:                               ;   in Loop: Header=BB55_9 Depth=1
	s_wait_xcnt 0x0
	s_or_b32 exec_lo, exec_lo, s21
	global_store_b64 v[10:11], v[8:9], off
.LBB55_8:                               ;   in Loop: Header=BB55_9 Depth=1
	s_wait_xcnt 0x0
	s_or_b32 exec_lo, exec_lo, s1
	v_add_nc_u64_e32 v[6:7], s[2:3], v[6:7]
	s_delay_alu instid0(VALU_DEP_1) | instskip(SKIP_1) | instid1(SALU_CYCLE_1)
	v_cmp_le_i64_e64 s1, s[4:5], v[6:7]
	s_or_b32 s20, s1, s20
	s_and_not1_b32 exec_lo, exec_lo, s20
	s_cbranch_execz .LBB55_16
.LBB55_9:                               ; =>This Loop Header: Depth=1
                                        ;     Child Loop BB55_11 Depth 2
	v_lshlrev_b64_e32 v[8:9], 3, v[6:7]
	s_mov_b32 s21, exec_lo
	s_wait_dscnt 0x0
	s_delay_alu instid0(VALU_DEP_1)
	v_add_nc_u64_e32 v[10:11], s[10:11], v[8:9]
	v_add_nc_u64_e32 v[8:9], s[8:9], v[8:9]
	global_load_b64 v[12:13], v[10:11], off
	global_load_b64 v[14:15], v[8:9], off
	s_wait_xcnt 0x0
	v_mov_b64_e32 v[8:9], 0
	s_wait_loadcnt 0x1
	v_sub_nc_u64_e64 v[10:11], v[12:13], s[16:17]
	s_wait_loadcnt 0x0
	v_add_nc_u64_e32 v[12:13], v[14:15], v[0:1]
	s_delay_alu instid0(VALU_DEP_1)
	v_cmpx_lt_i64_e64 v[12:13], v[10:11]
	s_cbranch_execz .LBB55_13
; %bb.10:                               ;   in Loop: Header=BB55_9 Depth=1
	v_lshlrev_b64_e32 v[8:9], 3, v[12:13]
	s_mov_b32 s22, 0
	s_delay_alu instid0(VALU_DEP_1)
	v_add_nc_u64_e32 v[14:15], s[14:15], v[8:9]
	v_add_nc_u64_e32 v[16:17], s[12:13], v[8:9]
	v_mov_b64_e32 v[8:9], 0
.LBB55_11:                              ;   Parent Loop BB55_9 Depth=1
                                        ; =>  This Inner Loop Header: Depth=2
	global_load_b64 v[20:21], v[16:17], off
	global_load_b64 v[22:23], v[14:15], off
	v_add_nc_u64_e32 v[12:13], 2, v[12:13]
	s_wait_xcnt 0x0
	v_add_nc_u64_e32 v[14:15], 16, v[14:15]
	v_add_nc_u64_e32 v[16:17], 16, v[16:17]
	s_delay_alu instid0(VALU_DEP_3)
	v_cmp_ge_i64_e64 s1, v[12:13], v[10:11]
	s_or_b32 s22, s1, s22
	s_wait_loadcnt 0x1
	v_lshl_add_u64 v[20:21], v[20:21], 3, s[18:19]
	s_wait_loadcnt 0x0
	v_mul_f64_e32 v[22:23], v[2:3], v[22:23]
	global_load_b64 v[20:21], v[20:21], off
	s_wait_loadcnt 0x0
	v_fmac_f64_e32 v[8:9], v[22:23], v[20:21]
	s_wait_xcnt 0x0
	s_and_not1_b32 exec_lo, exec_lo, s22
	s_cbranch_execnz .LBB55_11
; %bb.12:                               ;   in Loop: Header=BB55_9 Depth=1
	s_or_b32 exec_lo, exec_lo, s22
.LBB55_13:                              ;   in Loop: Header=BB55_9 Depth=1
	s_delay_alu instid0(SALU_CYCLE_1)
	s_or_b32 exec_lo, exec_lo, s21
	ds_bpermute_b32 v10, v18, v8
	ds_bpermute_b32 v11, v18, v9
	s_and_saveexec_b32 s1, s0
	s_cbranch_execz .LBB55_8
; %bb.14:                               ;   in Loop: Header=BB55_9 Depth=1
	s_wait_dscnt 0x0
	v_add_f64_e32 v[8:9], v[8:9], v[10:11]
	v_lshl_add_u64 v[10:11], v[6:7], 3, s[6:7]
	s_and_saveexec_b32 s21, vcc_lo
	s_cbranch_execz .LBB55_7
; %bb.15:                               ;   in Loop: Header=BB55_9 Depth=1
	global_load_b64 v[12:13], v[10:11], off
	s_wait_loadcnt 0x0
	v_fmac_f64_e32 v[8:9], v[4:5], v[12:13]
	s_branch .LBB55_7
.LBB55_16:
	s_endpgm
	.section	.rodata,"a",@progbits
	.p2align	6, 0x0
	.amdhsa_kernel _ZN9rocsparseL21csrmvn_general_kernelILj256ELj2EllddddEEvbT2_NS_24const_host_device_scalarIT6_EEPKT1_S7_PKS1_PKT3_PKT4_S4_PT5_21rocsparse_index_base_b
		.amdhsa_group_segment_fixed_size 0
		.amdhsa_private_segment_fixed_size 0
		.amdhsa_kernarg_size 344
		.amdhsa_user_sgpr_count 2
		.amdhsa_user_sgpr_dispatch_ptr 0
		.amdhsa_user_sgpr_queue_ptr 0
		.amdhsa_user_sgpr_kernarg_segment_ptr 1
		.amdhsa_user_sgpr_dispatch_id 0
		.amdhsa_user_sgpr_kernarg_preload_length 0
		.amdhsa_user_sgpr_kernarg_preload_offset 0
		.amdhsa_user_sgpr_private_segment_size 0
		.amdhsa_wavefront_size32 1
		.amdhsa_uses_dynamic_stack 0
		.amdhsa_enable_private_segment 0
		.amdhsa_system_sgpr_workgroup_id_x 1
		.amdhsa_system_sgpr_workgroup_id_y 0
		.amdhsa_system_sgpr_workgroup_id_z 0
		.amdhsa_system_sgpr_workgroup_info 0
		.amdhsa_system_vgpr_workitem_id 0
		.amdhsa_next_free_vgpr 24
		.amdhsa_next_free_sgpr 23
		.amdhsa_named_barrier_count 0
		.amdhsa_reserve_vcc 1
		.amdhsa_float_round_mode_32 0
		.amdhsa_float_round_mode_16_64 0
		.amdhsa_float_denorm_mode_32 3
		.amdhsa_float_denorm_mode_16_64 3
		.amdhsa_fp16_overflow 0
		.amdhsa_memory_ordered 1
		.amdhsa_forward_progress 1
		.amdhsa_inst_pref_size 6
		.amdhsa_round_robin_scheduling 0
		.amdhsa_exception_fp_ieee_invalid_op 0
		.amdhsa_exception_fp_denorm_src 0
		.amdhsa_exception_fp_ieee_div_zero 0
		.amdhsa_exception_fp_ieee_overflow 0
		.amdhsa_exception_fp_ieee_underflow 0
		.amdhsa_exception_fp_ieee_inexact 0
		.amdhsa_exception_int_div_zero 0
	.end_amdhsa_kernel
	.section	.text._ZN9rocsparseL21csrmvn_general_kernelILj256ELj2EllddddEEvbT2_NS_24const_host_device_scalarIT6_EEPKT1_S7_PKS1_PKT3_PKT4_S4_PT5_21rocsparse_index_base_b,"axG",@progbits,_ZN9rocsparseL21csrmvn_general_kernelILj256ELj2EllddddEEvbT2_NS_24const_host_device_scalarIT6_EEPKT1_S7_PKS1_PKT3_PKT4_S4_PT5_21rocsparse_index_base_b,comdat
.Lfunc_end55:
	.size	_ZN9rocsparseL21csrmvn_general_kernelILj256ELj2EllddddEEvbT2_NS_24const_host_device_scalarIT6_EEPKT1_S7_PKS1_PKT3_PKT4_S4_PT5_21rocsparse_index_base_b, .Lfunc_end55-_ZN9rocsparseL21csrmvn_general_kernelILj256ELj2EllddddEEvbT2_NS_24const_host_device_scalarIT6_EEPKT1_S7_PKS1_PKT3_PKT4_S4_PT5_21rocsparse_index_base_b
                                        ; -- End function
	.set _ZN9rocsparseL21csrmvn_general_kernelILj256ELj2EllddddEEvbT2_NS_24const_host_device_scalarIT6_EEPKT1_S7_PKS1_PKT3_PKT4_S4_PT5_21rocsparse_index_base_b.num_vgpr, 24
	.set _ZN9rocsparseL21csrmvn_general_kernelILj256ELj2EllddddEEvbT2_NS_24const_host_device_scalarIT6_EEPKT1_S7_PKS1_PKT3_PKT4_S4_PT5_21rocsparse_index_base_b.num_agpr, 0
	.set _ZN9rocsparseL21csrmvn_general_kernelILj256ELj2EllddddEEvbT2_NS_24const_host_device_scalarIT6_EEPKT1_S7_PKS1_PKT3_PKT4_S4_PT5_21rocsparse_index_base_b.numbered_sgpr, 23
	.set _ZN9rocsparseL21csrmvn_general_kernelILj256ELj2EllddddEEvbT2_NS_24const_host_device_scalarIT6_EEPKT1_S7_PKS1_PKT3_PKT4_S4_PT5_21rocsparse_index_base_b.num_named_barrier, 0
	.set _ZN9rocsparseL21csrmvn_general_kernelILj256ELj2EllddddEEvbT2_NS_24const_host_device_scalarIT6_EEPKT1_S7_PKS1_PKT3_PKT4_S4_PT5_21rocsparse_index_base_b.private_seg_size, 0
	.set _ZN9rocsparseL21csrmvn_general_kernelILj256ELj2EllddddEEvbT2_NS_24const_host_device_scalarIT6_EEPKT1_S7_PKS1_PKT3_PKT4_S4_PT5_21rocsparse_index_base_b.uses_vcc, 1
	.set _ZN9rocsparseL21csrmvn_general_kernelILj256ELj2EllddddEEvbT2_NS_24const_host_device_scalarIT6_EEPKT1_S7_PKS1_PKT3_PKT4_S4_PT5_21rocsparse_index_base_b.uses_flat_scratch, 0
	.set _ZN9rocsparseL21csrmvn_general_kernelILj256ELj2EllddddEEvbT2_NS_24const_host_device_scalarIT6_EEPKT1_S7_PKS1_PKT3_PKT4_S4_PT5_21rocsparse_index_base_b.has_dyn_sized_stack, 0
	.set _ZN9rocsparseL21csrmvn_general_kernelILj256ELj2EllddddEEvbT2_NS_24const_host_device_scalarIT6_EEPKT1_S7_PKS1_PKT3_PKT4_S4_PT5_21rocsparse_index_base_b.has_recursion, 0
	.set _ZN9rocsparseL21csrmvn_general_kernelILj256ELj2EllddddEEvbT2_NS_24const_host_device_scalarIT6_EEPKT1_S7_PKS1_PKT3_PKT4_S4_PT5_21rocsparse_index_base_b.has_indirect_call, 0
	.section	.AMDGPU.csdata,"",@progbits
; Kernel info:
; codeLenInByte = 728
; TotalNumSgprs: 25
; NumVgprs: 24
; ScratchSize: 0
; MemoryBound: 1
; FloatMode: 240
; IeeeMode: 1
; LDSByteSize: 0 bytes/workgroup (compile time only)
; SGPRBlocks: 0
; VGPRBlocks: 1
; NumSGPRsForWavesPerEU: 25
; NumVGPRsForWavesPerEU: 24
; NamedBarCnt: 0
; Occupancy: 16
; WaveLimiterHint : 1
; COMPUTE_PGM_RSRC2:SCRATCH_EN: 0
; COMPUTE_PGM_RSRC2:USER_SGPR: 2
; COMPUTE_PGM_RSRC2:TRAP_HANDLER: 0
; COMPUTE_PGM_RSRC2:TGID_X_EN: 1
; COMPUTE_PGM_RSRC2:TGID_Y_EN: 0
; COMPUTE_PGM_RSRC2:TGID_Z_EN: 0
; COMPUTE_PGM_RSRC2:TIDIG_COMP_CNT: 0
	.section	.text._ZN9rocsparseL21csrmvn_general_kernelILj256ELj4EllddddEEvbT2_NS_24const_host_device_scalarIT6_EEPKT1_S7_PKS1_PKT3_PKT4_S4_PT5_21rocsparse_index_base_b,"axG",@progbits,_ZN9rocsparseL21csrmvn_general_kernelILj256ELj4EllddddEEvbT2_NS_24const_host_device_scalarIT6_EEPKT1_S7_PKS1_PKT3_PKT4_S4_PT5_21rocsparse_index_base_b,comdat
	.globl	_ZN9rocsparseL21csrmvn_general_kernelILj256ELj4EllddddEEvbT2_NS_24const_host_device_scalarIT6_EEPKT1_S7_PKS1_PKT3_PKT4_S4_PT5_21rocsparse_index_base_b ; -- Begin function _ZN9rocsparseL21csrmvn_general_kernelILj256ELj4EllddddEEvbT2_NS_24const_host_device_scalarIT6_EEPKT1_S7_PKS1_PKT3_PKT4_S4_PT5_21rocsparse_index_base_b
	.p2align	8
	.type	_ZN9rocsparseL21csrmvn_general_kernelILj256ELj4EllddddEEvbT2_NS_24const_host_device_scalarIT6_EEPKT1_S7_PKS1_PKT3_PKT4_S4_PT5_21rocsparse_index_base_b,@function
_ZN9rocsparseL21csrmvn_general_kernelILj256ELj4EllddddEEvbT2_NS_24const_host_device_scalarIT6_EEPKT1_S7_PKS1_PKT3_PKT4_S4_PT5_21rocsparse_index_base_b: ; @_ZN9rocsparseL21csrmvn_general_kernelILj256ELj4EllddddEEvbT2_NS_24const_host_device_scalarIT6_EEPKT1_S7_PKS1_PKT3_PKT4_S4_PT5_21rocsparse_index_base_b
; %bb.0:
	s_clause 0x2
	s_load_b64 s[16:17], s[0:1], 0x50
	s_load_b256 s[4:11], s[0:1], 0x8
	s_load_b64 s[2:3], s[0:1], 0x40
	s_wait_kmcnt 0x0
	s_bitcmp1_b32 s17, 0
	v_mov_b64_e32 v[2:3], s[6:7]
	s_cselect_b32 s12, -1, 0
	s_delay_alu instid0(SALU_CYCLE_1)
	s_and_b32 vcc_lo, exec_lo, s12
	s_xor_b32 s12, s12, -1
	s_cbranch_vccnz .LBB56_2
; %bb.1:
	v_mov_b32_e32 v1, 0
	flat_load_b64 v[2:3], v1, s[6:7]
.LBB56_2:
	v_mov_b64_e32 v[4:5], s[2:3]
	s_and_not1_b32 vcc_lo, exec_lo, s12
	s_cbranch_vccnz .LBB56_4
; %bb.3:
	s_wait_xcnt 0x0
	v_mov_b32_e32 v1, 0
	flat_load_b64 v[4:5], v1, s[2:3]
.LBB56_4:
	s_wait_loadcnt_dscnt 0x0
	v_cmp_neq_f64_e32 vcc_lo, 0, v[2:3]
	s_delay_alu instid0(VALU_DEP_2) | instskip(SKIP_1) | instid1(SALU_CYCLE_1)
	v_cmp_neq_f64_e64 s2, 1.0, v[4:5]
	s_or_b32 s2, vcc_lo, s2
	s_and_saveexec_b32 s3, s2
	s_cbranch_execz .LBB56_16
; %bb.5:
	s_bfe_u32 s2, ttmp6, 0x4000c
	s_and_b32 s3, ttmp6, 15
	s_add_co_i32 s2, s2, 1
	s_getreg_b32 s6, hwreg(HW_REG_IB_STS2, 6, 4)
	s_mul_i32 s2, ttmp9, s2
	v_mov_b32_e32 v7, 0
	s_add_co_i32 s3, s3, s2
	s_cmp_eq_u32 s6, 0
	s_cselect_b32 s2, ttmp9, s3
	s_mov_b32 s3, 0
	v_lshl_or_b32 v1, s2, 8, v0
	s_delay_alu instid0(VALU_DEP_1) | instskip(NEXT) | instid1(VALU_DEP_1)
	v_lshrrev_b32_e32 v6, 2, v1
	v_cmp_gt_i64_e32 vcc_lo, s[4:5], v[6:7]
	s_and_b32 exec_lo, exec_lo, vcc_lo
	s_cbranch_execz .LBB56_16
; %bb.6:
	v_mbcnt_lo_u32_b32 v1, -1, 0
	v_dual_mov_b32 v9, v7 :: v_dual_bitop2_b32 v8, 3, v0 bitop3:0x40
	s_clause 0x3
	s_load_b32 s2, s[0:1], 0x58
	s_load_b64 s[18:19], s[0:1], 0x38
	s_load_b64 s[6:7], s[0:1], 0x48
	s_load_b128 s[12:15], s[0:1], 0x28
	v_xor_b32_e32 v10, 1, v1
	v_xor_b32_e32 v0, 2, v1
	s_mov_b32 s17, s3
	s_wait_xcnt 0x0
	s_ashr_i32 s1, s16, 31
	v_cmp_neq_f64_e32 vcc_lo, 0, v[4:5]
	v_cmp_gt_i32_e64 s0, 32, v0
	s_delay_alu instid0(VALU_DEP_1) | instskip(SKIP_1) | instid1(VALU_DEP_1)
	v_cndmask_b32_e64 v11, v1, v0, s0
	v_cmp_gt_i32_e64 s0, 32, v10
	v_cndmask_b32_e64 v10, v1, v10, s0
	s_mov_b32 s0, s16
	v_sub_nc_u64_e64 v[0:1], v[8:9], s[16:17]
	s_lshl_b64 s[20:21], s[0:1], 3
	s_delay_alu instid0(VALU_DEP_2)
	v_dual_lshlrev_b32 v18, 2, v11 :: v_dual_lshlrev_b32 v19, 2, v10
	v_cmp_eq_u32_e64 s0, 3, v8
	s_wait_kmcnt 0x0
	s_lshl_b32 s2, s2, 6
	s_sub_nc_u64 s[18:19], s[18:19], s[20:21]
	s_mov_b32 s20, s3
	s_branch .LBB56_9
.LBB56_7:                               ;   in Loop: Header=BB56_9 Depth=1
	s_wait_xcnt 0x0
	s_or_b32 exec_lo, exec_lo, s21
	global_store_b64 v[10:11], v[8:9], off
.LBB56_8:                               ;   in Loop: Header=BB56_9 Depth=1
	s_wait_xcnt 0x0
	s_or_b32 exec_lo, exec_lo, s1
	v_add_nc_u64_e32 v[6:7], s[2:3], v[6:7]
	s_delay_alu instid0(VALU_DEP_1) | instskip(SKIP_1) | instid1(SALU_CYCLE_1)
	v_cmp_le_i64_e64 s1, s[4:5], v[6:7]
	s_or_b32 s20, s1, s20
	s_and_not1_b32 exec_lo, exec_lo, s20
	s_cbranch_execz .LBB56_16
.LBB56_9:                               ; =>This Loop Header: Depth=1
                                        ;     Child Loop BB56_11 Depth 2
	v_lshlrev_b64_e32 v[8:9], 3, v[6:7]
	s_mov_b32 s21, exec_lo
	s_wait_dscnt 0x0
	s_delay_alu instid0(VALU_DEP_1)
	v_add_nc_u64_e32 v[10:11], s[10:11], v[8:9]
	v_add_nc_u64_e32 v[8:9], s[8:9], v[8:9]
	global_load_b64 v[12:13], v[10:11], off
	global_load_b64 v[14:15], v[8:9], off
	s_wait_xcnt 0x0
	v_mov_b64_e32 v[8:9], 0
	s_wait_loadcnt 0x1
	v_sub_nc_u64_e64 v[10:11], v[12:13], s[16:17]
	s_wait_loadcnt 0x0
	v_add_nc_u64_e32 v[12:13], v[14:15], v[0:1]
	s_delay_alu instid0(VALU_DEP_1)
	v_cmpx_lt_i64_e64 v[12:13], v[10:11]
	s_cbranch_execz .LBB56_13
; %bb.10:                               ;   in Loop: Header=BB56_9 Depth=1
	v_lshlrev_b64_e32 v[8:9], 3, v[12:13]
	s_mov_b32 s22, 0
	s_delay_alu instid0(VALU_DEP_1)
	v_add_nc_u64_e32 v[14:15], s[14:15], v[8:9]
	v_add_nc_u64_e32 v[16:17], s[12:13], v[8:9]
	v_mov_b64_e32 v[8:9], 0
.LBB56_11:                              ;   Parent Loop BB56_9 Depth=1
                                        ; =>  This Inner Loop Header: Depth=2
	global_load_b64 v[20:21], v[16:17], off
	global_load_b64 v[22:23], v[14:15], off
	v_add_nc_u64_e32 v[12:13], 4, v[12:13]
	s_wait_xcnt 0x0
	v_add_nc_u64_e32 v[14:15], 32, v[14:15]
	v_add_nc_u64_e32 v[16:17], 32, v[16:17]
	s_delay_alu instid0(VALU_DEP_3)
	v_cmp_ge_i64_e64 s1, v[12:13], v[10:11]
	s_or_b32 s22, s1, s22
	s_wait_loadcnt 0x1
	v_lshl_add_u64 v[20:21], v[20:21], 3, s[18:19]
	s_wait_loadcnt 0x0
	v_mul_f64_e32 v[22:23], v[2:3], v[22:23]
	global_load_b64 v[20:21], v[20:21], off
	s_wait_loadcnt 0x0
	v_fmac_f64_e32 v[8:9], v[22:23], v[20:21]
	s_wait_xcnt 0x0
	s_and_not1_b32 exec_lo, exec_lo, s22
	s_cbranch_execnz .LBB56_11
; %bb.12:                               ;   in Loop: Header=BB56_9 Depth=1
	s_or_b32 exec_lo, exec_lo, s22
.LBB56_13:                              ;   in Loop: Header=BB56_9 Depth=1
	s_delay_alu instid0(SALU_CYCLE_1)
	s_or_b32 exec_lo, exec_lo, s21
	ds_bpermute_b32 v10, v18, v8
	ds_bpermute_b32 v11, v18, v9
	s_wait_dscnt 0x0
	v_add_f64_e32 v[8:9], v[8:9], v[10:11]
	ds_bpermute_b32 v10, v19, v8
	ds_bpermute_b32 v11, v19, v9
	s_and_saveexec_b32 s1, s0
	s_cbranch_execz .LBB56_8
; %bb.14:                               ;   in Loop: Header=BB56_9 Depth=1
	s_wait_dscnt 0x0
	v_add_f64_e32 v[8:9], v[8:9], v[10:11]
	v_lshl_add_u64 v[10:11], v[6:7], 3, s[6:7]
	s_and_saveexec_b32 s21, vcc_lo
	s_cbranch_execz .LBB56_7
; %bb.15:                               ;   in Loop: Header=BB56_9 Depth=1
	global_load_b64 v[12:13], v[10:11], off
	s_wait_loadcnt 0x0
	v_fmac_f64_e32 v[8:9], v[4:5], v[12:13]
	s_branch .LBB56_7
.LBB56_16:
	s_endpgm
	.section	.rodata,"a",@progbits
	.p2align	6, 0x0
	.amdhsa_kernel _ZN9rocsparseL21csrmvn_general_kernelILj256ELj4EllddddEEvbT2_NS_24const_host_device_scalarIT6_EEPKT1_S7_PKS1_PKT3_PKT4_S4_PT5_21rocsparse_index_base_b
		.amdhsa_group_segment_fixed_size 0
		.amdhsa_private_segment_fixed_size 0
		.amdhsa_kernarg_size 344
		.amdhsa_user_sgpr_count 2
		.amdhsa_user_sgpr_dispatch_ptr 0
		.amdhsa_user_sgpr_queue_ptr 0
		.amdhsa_user_sgpr_kernarg_segment_ptr 1
		.amdhsa_user_sgpr_dispatch_id 0
		.amdhsa_user_sgpr_kernarg_preload_length 0
		.amdhsa_user_sgpr_kernarg_preload_offset 0
		.amdhsa_user_sgpr_private_segment_size 0
		.amdhsa_wavefront_size32 1
		.amdhsa_uses_dynamic_stack 0
		.amdhsa_enable_private_segment 0
		.amdhsa_system_sgpr_workgroup_id_x 1
		.amdhsa_system_sgpr_workgroup_id_y 0
		.amdhsa_system_sgpr_workgroup_id_z 0
		.amdhsa_system_sgpr_workgroup_info 0
		.amdhsa_system_vgpr_workitem_id 0
		.amdhsa_next_free_vgpr 24
		.amdhsa_next_free_sgpr 23
		.amdhsa_named_barrier_count 0
		.amdhsa_reserve_vcc 1
		.amdhsa_float_round_mode_32 0
		.amdhsa_float_round_mode_16_64 0
		.amdhsa_float_denorm_mode_32 3
		.amdhsa_float_denorm_mode_16_64 3
		.amdhsa_fp16_overflow 0
		.amdhsa_memory_ordered 1
		.amdhsa_forward_progress 1
		.amdhsa_inst_pref_size 7
		.amdhsa_round_robin_scheduling 0
		.amdhsa_exception_fp_ieee_invalid_op 0
		.amdhsa_exception_fp_denorm_src 0
		.amdhsa_exception_fp_ieee_div_zero 0
		.amdhsa_exception_fp_ieee_overflow 0
		.amdhsa_exception_fp_ieee_underflow 0
		.amdhsa_exception_fp_ieee_inexact 0
		.amdhsa_exception_int_div_zero 0
	.end_amdhsa_kernel
	.section	.text._ZN9rocsparseL21csrmvn_general_kernelILj256ELj4EllddddEEvbT2_NS_24const_host_device_scalarIT6_EEPKT1_S7_PKS1_PKT3_PKT4_S4_PT5_21rocsparse_index_base_b,"axG",@progbits,_ZN9rocsparseL21csrmvn_general_kernelILj256ELj4EllddddEEvbT2_NS_24const_host_device_scalarIT6_EEPKT1_S7_PKS1_PKT3_PKT4_S4_PT5_21rocsparse_index_base_b,comdat
.Lfunc_end56:
	.size	_ZN9rocsparseL21csrmvn_general_kernelILj256ELj4EllddddEEvbT2_NS_24const_host_device_scalarIT6_EEPKT1_S7_PKS1_PKT3_PKT4_S4_PT5_21rocsparse_index_base_b, .Lfunc_end56-_ZN9rocsparseL21csrmvn_general_kernelILj256ELj4EllddddEEvbT2_NS_24const_host_device_scalarIT6_EEPKT1_S7_PKS1_PKT3_PKT4_S4_PT5_21rocsparse_index_base_b
                                        ; -- End function
	.set _ZN9rocsparseL21csrmvn_general_kernelILj256ELj4EllddddEEvbT2_NS_24const_host_device_scalarIT6_EEPKT1_S7_PKS1_PKT3_PKT4_S4_PT5_21rocsparse_index_base_b.num_vgpr, 24
	.set _ZN9rocsparseL21csrmvn_general_kernelILj256ELj4EllddddEEvbT2_NS_24const_host_device_scalarIT6_EEPKT1_S7_PKS1_PKT3_PKT4_S4_PT5_21rocsparse_index_base_b.num_agpr, 0
	.set _ZN9rocsparseL21csrmvn_general_kernelILj256ELj4EllddddEEvbT2_NS_24const_host_device_scalarIT6_EEPKT1_S7_PKS1_PKT3_PKT4_S4_PT5_21rocsparse_index_base_b.numbered_sgpr, 23
	.set _ZN9rocsparseL21csrmvn_general_kernelILj256ELj4EllddddEEvbT2_NS_24const_host_device_scalarIT6_EEPKT1_S7_PKS1_PKT3_PKT4_S4_PT5_21rocsparse_index_base_b.num_named_barrier, 0
	.set _ZN9rocsparseL21csrmvn_general_kernelILj256ELj4EllddddEEvbT2_NS_24const_host_device_scalarIT6_EEPKT1_S7_PKS1_PKT3_PKT4_S4_PT5_21rocsparse_index_base_b.private_seg_size, 0
	.set _ZN9rocsparseL21csrmvn_general_kernelILj256ELj4EllddddEEvbT2_NS_24const_host_device_scalarIT6_EEPKT1_S7_PKS1_PKT3_PKT4_S4_PT5_21rocsparse_index_base_b.uses_vcc, 1
	.set _ZN9rocsparseL21csrmvn_general_kernelILj256ELj4EllddddEEvbT2_NS_24const_host_device_scalarIT6_EEPKT1_S7_PKS1_PKT3_PKT4_S4_PT5_21rocsparse_index_base_b.uses_flat_scratch, 0
	.set _ZN9rocsparseL21csrmvn_general_kernelILj256ELj4EllddddEEvbT2_NS_24const_host_device_scalarIT6_EEPKT1_S7_PKS1_PKT3_PKT4_S4_PT5_21rocsparse_index_base_b.has_dyn_sized_stack, 0
	.set _ZN9rocsparseL21csrmvn_general_kernelILj256ELj4EllddddEEvbT2_NS_24const_host_device_scalarIT6_EEPKT1_S7_PKS1_PKT3_PKT4_S4_PT5_21rocsparse_index_base_b.has_recursion, 0
	.set _ZN9rocsparseL21csrmvn_general_kernelILj256ELj4EllddddEEvbT2_NS_24const_host_device_scalarIT6_EEPKT1_S7_PKS1_PKT3_PKT4_S4_PT5_21rocsparse_index_base_b.has_indirect_call, 0
	.section	.AMDGPU.csdata,"",@progbits
; Kernel info:
; codeLenInByte = 780
; TotalNumSgprs: 25
; NumVgprs: 24
; ScratchSize: 0
; MemoryBound: 1
; FloatMode: 240
; IeeeMode: 1
; LDSByteSize: 0 bytes/workgroup (compile time only)
; SGPRBlocks: 0
; VGPRBlocks: 1
; NumSGPRsForWavesPerEU: 25
; NumVGPRsForWavesPerEU: 24
; NamedBarCnt: 0
; Occupancy: 16
; WaveLimiterHint : 1
; COMPUTE_PGM_RSRC2:SCRATCH_EN: 0
; COMPUTE_PGM_RSRC2:USER_SGPR: 2
; COMPUTE_PGM_RSRC2:TRAP_HANDLER: 0
; COMPUTE_PGM_RSRC2:TGID_X_EN: 1
; COMPUTE_PGM_RSRC2:TGID_Y_EN: 0
; COMPUTE_PGM_RSRC2:TGID_Z_EN: 0
; COMPUTE_PGM_RSRC2:TIDIG_COMP_CNT: 0
	.section	.text._ZN9rocsparseL21csrmvn_general_kernelILj256ELj8EllddddEEvbT2_NS_24const_host_device_scalarIT6_EEPKT1_S7_PKS1_PKT3_PKT4_S4_PT5_21rocsparse_index_base_b,"axG",@progbits,_ZN9rocsparseL21csrmvn_general_kernelILj256ELj8EllddddEEvbT2_NS_24const_host_device_scalarIT6_EEPKT1_S7_PKS1_PKT3_PKT4_S4_PT5_21rocsparse_index_base_b,comdat
	.globl	_ZN9rocsparseL21csrmvn_general_kernelILj256ELj8EllddddEEvbT2_NS_24const_host_device_scalarIT6_EEPKT1_S7_PKS1_PKT3_PKT4_S4_PT5_21rocsparse_index_base_b ; -- Begin function _ZN9rocsparseL21csrmvn_general_kernelILj256ELj8EllddddEEvbT2_NS_24const_host_device_scalarIT6_EEPKT1_S7_PKS1_PKT3_PKT4_S4_PT5_21rocsparse_index_base_b
	.p2align	8
	.type	_ZN9rocsparseL21csrmvn_general_kernelILj256ELj8EllddddEEvbT2_NS_24const_host_device_scalarIT6_EEPKT1_S7_PKS1_PKT3_PKT4_S4_PT5_21rocsparse_index_base_b,@function
_ZN9rocsparseL21csrmvn_general_kernelILj256ELj8EllddddEEvbT2_NS_24const_host_device_scalarIT6_EEPKT1_S7_PKS1_PKT3_PKT4_S4_PT5_21rocsparse_index_base_b: ; @_ZN9rocsparseL21csrmvn_general_kernelILj256ELj8EllddddEEvbT2_NS_24const_host_device_scalarIT6_EEPKT1_S7_PKS1_PKT3_PKT4_S4_PT5_21rocsparse_index_base_b
; %bb.0:
	s_clause 0x2
	s_load_b64 s[16:17], s[0:1], 0x50
	s_load_b256 s[4:11], s[0:1], 0x8
	s_load_b64 s[2:3], s[0:1], 0x40
	s_wait_kmcnt 0x0
	s_bitcmp1_b32 s17, 0
	v_mov_b64_e32 v[2:3], s[6:7]
	s_cselect_b32 s12, -1, 0
	s_delay_alu instid0(SALU_CYCLE_1)
	s_and_b32 vcc_lo, exec_lo, s12
	s_xor_b32 s12, s12, -1
	s_cbranch_vccnz .LBB57_2
; %bb.1:
	v_mov_b32_e32 v1, 0
	flat_load_b64 v[2:3], v1, s[6:7]
.LBB57_2:
	v_mov_b64_e32 v[4:5], s[2:3]
	s_and_not1_b32 vcc_lo, exec_lo, s12
	s_cbranch_vccnz .LBB57_4
; %bb.3:
	s_wait_xcnt 0x0
	v_mov_b32_e32 v1, 0
	flat_load_b64 v[4:5], v1, s[2:3]
.LBB57_4:
	s_wait_loadcnt_dscnt 0x0
	v_cmp_neq_f64_e32 vcc_lo, 0, v[2:3]
	s_delay_alu instid0(VALU_DEP_2) | instskip(SKIP_1) | instid1(SALU_CYCLE_1)
	v_cmp_neq_f64_e64 s2, 1.0, v[4:5]
	s_or_b32 s2, vcc_lo, s2
	s_and_saveexec_b32 s3, s2
	s_cbranch_execz .LBB57_16
; %bb.5:
	s_bfe_u32 s2, ttmp6, 0x4000c
	s_and_b32 s3, ttmp6, 15
	s_add_co_i32 s2, s2, 1
	s_getreg_b32 s6, hwreg(HW_REG_IB_STS2, 6, 4)
	s_mul_i32 s2, ttmp9, s2
	v_mov_b32_e32 v7, 0
	s_add_co_i32 s3, s3, s2
	s_cmp_eq_u32 s6, 0
	s_cselect_b32 s2, ttmp9, s3
	s_mov_b32 s3, 0
	v_lshl_or_b32 v1, s2, 8, v0
	s_delay_alu instid0(VALU_DEP_1) | instskip(NEXT) | instid1(VALU_DEP_1)
	v_lshrrev_b32_e32 v6, 3, v1
	v_cmp_gt_i64_e32 vcc_lo, s[4:5], v[6:7]
	s_and_b32 exec_lo, exec_lo, vcc_lo
	s_cbranch_execz .LBB57_16
; %bb.6:
	v_mbcnt_lo_u32_b32 v1, -1, 0
	v_dual_mov_b32 v9, v7 :: v_dual_bitop2_b32 v8, 7, v0 bitop3:0x40
	s_clause 0x3
	s_load_b128 s[12:15], s[0:1], 0x28
	s_load_b64 s[18:19], s[0:1], 0x38
	s_load_b64 s[6:7], s[0:1], 0x48
	s_load_b32 s2, s[0:1], 0x58
	v_xor_b32_e32 v10, 2, v1
	v_xor_b32_e32 v0, 4, v1
	s_mov_b32 s17, s3
	s_ashr_i32 s21, s16, 31
	s_mov_b32 s20, s16
	v_cmp_neq_f64_e32 vcc_lo, 0, v[4:5]
	s_wait_xcnt 0x0
	v_cmp_gt_i32_e64 s0, 32, v0
	s_lshl_b64 s[20:21], s[20:21], 3
	v_dual_cndmask_b32 v12, v1, v0, s0 :: v_dual_bitop2_b32 v11, 1, v1 bitop3:0x14
	v_cmp_gt_i32_e64 s0, 32, v10
	s_delay_alu instid0(VALU_DEP_1) | instskip(NEXT) | instid1(VALU_DEP_3)
	v_dual_lshlrev_b32 v18, 2, v12 :: v_dual_cndmask_b32 v10, v1, v10, s0
	v_cmp_gt_i32_e64 s0, 32, v11
	s_wait_kmcnt 0x0
	s_lshl_b32 s2, s2, 5
	s_sub_nc_u64 s[18:19], s[18:19], s[20:21]
	s_mov_b32 s20, s3
	v_dual_lshlrev_b32 v19, 2, v10 :: v_dual_cndmask_b32 v11, v1, v11, s0
	v_sub_nc_u64_e64 v[0:1], v[8:9], s[16:17]
	v_cmp_eq_u32_e64 s0, 7, v8
	s_delay_alu instid0(VALU_DEP_3)
	v_lshlrev_b32_e32 v20, 2, v11
	s_branch .LBB57_9
.LBB57_7:                               ;   in Loop: Header=BB57_9 Depth=1
	s_wait_xcnt 0x0
	s_or_b32 exec_lo, exec_lo, s21
	global_store_b64 v[10:11], v[8:9], off
.LBB57_8:                               ;   in Loop: Header=BB57_9 Depth=1
	s_wait_xcnt 0x0
	s_or_b32 exec_lo, exec_lo, s1
	v_add_nc_u64_e32 v[6:7], s[2:3], v[6:7]
	s_delay_alu instid0(VALU_DEP_1) | instskip(SKIP_1) | instid1(SALU_CYCLE_1)
	v_cmp_le_i64_e64 s1, s[4:5], v[6:7]
	s_or_b32 s20, s1, s20
	s_and_not1_b32 exec_lo, exec_lo, s20
	s_cbranch_execz .LBB57_16
.LBB57_9:                               ; =>This Loop Header: Depth=1
                                        ;     Child Loop BB57_11 Depth 2
	v_lshlrev_b64_e32 v[8:9], 3, v[6:7]
	s_mov_b32 s21, exec_lo
	s_wait_dscnt 0x0
	s_delay_alu instid0(VALU_DEP_1)
	v_add_nc_u64_e32 v[10:11], s[10:11], v[8:9]
	v_add_nc_u64_e32 v[8:9], s[8:9], v[8:9]
	global_load_b64 v[12:13], v[10:11], off
	global_load_b64 v[14:15], v[8:9], off
	s_wait_xcnt 0x0
	v_mov_b64_e32 v[8:9], 0
	s_wait_loadcnt 0x1
	v_sub_nc_u64_e64 v[10:11], v[12:13], s[16:17]
	s_wait_loadcnt 0x0
	v_add_nc_u64_e32 v[12:13], v[14:15], v[0:1]
	s_delay_alu instid0(VALU_DEP_1)
	v_cmpx_lt_i64_e64 v[12:13], v[10:11]
	s_cbranch_execz .LBB57_13
; %bb.10:                               ;   in Loop: Header=BB57_9 Depth=1
	v_lshlrev_b64_e32 v[8:9], 3, v[12:13]
	s_mov_b32 s22, 0
	s_delay_alu instid0(VALU_DEP_1)
	v_add_nc_u64_e32 v[14:15], s[14:15], v[8:9]
	v_add_nc_u64_e32 v[16:17], s[12:13], v[8:9]
	v_mov_b64_e32 v[8:9], 0
.LBB57_11:                              ;   Parent Loop BB57_9 Depth=1
                                        ; =>  This Inner Loop Header: Depth=2
	global_load_b64 v[22:23], v[16:17], off
	global_load_b64 v[24:25], v[14:15], off
	v_add_nc_u64_e32 v[12:13], 8, v[12:13]
	s_wait_xcnt 0x0
	v_add_nc_u64_e32 v[14:15], 64, v[14:15]
	v_add_nc_u64_e32 v[16:17], 64, v[16:17]
	s_delay_alu instid0(VALU_DEP_3)
	v_cmp_ge_i64_e64 s1, v[12:13], v[10:11]
	s_or_b32 s22, s1, s22
	s_wait_loadcnt 0x1
	v_lshl_add_u64 v[22:23], v[22:23], 3, s[18:19]
	s_wait_loadcnt 0x0
	v_mul_f64_e32 v[24:25], v[2:3], v[24:25]
	global_load_b64 v[22:23], v[22:23], off
	s_wait_loadcnt 0x0
	v_fmac_f64_e32 v[8:9], v[24:25], v[22:23]
	s_wait_xcnt 0x0
	s_and_not1_b32 exec_lo, exec_lo, s22
	s_cbranch_execnz .LBB57_11
; %bb.12:                               ;   in Loop: Header=BB57_9 Depth=1
	s_or_b32 exec_lo, exec_lo, s22
.LBB57_13:                              ;   in Loop: Header=BB57_9 Depth=1
	s_delay_alu instid0(SALU_CYCLE_1)
	s_or_b32 exec_lo, exec_lo, s21
	ds_bpermute_b32 v10, v18, v8
	ds_bpermute_b32 v11, v18, v9
	s_wait_dscnt 0x0
	v_add_f64_e32 v[8:9], v[8:9], v[10:11]
	ds_bpermute_b32 v10, v19, v8
	ds_bpermute_b32 v11, v19, v9
	s_wait_dscnt 0x0
	v_add_f64_e32 v[8:9], v[8:9], v[10:11]
	ds_bpermute_b32 v10, v20, v8
	ds_bpermute_b32 v11, v20, v9
	s_and_saveexec_b32 s1, s0
	s_cbranch_execz .LBB57_8
; %bb.14:                               ;   in Loop: Header=BB57_9 Depth=1
	s_wait_dscnt 0x0
	v_add_f64_e32 v[8:9], v[8:9], v[10:11]
	v_lshl_add_u64 v[10:11], v[6:7], 3, s[6:7]
	s_and_saveexec_b32 s21, vcc_lo
	s_cbranch_execz .LBB57_7
; %bb.15:                               ;   in Loop: Header=BB57_9 Depth=1
	global_load_b64 v[12:13], v[10:11], off
	s_wait_loadcnt 0x0
	v_fmac_f64_e32 v[8:9], v[4:5], v[12:13]
	s_branch .LBB57_7
.LBB57_16:
	s_endpgm
	.section	.rodata,"a",@progbits
	.p2align	6, 0x0
	.amdhsa_kernel _ZN9rocsparseL21csrmvn_general_kernelILj256ELj8EllddddEEvbT2_NS_24const_host_device_scalarIT6_EEPKT1_S7_PKS1_PKT3_PKT4_S4_PT5_21rocsparse_index_base_b
		.amdhsa_group_segment_fixed_size 0
		.amdhsa_private_segment_fixed_size 0
		.amdhsa_kernarg_size 344
		.amdhsa_user_sgpr_count 2
		.amdhsa_user_sgpr_dispatch_ptr 0
		.amdhsa_user_sgpr_queue_ptr 0
		.amdhsa_user_sgpr_kernarg_segment_ptr 1
		.amdhsa_user_sgpr_dispatch_id 0
		.amdhsa_user_sgpr_kernarg_preload_length 0
		.amdhsa_user_sgpr_kernarg_preload_offset 0
		.amdhsa_user_sgpr_private_segment_size 0
		.amdhsa_wavefront_size32 1
		.amdhsa_uses_dynamic_stack 0
		.amdhsa_enable_private_segment 0
		.amdhsa_system_sgpr_workgroup_id_x 1
		.amdhsa_system_sgpr_workgroup_id_y 0
		.amdhsa_system_sgpr_workgroup_id_z 0
		.amdhsa_system_sgpr_workgroup_info 0
		.amdhsa_system_vgpr_workitem_id 0
		.amdhsa_next_free_vgpr 26
		.amdhsa_next_free_sgpr 23
		.amdhsa_named_barrier_count 0
		.amdhsa_reserve_vcc 1
		.amdhsa_float_round_mode_32 0
		.amdhsa_float_round_mode_16_64 0
		.amdhsa_float_denorm_mode_32 3
		.amdhsa_float_denorm_mode_16_64 3
		.amdhsa_fp16_overflow 0
		.amdhsa_memory_ordered 1
		.amdhsa_forward_progress 1
		.amdhsa_inst_pref_size 7
		.amdhsa_round_robin_scheduling 0
		.amdhsa_exception_fp_ieee_invalid_op 0
		.amdhsa_exception_fp_denorm_src 0
		.amdhsa_exception_fp_ieee_div_zero 0
		.amdhsa_exception_fp_ieee_overflow 0
		.amdhsa_exception_fp_ieee_underflow 0
		.amdhsa_exception_fp_ieee_inexact 0
		.amdhsa_exception_int_div_zero 0
	.end_amdhsa_kernel
	.section	.text._ZN9rocsparseL21csrmvn_general_kernelILj256ELj8EllddddEEvbT2_NS_24const_host_device_scalarIT6_EEPKT1_S7_PKS1_PKT3_PKT4_S4_PT5_21rocsparse_index_base_b,"axG",@progbits,_ZN9rocsparseL21csrmvn_general_kernelILj256ELj8EllddddEEvbT2_NS_24const_host_device_scalarIT6_EEPKT1_S7_PKS1_PKT3_PKT4_S4_PT5_21rocsparse_index_base_b,comdat
.Lfunc_end57:
	.size	_ZN9rocsparseL21csrmvn_general_kernelILj256ELj8EllddddEEvbT2_NS_24const_host_device_scalarIT6_EEPKT1_S7_PKS1_PKT3_PKT4_S4_PT5_21rocsparse_index_base_b, .Lfunc_end57-_ZN9rocsparseL21csrmvn_general_kernelILj256ELj8EllddddEEvbT2_NS_24const_host_device_scalarIT6_EEPKT1_S7_PKS1_PKT3_PKT4_S4_PT5_21rocsparse_index_base_b
                                        ; -- End function
	.set _ZN9rocsparseL21csrmvn_general_kernelILj256ELj8EllddddEEvbT2_NS_24const_host_device_scalarIT6_EEPKT1_S7_PKS1_PKT3_PKT4_S4_PT5_21rocsparse_index_base_b.num_vgpr, 26
	.set _ZN9rocsparseL21csrmvn_general_kernelILj256ELj8EllddddEEvbT2_NS_24const_host_device_scalarIT6_EEPKT1_S7_PKS1_PKT3_PKT4_S4_PT5_21rocsparse_index_base_b.num_agpr, 0
	.set _ZN9rocsparseL21csrmvn_general_kernelILj256ELj8EllddddEEvbT2_NS_24const_host_device_scalarIT6_EEPKT1_S7_PKS1_PKT3_PKT4_S4_PT5_21rocsparse_index_base_b.numbered_sgpr, 23
	.set _ZN9rocsparseL21csrmvn_general_kernelILj256ELj8EllddddEEvbT2_NS_24const_host_device_scalarIT6_EEPKT1_S7_PKS1_PKT3_PKT4_S4_PT5_21rocsparse_index_base_b.num_named_barrier, 0
	.set _ZN9rocsparseL21csrmvn_general_kernelILj256ELj8EllddddEEvbT2_NS_24const_host_device_scalarIT6_EEPKT1_S7_PKS1_PKT3_PKT4_S4_PT5_21rocsparse_index_base_b.private_seg_size, 0
	.set _ZN9rocsparseL21csrmvn_general_kernelILj256ELj8EllddddEEvbT2_NS_24const_host_device_scalarIT6_EEPKT1_S7_PKS1_PKT3_PKT4_S4_PT5_21rocsparse_index_base_b.uses_vcc, 1
	.set _ZN9rocsparseL21csrmvn_general_kernelILj256ELj8EllddddEEvbT2_NS_24const_host_device_scalarIT6_EEPKT1_S7_PKS1_PKT3_PKT4_S4_PT5_21rocsparse_index_base_b.uses_flat_scratch, 0
	.set _ZN9rocsparseL21csrmvn_general_kernelILj256ELj8EllddddEEvbT2_NS_24const_host_device_scalarIT6_EEPKT1_S7_PKS1_PKT3_PKT4_S4_PT5_21rocsparse_index_base_b.has_dyn_sized_stack, 0
	.set _ZN9rocsparseL21csrmvn_general_kernelILj256ELj8EllddddEEvbT2_NS_24const_host_device_scalarIT6_EEPKT1_S7_PKS1_PKT3_PKT4_S4_PT5_21rocsparse_index_base_b.has_recursion, 0
	.set _ZN9rocsparseL21csrmvn_general_kernelILj256ELj8EllddddEEvbT2_NS_24const_host_device_scalarIT6_EEPKT1_S7_PKS1_PKT3_PKT4_S4_PT5_21rocsparse_index_base_b.has_indirect_call, 0
	.section	.AMDGPU.csdata,"",@progbits
; Kernel info:
; codeLenInByte = 824
; TotalNumSgprs: 25
; NumVgprs: 26
; ScratchSize: 0
; MemoryBound: 1
; FloatMode: 240
; IeeeMode: 1
; LDSByteSize: 0 bytes/workgroup (compile time only)
; SGPRBlocks: 0
; VGPRBlocks: 1
; NumSGPRsForWavesPerEU: 25
; NumVGPRsForWavesPerEU: 26
; NamedBarCnt: 0
; Occupancy: 16
; WaveLimiterHint : 1
; COMPUTE_PGM_RSRC2:SCRATCH_EN: 0
; COMPUTE_PGM_RSRC2:USER_SGPR: 2
; COMPUTE_PGM_RSRC2:TRAP_HANDLER: 0
; COMPUTE_PGM_RSRC2:TGID_X_EN: 1
; COMPUTE_PGM_RSRC2:TGID_Y_EN: 0
; COMPUTE_PGM_RSRC2:TGID_Z_EN: 0
; COMPUTE_PGM_RSRC2:TIDIG_COMP_CNT: 0
	.section	.text._ZN9rocsparseL21csrmvn_general_kernelILj256ELj16EllddddEEvbT2_NS_24const_host_device_scalarIT6_EEPKT1_S7_PKS1_PKT3_PKT4_S4_PT5_21rocsparse_index_base_b,"axG",@progbits,_ZN9rocsparseL21csrmvn_general_kernelILj256ELj16EllddddEEvbT2_NS_24const_host_device_scalarIT6_EEPKT1_S7_PKS1_PKT3_PKT4_S4_PT5_21rocsparse_index_base_b,comdat
	.globl	_ZN9rocsparseL21csrmvn_general_kernelILj256ELj16EllddddEEvbT2_NS_24const_host_device_scalarIT6_EEPKT1_S7_PKS1_PKT3_PKT4_S4_PT5_21rocsparse_index_base_b ; -- Begin function _ZN9rocsparseL21csrmvn_general_kernelILj256ELj16EllddddEEvbT2_NS_24const_host_device_scalarIT6_EEPKT1_S7_PKS1_PKT3_PKT4_S4_PT5_21rocsparse_index_base_b
	.p2align	8
	.type	_ZN9rocsparseL21csrmvn_general_kernelILj256ELj16EllddddEEvbT2_NS_24const_host_device_scalarIT6_EEPKT1_S7_PKS1_PKT3_PKT4_S4_PT5_21rocsparse_index_base_b,@function
_ZN9rocsparseL21csrmvn_general_kernelILj256ELj16EllddddEEvbT2_NS_24const_host_device_scalarIT6_EEPKT1_S7_PKS1_PKT3_PKT4_S4_PT5_21rocsparse_index_base_b: ; @_ZN9rocsparseL21csrmvn_general_kernelILj256ELj16EllddddEEvbT2_NS_24const_host_device_scalarIT6_EEPKT1_S7_PKS1_PKT3_PKT4_S4_PT5_21rocsparse_index_base_b
; %bb.0:
	s_clause 0x2
	s_load_b64 s[16:17], s[0:1], 0x50
	s_load_b256 s[4:11], s[0:1], 0x8
	s_load_b64 s[2:3], s[0:1], 0x40
	s_wait_kmcnt 0x0
	s_bitcmp1_b32 s17, 0
	v_mov_b64_e32 v[2:3], s[6:7]
	s_cselect_b32 s12, -1, 0
	s_delay_alu instid0(SALU_CYCLE_1)
	s_and_b32 vcc_lo, exec_lo, s12
	s_xor_b32 s12, s12, -1
	s_cbranch_vccnz .LBB58_2
; %bb.1:
	v_mov_b32_e32 v1, 0
	flat_load_b64 v[2:3], v1, s[6:7]
.LBB58_2:
	v_mov_b64_e32 v[4:5], s[2:3]
	s_and_not1_b32 vcc_lo, exec_lo, s12
	s_cbranch_vccnz .LBB58_4
; %bb.3:
	s_wait_xcnt 0x0
	v_mov_b32_e32 v1, 0
	flat_load_b64 v[4:5], v1, s[2:3]
.LBB58_4:
	s_wait_loadcnt_dscnt 0x0
	v_cmp_neq_f64_e32 vcc_lo, 0, v[2:3]
	s_delay_alu instid0(VALU_DEP_2) | instskip(SKIP_1) | instid1(SALU_CYCLE_1)
	v_cmp_neq_f64_e64 s2, 1.0, v[4:5]
	s_or_b32 s2, vcc_lo, s2
	s_and_saveexec_b32 s3, s2
	s_cbranch_execz .LBB58_16
; %bb.5:
	s_bfe_u32 s2, ttmp6, 0x4000c
	s_and_b32 s3, ttmp6, 15
	s_add_co_i32 s2, s2, 1
	s_getreg_b32 s6, hwreg(HW_REG_IB_STS2, 6, 4)
	s_mul_i32 s2, ttmp9, s2
	v_mov_b32_e32 v7, 0
	s_add_co_i32 s3, s3, s2
	s_cmp_eq_u32 s6, 0
	s_cselect_b32 s2, ttmp9, s3
	s_mov_b32 s3, 0
	v_lshl_or_b32 v1, s2, 8, v0
	s_delay_alu instid0(VALU_DEP_1) | instskip(NEXT) | instid1(VALU_DEP_1)
	v_lshrrev_b32_e32 v6, 4, v1
	v_cmp_gt_i64_e32 vcc_lo, s[4:5], v[6:7]
	s_and_b32 exec_lo, exec_lo, vcc_lo
	s_cbranch_execz .LBB58_16
; %bb.6:
	v_dual_mov_b32 v9, v7 :: v_dual_bitop2_b32 v8, 15, v0 bitop3:0x40
	v_mbcnt_lo_u32_b32 v10, -1, 0
	s_mov_b32 s17, s3
	s_clause 0x3
	s_load_b128 s[12:15], s[0:1], 0x28
	s_load_b64 s[18:19], s[0:1], 0x38
	s_load_b64 s[6:7], s[0:1], 0x48
	s_load_b32 s2, s[0:1], 0x58
	v_sub_nc_u64_e64 v[0:1], v[8:9], s[16:17]
	v_xor_b32_e32 v11, 4, v10
	v_xor_b32_e32 v9, 8, v10
	;; [unrolled: 1-line block ×4, first 2 shown]
	s_ashr_i32 s21, s16, 31
	s_mov_b32 s20, s16
	s_wait_xcnt 0x0
	v_cmp_gt_i32_e64 s0, 32, v9
	s_lshl_b64 s[20:21], s[20:21], 3
	v_cmp_neq_f64_e32 vcc_lo, 0, v[4:5]
	v_cndmask_b32_e64 v9, v10, v9, s0
	v_cmp_gt_i32_e64 s0, 32, v11
	s_delay_alu instid0(VALU_DEP_1) | instskip(SKIP_1) | instid1(VALU_DEP_4)
	v_cndmask_b32_e64 v11, v10, v11, s0
	v_cmp_gt_i32_e64 s0, 32, v12
	v_lshlrev_b32_e32 v18, 2, v9
	s_wait_kmcnt 0x0
	s_lshl_b32 s2, s2, 4
	s_sub_nc_u64 s[18:19], s[18:19], s[20:21]
	v_dual_lshlrev_b32 v19, 2, v11 :: v_dual_cndmask_b32 v12, v10, v12, s0
	v_cmp_gt_i32_e64 s0, 32, v13
	s_mov_b32 s20, s3
	v_dual_cndmask_b32 v10, v10, v13, s0 :: v_dual_lshlrev_b32 v20, 2, v12
	v_cmp_eq_u32_e64 s0, 15, v8
	s_delay_alu instid0(VALU_DEP_2)
	v_lshlrev_b32_e32 v21, 2, v10
	s_branch .LBB58_9
.LBB58_7:                               ;   in Loop: Header=BB58_9 Depth=1
	s_wait_xcnt 0x0
	s_or_b32 exec_lo, exec_lo, s21
	global_store_b64 v[10:11], v[8:9], off
.LBB58_8:                               ;   in Loop: Header=BB58_9 Depth=1
	s_wait_xcnt 0x0
	s_or_b32 exec_lo, exec_lo, s1
	v_add_nc_u64_e32 v[6:7], s[2:3], v[6:7]
	s_delay_alu instid0(VALU_DEP_1) | instskip(SKIP_1) | instid1(SALU_CYCLE_1)
	v_cmp_le_i64_e64 s1, s[4:5], v[6:7]
	s_or_b32 s20, s1, s20
	s_and_not1_b32 exec_lo, exec_lo, s20
	s_cbranch_execz .LBB58_16
.LBB58_9:                               ; =>This Loop Header: Depth=1
                                        ;     Child Loop BB58_11 Depth 2
	v_lshlrev_b64_e32 v[8:9], 3, v[6:7]
	s_mov_b32 s21, exec_lo
	s_wait_dscnt 0x0
	s_delay_alu instid0(VALU_DEP_1)
	v_add_nc_u64_e32 v[10:11], s[10:11], v[8:9]
	v_add_nc_u64_e32 v[8:9], s[8:9], v[8:9]
	global_load_b64 v[12:13], v[10:11], off
	global_load_b64 v[14:15], v[8:9], off
	s_wait_xcnt 0x0
	v_mov_b64_e32 v[8:9], 0
	s_wait_loadcnt 0x1
	v_sub_nc_u64_e64 v[10:11], v[12:13], s[16:17]
	s_wait_loadcnt 0x0
	v_add_nc_u64_e32 v[12:13], v[14:15], v[0:1]
	s_delay_alu instid0(VALU_DEP_1)
	v_cmpx_lt_i64_e64 v[12:13], v[10:11]
	s_cbranch_execz .LBB58_13
; %bb.10:                               ;   in Loop: Header=BB58_9 Depth=1
	v_lshlrev_b64_e32 v[8:9], 3, v[12:13]
	s_mov_b32 s22, 0
	s_delay_alu instid0(VALU_DEP_1)
	v_add_nc_u64_e32 v[14:15], s[14:15], v[8:9]
	v_add_nc_u64_e32 v[16:17], s[12:13], v[8:9]
	v_mov_b64_e32 v[8:9], 0
.LBB58_11:                              ;   Parent Loop BB58_9 Depth=1
                                        ; =>  This Inner Loop Header: Depth=2
	global_load_b64 v[22:23], v[16:17], off
	global_load_b64 v[24:25], v[14:15], off
	v_add_nc_u64_e32 v[12:13], 16, v[12:13]
	s_wait_xcnt 0x0
	v_add_nc_u64_e32 v[14:15], 0x80, v[14:15]
	v_add_nc_u64_e32 v[16:17], 0x80, v[16:17]
	s_delay_alu instid0(VALU_DEP_3)
	v_cmp_ge_i64_e64 s1, v[12:13], v[10:11]
	s_or_b32 s22, s1, s22
	s_wait_loadcnt 0x1
	v_lshl_add_u64 v[22:23], v[22:23], 3, s[18:19]
	s_wait_loadcnt 0x0
	v_mul_f64_e32 v[24:25], v[2:3], v[24:25]
	global_load_b64 v[22:23], v[22:23], off
	s_wait_loadcnt 0x0
	v_fmac_f64_e32 v[8:9], v[24:25], v[22:23]
	s_wait_xcnt 0x0
	s_and_not1_b32 exec_lo, exec_lo, s22
	s_cbranch_execnz .LBB58_11
; %bb.12:                               ;   in Loop: Header=BB58_9 Depth=1
	s_or_b32 exec_lo, exec_lo, s22
.LBB58_13:                              ;   in Loop: Header=BB58_9 Depth=1
	s_delay_alu instid0(SALU_CYCLE_1)
	s_or_b32 exec_lo, exec_lo, s21
	ds_bpermute_b32 v10, v18, v8
	ds_bpermute_b32 v11, v18, v9
	s_wait_dscnt 0x0
	v_add_f64_e32 v[8:9], v[8:9], v[10:11]
	ds_bpermute_b32 v10, v19, v8
	ds_bpermute_b32 v11, v19, v9
	s_wait_dscnt 0x0
	v_add_f64_e32 v[8:9], v[8:9], v[10:11]
	;; [unrolled: 4-line block ×3, first 2 shown]
	ds_bpermute_b32 v10, v21, v8
	ds_bpermute_b32 v11, v21, v9
	s_and_saveexec_b32 s1, s0
	s_cbranch_execz .LBB58_8
; %bb.14:                               ;   in Loop: Header=BB58_9 Depth=1
	s_wait_dscnt 0x0
	v_add_f64_e32 v[8:9], v[8:9], v[10:11]
	v_lshl_add_u64 v[10:11], v[6:7], 3, s[6:7]
	s_and_saveexec_b32 s21, vcc_lo
	s_cbranch_execz .LBB58_7
; %bb.15:                               ;   in Loop: Header=BB58_9 Depth=1
	global_load_b64 v[12:13], v[10:11], off
	s_wait_loadcnt 0x0
	v_fmac_f64_e32 v[8:9], v[4:5], v[12:13]
	s_branch .LBB58_7
.LBB58_16:
	s_endpgm
	.section	.rodata,"a",@progbits
	.p2align	6, 0x0
	.amdhsa_kernel _ZN9rocsparseL21csrmvn_general_kernelILj256ELj16EllddddEEvbT2_NS_24const_host_device_scalarIT6_EEPKT1_S7_PKS1_PKT3_PKT4_S4_PT5_21rocsparse_index_base_b
		.amdhsa_group_segment_fixed_size 0
		.amdhsa_private_segment_fixed_size 0
		.amdhsa_kernarg_size 344
		.amdhsa_user_sgpr_count 2
		.amdhsa_user_sgpr_dispatch_ptr 0
		.amdhsa_user_sgpr_queue_ptr 0
		.amdhsa_user_sgpr_kernarg_segment_ptr 1
		.amdhsa_user_sgpr_dispatch_id 0
		.amdhsa_user_sgpr_kernarg_preload_length 0
		.amdhsa_user_sgpr_kernarg_preload_offset 0
		.amdhsa_user_sgpr_private_segment_size 0
		.amdhsa_wavefront_size32 1
		.amdhsa_uses_dynamic_stack 0
		.amdhsa_enable_private_segment 0
		.amdhsa_system_sgpr_workgroup_id_x 1
		.amdhsa_system_sgpr_workgroup_id_y 0
		.amdhsa_system_sgpr_workgroup_id_z 0
		.amdhsa_system_sgpr_workgroup_info 0
		.amdhsa_system_vgpr_workitem_id 0
		.amdhsa_next_free_vgpr 26
		.amdhsa_next_free_sgpr 23
		.amdhsa_named_barrier_count 0
		.amdhsa_reserve_vcc 1
		.amdhsa_float_round_mode_32 0
		.amdhsa_float_round_mode_16_64 0
		.amdhsa_float_denorm_mode_32 3
		.amdhsa_float_denorm_mode_16_64 3
		.amdhsa_fp16_overflow 0
		.amdhsa_memory_ordered 1
		.amdhsa_forward_progress 1
		.amdhsa_inst_pref_size 7
		.amdhsa_round_robin_scheduling 0
		.amdhsa_exception_fp_ieee_invalid_op 0
		.amdhsa_exception_fp_denorm_src 0
		.amdhsa_exception_fp_ieee_div_zero 0
		.amdhsa_exception_fp_ieee_overflow 0
		.amdhsa_exception_fp_ieee_underflow 0
		.amdhsa_exception_fp_ieee_inexact 0
		.amdhsa_exception_int_div_zero 0
	.end_amdhsa_kernel
	.section	.text._ZN9rocsparseL21csrmvn_general_kernelILj256ELj16EllddddEEvbT2_NS_24const_host_device_scalarIT6_EEPKT1_S7_PKS1_PKT3_PKT4_S4_PT5_21rocsparse_index_base_b,"axG",@progbits,_ZN9rocsparseL21csrmvn_general_kernelILj256ELj16EllddddEEvbT2_NS_24const_host_device_scalarIT6_EEPKT1_S7_PKS1_PKT3_PKT4_S4_PT5_21rocsparse_index_base_b,comdat
.Lfunc_end58:
	.size	_ZN9rocsparseL21csrmvn_general_kernelILj256ELj16EllddddEEvbT2_NS_24const_host_device_scalarIT6_EEPKT1_S7_PKS1_PKT3_PKT4_S4_PT5_21rocsparse_index_base_b, .Lfunc_end58-_ZN9rocsparseL21csrmvn_general_kernelILj256ELj16EllddddEEvbT2_NS_24const_host_device_scalarIT6_EEPKT1_S7_PKS1_PKT3_PKT4_S4_PT5_21rocsparse_index_base_b
                                        ; -- End function
	.set _ZN9rocsparseL21csrmvn_general_kernelILj256ELj16EllddddEEvbT2_NS_24const_host_device_scalarIT6_EEPKT1_S7_PKS1_PKT3_PKT4_S4_PT5_21rocsparse_index_base_b.num_vgpr, 26
	.set _ZN9rocsparseL21csrmvn_general_kernelILj256ELj16EllddddEEvbT2_NS_24const_host_device_scalarIT6_EEPKT1_S7_PKS1_PKT3_PKT4_S4_PT5_21rocsparse_index_base_b.num_agpr, 0
	.set _ZN9rocsparseL21csrmvn_general_kernelILj256ELj16EllddddEEvbT2_NS_24const_host_device_scalarIT6_EEPKT1_S7_PKS1_PKT3_PKT4_S4_PT5_21rocsparse_index_base_b.numbered_sgpr, 23
	.set _ZN9rocsparseL21csrmvn_general_kernelILj256ELj16EllddddEEvbT2_NS_24const_host_device_scalarIT6_EEPKT1_S7_PKS1_PKT3_PKT4_S4_PT5_21rocsparse_index_base_b.num_named_barrier, 0
	.set _ZN9rocsparseL21csrmvn_general_kernelILj256ELj16EllddddEEvbT2_NS_24const_host_device_scalarIT6_EEPKT1_S7_PKS1_PKT3_PKT4_S4_PT5_21rocsparse_index_base_b.private_seg_size, 0
	.set _ZN9rocsparseL21csrmvn_general_kernelILj256ELj16EllddddEEvbT2_NS_24const_host_device_scalarIT6_EEPKT1_S7_PKS1_PKT3_PKT4_S4_PT5_21rocsparse_index_base_b.uses_vcc, 1
	.set _ZN9rocsparseL21csrmvn_general_kernelILj256ELj16EllddddEEvbT2_NS_24const_host_device_scalarIT6_EEPKT1_S7_PKS1_PKT3_PKT4_S4_PT5_21rocsparse_index_base_b.uses_flat_scratch, 0
	.set _ZN9rocsparseL21csrmvn_general_kernelILj256ELj16EllddddEEvbT2_NS_24const_host_device_scalarIT6_EEPKT1_S7_PKS1_PKT3_PKT4_S4_PT5_21rocsparse_index_base_b.has_dyn_sized_stack, 0
	.set _ZN9rocsparseL21csrmvn_general_kernelILj256ELj16EllddddEEvbT2_NS_24const_host_device_scalarIT6_EEPKT1_S7_PKS1_PKT3_PKT4_S4_PT5_21rocsparse_index_base_b.has_recursion, 0
	.set _ZN9rocsparseL21csrmvn_general_kernelILj256ELj16EllddddEEvbT2_NS_24const_host_device_scalarIT6_EEPKT1_S7_PKS1_PKT3_PKT4_S4_PT5_21rocsparse_index_base_b.has_indirect_call, 0
	.section	.AMDGPU.csdata,"",@progbits
; Kernel info:
; codeLenInByte = 880
; TotalNumSgprs: 25
; NumVgprs: 26
; ScratchSize: 0
; MemoryBound: 1
; FloatMode: 240
; IeeeMode: 1
; LDSByteSize: 0 bytes/workgroup (compile time only)
; SGPRBlocks: 0
; VGPRBlocks: 1
; NumSGPRsForWavesPerEU: 25
; NumVGPRsForWavesPerEU: 26
; NamedBarCnt: 0
; Occupancy: 16
; WaveLimiterHint : 1
; COMPUTE_PGM_RSRC2:SCRATCH_EN: 0
; COMPUTE_PGM_RSRC2:USER_SGPR: 2
; COMPUTE_PGM_RSRC2:TRAP_HANDLER: 0
; COMPUTE_PGM_RSRC2:TGID_X_EN: 1
; COMPUTE_PGM_RSRC2:TGID_Y_EN: 0
; COMPUTE_PGM_RSRC2:TGID_Z_EN: 0
; COMPUTE_PGM_RSRC2:TIDIG_COMP_CNT: 0
	.section	.text._ZN9rocsparseL21csrmvn_general_kernelILj256ELj32EllddddEEvbT2_NS_24const_host_device_scalarIT6_EEPKT1_S7_PKS1_PKT3_PKT4_S4_PT5_21rocsparse_index_base_b,"axG",@progbits,_ZN9rocsparseL21csrmvn_general_kernelILj256ELj32EllddddEEvbT2_NS_24const_host_device_scalarIT6_EEPKT1_S7_PKS1_PKT3_PKT4_S4_PT5_21rocsparse_index_base_b,comdat
	.globl	_ZN9rocsparseL21csrmvn_general_kernelILj256ELj32EllddddEEvbT2_NS_24const_host_device_scalarIT6_EEPKT1_S7_PKS1_PKT3_PKT4_S4_PT5_21rocsparse_index_base_b ; -- Begin function _ZN9rocsparseL21csrmvn_general_kernelILj256ELj32EllddddEEvbT2_NS_24const_host_device_scalarIT6_EEPKT1_S7_PKS1_PKT3_PKT4_S4_PT5_21rocsparse_index_base_b
	.p2align	8
	.type	_ZN9rocsparseL21csrmvn_general_kernelILj256ELj32EllddddEEvbT2_NS_24const_host_device_scalarIT6_EEPKT1_S7_PKS1_PKT3_PKT4_S4_PT5_21rocsparse_index_base_b,@function
_ZN9rocsparseL21csrmvn_general_kernelILj256ELj32EllddddEEvbT2_NS_24const_host_device_scalarIT6_EEPKT1_S7_PKS1_PKT3_PKT4_S4_PT5_21rocsparse_index_base_b: ; @_ZN9rocsparseL21csrmvn_general_kernelILj256ELj32EllddddEEvbT2_NS_24const_host_device_scalarIT6_EEPKT1_S7_PKS1_PKT3_PKT4_S4_PT5_21rocsparse_index_base_b
; %bb.0:
	s_clause 0x2
	s_load_b64 s[16:17], s[0:1], 0x50
	s_load_b256 s[4:11], s[0:1], 0x8
	s_load_b64 s[2:3], s[0:1], 0x40
	s_wait_kmcnt 0x0
	s_bitcmp1_b32 s17, 0
	v_mov_b64_e32 v[2:3], s[6:7]
	s_cselect_b32 s12, -1, 0
	s_delay_alu instid0(SALU_CYCLE_1)
	s_and_b32 vcc_lo, exec_lo, s12
	s_xor_b32 s12, s12, -1
	s_cbranch_vccnz .LBB59_2
; %bb.1:
	v_mov_b32_e32 v1, 0
	flat_load_b64 v[2:3], v1, s[6:7]
.LBB59_2:
	v_mov_b64_e32 v[4:5], s[2:3]
	s_and_not1_b32 vcc_lo, exec_lo, s12
	s_cbranch_vccnz .LBB59_4
; %bb.3:
	s_wait_xcnt 0x0
	v_mov_b32_e32 v1, 0
	flat_load_b64 v[4:5], v1, s[2:3]
.LBB59_4:
	s_wait_loadcnt_dscnt 0x0
	v_cmp_neq_f64_e32 vcc_lo, 0, v[2:3]
	s_delay_alu instid0(VALU_DEP_2) | instskip(SKIP_1) | instid1(SALU_CYCLE_1)
	v_cmp_neq_f64_e64 s2, 1.0, v[4:5]
	s_or_b32 s2, vcc_lo, s2
	s_and_saveexec_b32 s3, s2
	s_cbranch_execz .LBB59_16
; %bb.5:
	s_bfe_u32 s2, ttmp6, 0x4000c
	s_and_b32 s3, ttmp6, 15
	s_add_co_i32 s2, s2, 1
	s_getreg_b32 s6, hwreg(HW_REG_IB_STS2, 6, 4)
	s_mul_i32 s2, ttmp9, s2
	v_mov_b32_e32 v7, 0
	s_add_co_i32 s3, s3, s2
	s_cmp_eq_u32 s6, 0
	s_cselect_b32 s2, ttmp9, s3
	s_mov_b32 s3, 0
	v_lshl_or_b32 v1, s2, 8, v0
	s_delay_alu instid0(VALU_DEP_1) | instskip(NEXT) | instid1(VALU_DEP_1)
	v_lshrrev_b32_e32 v6, 5, v1
	v_cmp_gt_i64_e32 vcc_lo, s[4:5], v[6:7]
	s_and_b32 exec_lo, exec_lo, vcc_lo
	s_cbranch_execz .LBB59_16
; %bb.6:
	v_dual_mov_b32 v9, v7 :: v_dual_bitop2_b32 v8, 31, v0 bitop3:0x40
	v_mbcnt_lo_u32_b32 v10, -1, 0
	s_mov_b32 s17, s3
	s_clause 0x3
	s_load_b128 s[12:15], s[0:1], 0x28
	s_load_b64 s[18:19], s[0:1], 0x38
	s_load_b64 s[6:7], s[0:1], 0x48
	s_load_b32 s2, s[0:1], 0x58
	s_wait_xcnt 0x0
	s_ashr_i32 s1, s16, 31
	v_sub_nc_u64_e64 v[0:1], v[8:9], s[16:17]
	v_xor_b32_e32 v9, 8, v10
	v_xor_b32_e32 v11, 16, v10
	s_mov_b32 s0, s16
	v_xor_b32_e32 v13, 2, v10
	s_lshl_b64 s[20:21], s[0:1], 3
	v_xor_b32_e32 v12, 4, v10
	v_cmp_gt_i32_e64 s0, 32, v11
	v_cmp_neq_f64_e32 vcc_lo, 0, v[4:5]
	s_delay_alu instid0(VALU_DEP_2)
	v_cndmask_b32_e64 v11, v10, v11, s0
	v_cmp_gt_i32_e64 s0, 32, v9
	v_xor_b32_e32 v14, 1, v10
	s_wait_kmcnt 0x0
	s_sub_nc_u64 s[18:19], s[18:19], s[20:21]
	v_dual_lshlrev_b32 v18, 2, v11 :: v_dual_cndmask_b32 v9, v10, v9, s0
	v_cmp_gt_i32_e64 s0, 32, v12
	s_lshl_b32 s2, s2, 3
	s_mov_b32 s20, s3
	v_dual_lshlrev_b32 v19, 2, v9 :: v_dual_cndmask_b32 v12, v10, v12, s0
	v_cmp_gt_i32_e64 s0, 32, v13
	s_delay_alu instid0(VALU_DEP_1) | instskip(SKIP_1) | instid1(VALU_DEP_2)
	v_cndmask_b32_e64 v13, v10, v13, s0
	v_cmp_gt_i32_e64 s0, 32, v14
	v_dual_lshlrev_b32 v20, 2, v12 :: v_dual_lshlrev_b32 v21, 2, v13
	s_delay_alu instid0(VALU_DEP_2) | instskip(SKIP_1) | instid1(VALU_DEP_2)
	v_cndmask_b32_e64 v10, v10, v14, s0
	v_cmp_eq_u32_e64 s0, 31, v8
	v_lshlrev_b32_e32 v22, 2, v10
	s_branch .LBB59_9
.LBB59_7:                               ;   in Loop: Header=BB59_9 Depth=1
	s_wait_xcnt 0x0
	s_or_b32 exec_lo, exec_lo, s21
	global_store_b64 v[10:11], v[8:9], off
.LBB59_8:                               ;   in Loop: Header=BB59_9 Depth=1
	s_wait_xcnt 0x0
	s_or_b32 exec_lo, exec_lo, s1
	v_add_nc_u64_e32 v[6:7], s[2:3], v[6:7]
	s_delay_alu instid0(VALU_DEP_1) | instskip(SKIP_1) | instid1(SALU_CYCLE_1)
	v_cmp_le_i64_e64 s1, s[4:5], v[6:7]
	s_or_b32 s20, s1, s20
	s_and_not1_b32 exec_lo, exec_lo, s20
	s_cbranch_execz .LBB59_16
.LBB59_9:                               ; =>This Loop Header: Depth=1
                                        ;     Child Loop BB59_11 Depth 2
	v_lshlrev_b64_e32 v[8:9], 3, v[6:7]
	s_mov_b32 s21, exec_lo
	s_wait_dscnt 0x0
	s_delay_alu instid0(VALU_DEP_1)
	v_add_nc_u64_e32 v[10:11], s[10:11], v[8:9]
	v_add_nc_u64_e32 v[8:9], s[8:9], v[8:9]
	global_load_b64 v[12:13], v[10:11], off
	global_load_b64 v[14:15], v[8:9], off
	s_wait_xcnt 0x0
	v_mov_b64_e32 v[8:9], 0
	s_wait_loadcnt 0x1
	v_sub_nc_u64_e64 v[10:11], v[12:13], s[16:17]
	s_wait_loadcnt 0x0
	v_add_nc_u64_e32 v[12:13], v[14:15], v[0:1]
	s_delay_alu instid0(VALU_DEP_1)
	v_cmpx_lt_i64_e64 v[12:13], v[10:11]
	s_cbranch_execz .LBB59_13
; %bb.10:                               ;   in Loop: Header=BB59_9 Depth=1
	v_lshlrev_b64_e32 v[8:9], 3, v[12:13]
	s_mov_b32 s22, 0
	s_delay_alu instid0(VALU_DEP_1)
	v_add_nc_u64_e32 v[14:15], s[14:15], v[8:9]
	v_add_nc_u64_e32 v[16:17], s[12:13], v[8:9]
	v_mov_b64_e32 v[8:9], 0
.LBB59_11:                              ;   Parent Loop BB59_9 Depth=1
                                        ; =>  This Inner Loop Header: Depth=2
	global_load_b64 v[24:25], v[16:17], off
	global_load_b64 v[26:27], v[14:15], off
	v_add_nc_u64_e32 v[12:13], 32, v[12:13]
	s_wait_xcnt 0x0
	v_add_nc_u64_e32 v[14:15], 0x100, v[14:15]
	v_add_nc_u64_e32 v[16:17], 0x100, v[16:17]
	s_delay_alu instid0(VALU_DEP_3)
	v_cmp_ge_i64_e64 s1, v[12:13], v[10:11]
	s_or_b32 s22, s1, s22
	s_wait_loadcnt 0x1
	v_lshl_add_u64 v[24:25], v[24:25], 3, s[18:19]
	s_wait_loadcnt 0x0
	v_mul_f64_e32 v[26:27], v[2:3], v[26:27]
	global_load_b64 v[24:25], v[24:25], off
	s_wait_loadcnt 0x0
	v_fmac_f64_e32 v[8:9], v[26:27], v[24:25]
	s_wait_xcnt 0x0
	s_and_not1_b32 exec_lo, exec_lo, s22
	s_cbranch_execnz .LBB59_11
; %bb.12:                               ;   in Loop: Header=BB59_9 Depth=1
	s_or_b32 exec_lo, exec_lo, s22
.LBB59_13:                              ;   in Loop: Header=BB59_9 Depth=1
	s_delay_alu instid0(SALU_CYCLE_1)
	s_or_b32 exec_lo, exec_lo, s21
	ds_bpermute_b32 v10, v18, v8
	ds_bpermute_b32 v11, v18, v9
	s_wait_dscnt 0x0
	v_add_f64_e32 v[8:9], v[8:9], v[10:11]
	ds_bpermute_b32 v10, v19, v8
	ds_bpermute_b32 v11, v19, v9
	s_wait_dscnt 0x0
	v_add_f64_e32 v[8:9], v[8:9], v[10:11]
	;; [unrolled: 4-line block ×4, first 2 shown]
	ds_bpermute_b32 v10, v22, v8
	ds_bpermute_b32 v11, v22, v9
	s_and_saveexec_b32 s1, s0
	s_cbranch_execz .LBB59_8
; %bb.14:                               ;   in Loop: Header=BB59_9 Depth=1
	s_wait_dscnt 0x0
	v_add_f64_e32 v[8:9], v[8:9], v[10:11]
	v_lshl_add_u64 v[10:11], v[6:7], 3, s[6:7]
	s_and_saveexec_b32 s21, vcc_lo
	s_cbranch_execz .LBB59_7
; %bb.15:                               ;   in Loop: Header=BB59_9 Depth=1
	global_load_b64 v[12:13], v[10:11], off
	s_wait_loadcnt 0x0
	v_fmac_f64_e32 v[8:9], v[4:5], v[12:13]
	s_branch .LBB59_7
.LBB59_16:
	s_endpgm
	.section	.rodata,"a",@progbits
	.p2align	6, 0x0
	.amdhsa_kernel _ZN9rocsparseL21csrmvn_general_kernelILj256ELj32EllddddEEvbT2_NS_24const_host_device_scalarIT6_EEPKT1_S7_PKS1_PKT3_PKT4_S4_PT5_21rocsparse_index_base_b
		.amdhsa_group_segment_fixed_size 0
		.amdhsa_private_segment_fixed_size 0
		.amdhsa_kernarg_size 344
		.amdhsa_user_sgpr_count 2
		.amdhsa_user_sgpr_dispatch_ptr 0
		.amdhsa_user_sgpr_queue_ptr 0
		.amdhsa_user_sgpr_kernarg_segment_ptr 1
		.amdhsa_user_sgpr_dispatch_id 0
		.amdhsa_user_sgpr_kernarg_preload_length 0
		.amdhsa_user_sgpr_kernarg_preload_offset 0
		.amdhsa_user_sgpr_private_segment_size 0
		.amdhsa_wavefront_size32 1
		.amdhsa_uses_dynamic_stack 0
		.amdhsa_enable_private_segment 0
		.amdhsa_system_sgpr_workgroup_id_x 1
		.amdhsa_system_sgpr_workgroup_id_y 0
		.amdhsa_system_sgpr_workgroup_id_z 0
		.amdhsa_system_sgpr_workgroup_info 0
		.amdhsa_system_vgpr_workitem_id 0
		.amdhsa_next_free_vgpr 28
		.amdhsa_next_free_sgpr 23
		.amdhsa_named_barrier_count 0
		.amdhsa_reserve_vcc 1
		.amdhsa_float_round_mode_32 0
		.amdhsa_float_round_mode_16_64 0
		.amdhsa_float_denorm_mode_32 3
		.amdhsa_float_denorm_mode_16_64 3
		.amdhsa_fp16_overflow 0
		.amdhsa_memory_ordered 1
		.amdhsa_forward_progress 1
		.amdhsa_inst_pref_size 8
		.amdhsa_round_robin_scheduling 0
		.amdhsa_exception_fp_ieee_invalid_op 0
		.amdhsa_exception_fp_denorm_src 0
		.amdhsa_exception_fp_ieee_div_zero 0
		.amdhsa_exception_fp_ieee_overflow 0
		.amdhsa_exception_fp_ieee_underflow 0
		.amdhsa_exception_fp_ieee_inexact 0
		.amdhsa_exception_int_div_zero 0
	.end_amdhsa_kernel
	.section	.text._ZN9rocsparseL21csrmvn_general_kernelILj256ELj32EllddddEEvbT2_NS_24const_host_device_scalarIT6_EEPKT1_S7_PKS1_PKT3_PKT4_S4_PT5_21rocsparse_index_base_b,"axG",@progbits,_ZN9rocsparseL21csrmvn_general_kernelILj256ELj32EllddddEEvbT2_NS_24const_host_device_scalarIT6_EEPKT1_S7_PKS1_PKT3_PKT4_S4_PT5_21rocsparse_index_base_b,comdat
.Lfunc_end59:
	.size	_ZN9rocsparseL21csrmvn_general_kernelILj256ELj32EllddddEEvbT2_NS_24const_host_device_scalarIT6_EEPKT1_S7_PKS1_PKT3_PKT4_S4_PT5_21rocsparse_index_base_b, .Lfunc_end59-_ZN9rocsparseL21csrmvn_general_kernelILj256ELj32EllddddEEvbT2_NS_24const_host_device_scalarIT6_EEPKT1_S7_PKS1_PKT3_PKT4_S4_PT5_21rocsparse_index_base_b
                                        ; -- End function
	.set _ZN9rocsparseL21csrmvn_general_kernelILj256ELj32EllddddEEvbT2_NS_24const_host_device_scalarIT6_EEPKT1_S7_PKS1_PKT3_PKT4_S4_PT5_21rocsparse_index_base_b.num_vgpr, 28
	.set _ZN9rocsparseL21csrmvn_general_kernelILj256ELj32EllddddEEvbT2_NS_24const_host_device_scalarIT6_EEPKT1_S7_PKS1_PKT3_PKT4_S4_PT5_21rocsparse_index_base_b.num_agpr, 0
	.set _ZN9rocsparseL21csrmvn_general_kernelILj256ELj32EllddddEEvbT2_NS_24const_host_device_scalarIT6_EEPKT1_S7_PKS1_PKT3_PKT4_S4_PT5_21rocsparse_index_base_b.numbered_sgpr, 23
	.set _ZN9rocsparseL21csrmvn_general_kernelILj256ELj32EllddddEEvbT2_NS_24const_host_device_scalarIT6_EEPKT1_S7_PKS1_PKT3_PKT4_S4_PT5_21rocsparse_index_base_b.num_named_barrier, 0
	.set _ZN9rocsparseL21csrmvn_general_kernelILj256ELj32EllddddEEvbT2_NS_24const_host_device_scalarIT6_EEPKT1_S7_PKS1_PKT3_PKT4_S4_PT5_21rocsparse_index_base_b.private_seg_size, 0
	.set _ZN9rocsparseL21csrmvn_general_kernelILj256ELj32EllddddEEvbT2_NS_24const_host_device_scalarIT6_EEPKT1_S7_PKS1_PKT3_PKT4_S4_PT5_21rocsparse_index_base_b.uses_vcc, 1
	.set _ZN9rocsparseL21csrmvn_general_kernelILj256ELj32EllddddEEvbT2_NS_24const_host_device_scalarIT6_EEPKT1_S7_PKS1_PKT3_PKT4_S4_PT5_21rocsparse_index_base_b.uses_flat_scratch, 0
	.set _ZN9rocsparseL21csrmvn_general_kernelILj256ELj32EllddddEEvbT2_NS_24const_host_device_scalarIT6_EEPKT1_S7_PKS1_PKT3_PKT4_S4_PT5_21rocsparse_index_base_b.has_dyn_sized_stack, 0
	.set _ZN9rocsparseL21csrmvn_general_kernelILj256ELj32EllddddEEvbT2_NS_24const_host_device_scalarIT6_EEPKT1_S7_PKS1_PKT3_PKT4_S4_PT5_21rocsparse_index_base_b.has_recursion, 0
	.set _ZN9rocsparseL21csrmvn_general_kernelILj256ELj32EllddddEEvbT2_NS_24const_host_device_scalarIT6_EEPKT1_S7_PKS1_PKT3_PKT4_S4_PT5_21rocsparse_index_base_b.has_indirect_call, 0
	.section	.AMDGPU.csdata,"",@progbits
; Kernel info:
; codeLenInByte = 936
; TotalNumSgprs: 25
; NumVgprs: 28
; ScratchSize: 0
; MemoryBound: 1
; FloatMode: 240
; IeeeMode: 1
; LDSByteSize: 0 bytes/workgroup (compile time only)
; SGPRBlocks: 0
; VGPRBlocks: 1
; NumSGPRsForWavesPerEU: 25
; NumVGPRsForWavesPerEU: 28
; NamedBarCnt: 0
; Occupancy: 16
; WaveLimiterHint : 1
; COMPUTE_PGM_RSRC2:SCRATCH_EN: 0
; COMPUTE_PGM_RSRC2:USER_SGPR: 2
; COMPUTE_PGM_RSRC2:TRAP_HANDLER: 0
; COMPUTE_PGM_RSRC2:TGID_X_EN: 1
; COMPUTE_PGM_RSRC2:TGID_Y_EN: 0
; COMPUTE_PGM_RSRC2:TGID_Z_EN: 0
; COMPUTE_PGM_RSRC2:TIDIG_COMP_CNT: 0
	.section	.text._ZN9rocsparseL21csrmvn_general_kernelILj256ELj64EllddddEEvbT2_NS_24const_host_device_scalarIT6_EEPKT1_S7_PKS1_PKT3_PKT4_S4_PT5_21rocsparse_index_base_b,"axG",@progbits,_ZN9rocsparseL21csrmvn_general_kernelILj256ELj64EllddddEEvbT2_NS_24const_host_device_scalarIT6_EEPKT1_S7_PKS1_PKT3_PKT4_S4_PT5_21rocsparse_index_base_b,comdat
	.globl	_ZN9rocsparseL21csrmvn_general_kernelILj256ELj64EllddddEEvbT2_NS_24const_host_device_scalarIT6_EEPKT1_S7_PKS1_PKT3_PKT4_S4_PT5_21rocsparse_index_base_b ; -- Begin function _ZN9rocsparseL21csrmvn_general_kernelILj256ELj64EllddddEEvbT2_NS_24const_host_device_scalarIT6_EEPKT1_S7_PKS1_PKT3_PKT4_S4_PT5_21rocsparse_index_base_b
	.p2align	8
	.type	_ZN9rocsparseL21csrmvn_general_kernelILj256ELj64EllddddEEvbT2_NS_24const_host_device_scalarIT6_EEPKT1_S7_PKS1_PKT3_PKT4_S4_PT5_21rocsparse_index_base_b,@function
_ZN9rocsparseL21csrmvn_general_kernelILj256ELj64EllddddEEvbT2_NS_24const_host_device_scalarIT6_EEPKT1_S7_PKS1_PKT3_PKT4_S4_PT5_21rocsparse_index_base_b: ; @_ZN9rocsparseL21csrmvn_general_kernelILj256ELj64EllddddEEvbT2_NS_24const_host_device_scalarIT6_EEPKT1_S7_PKS1_PKT3_PKT4_S4_PT5_21rocsparse_index_base_b
; %bb.0:
	s_clause 0x2
	s_load_b64 s[16:17], s[0:1], 0x50
	s_load_b256 s[4:11], s[0:1], 0x8
	s_load_b64 s[2:3], s[0:1], 0x40
	s_wait_kmcnt 0x0
	s_bitcmp1_b32 s17, 0
	v_mov_b64_e32 v[2:3], s[6:7]
	s_cselect_b32 s12, -1, 0
	s_delay_alu instid0(SALU_CYCLE_1)
	s_and_b32 vcc_lo, exec_lo, s12
	s_xor_b32 s12, s12, -1
	s_cbranch_vccnz .LBB60_2
; %bb.1:
	v_mov_b32_e32 v1, 0
	flat_load_b64 v[2:3], v1, s[6:7]
.LBB60_2:
	v_mov_b64_e32 v[4:5], s[2:3]
	s_and_not1_b32 vcc_lo, exec_lo, s12
	s_cbranch_vccnz .LBB60_4
; %bb.3:
	s_wait_xcnt 0x0
	v_mov_b32_e32 v1, 0
	flat_load_b64 v[4:5], v1, s[2:3]
.LBB60_4:
	s_wait_loadcnt_dscnt 0x0
	v_cmp_neq_f64_e32 vcc_lo, 0, v[2:3]
	s_delay_alu instid0(VALU_DEP_2) | instskip(SKIP_1) | instid1(SALU_CYCLE_1)
	v_cmp_neq_f64_e64 s2, 1.0, v[4:5]
	s_or_b32 s2, vcc_lo, s2
	s_and_saveexec_b32 s3, s2
	s_cbranch_execz .LBB60_16
; %bb.5:
	s_bfe_u32 s2, ttmp6, 0x4000c
	s_and_b32 s3, ttmp6, 15
	s_add_co_i32 s2, s2, 1
	s_getreg_b32 s6, hwreg(HW_REG_IB_STS2, 6, 4)
	s_mul_i32 s2, ttmp9, s2
	v_mov_b32_e32 v7, 0
	s_add_co_i32 s3, s3, s2
	s_cmp_eq_u32 s6, 0
	s_cselect_b32 s2, ttmp9, s3
	s_mov_b32 s3, 0
	v_lshl_or_b32 v1, s2, 8, v0
	s_delay_alu instid0(VALU_DEP_1) | instskip(NEXT) | instid1(VALU_DEP_1)
	v_lshrrev_b32_e32 v6, 6, v1
	v_cmp_gt_i64_e32 vcc_lo, s[4:5], v[6:7]
	s_and_b32 exec_lo, exec_lo, vcc_lo
	s_cbranch_execz .LBB60_16
; %bb.6:
	v_mbcnt_lo_u32_b32 v10, -1, 0
	v_dual_mov_b32 v9, v7 :: v_dual_bitop2_b32 v8, 63, v0 bitop3:0x40
	s_clause 0x3
	s_load_b128 s[12:15], s[0:1], 0x28
	s_load_b64 s[18:19], s[0:1], 0x38
	s_load_b64 s[6:7], s[0:1], 0x48
	s_load_b32 s2, s[0:1], 0x58
	s_mov_b32 s17, s3
	v_or_b32_e32 v0, 32, v10
	s_wait_xcnt 0x0
	s_ashr_i32 s1, s16, 31
	v_cmp_neq_f64_e32 vcc_lo, 0, v[4:5]
	v_xor_b32_e32 v12, 16, v10
	v_cmp_gt_i32_e64 s0, 32, v0
	s_delay_alu instid0(VALU_DEP_1)
	v_cndmask_b32_e64 v11, v10, v0, s0
	s_mov_b32 s0, s16
	v_sub_nc_u64_e64 v[0:1], v[8:9], s[16:17]
	s_lshl_b64 s[20:21], s[0:1], 3
	v_cmp_gt_i32_e64 s0, 32, v12
	v_dual_lshlrev_b32 v18, 2, v11 :: v_dual_bitop2_b32 v9, 8, v10 bitop3:0x14
	s_wait_kmcnt 0x0
	s_sub_nc_u64 s[18:19], s[18:19], s[20:21]
	s_lshl_b32 s2, s2, 2
	s_mov_b32 s20, s3
	v_cndmask_b32_e64 v11, v10, v12, s0
	v_cmp_gt_i32_e64 s0, 32, v9
	s_delay_alu instid0(VALU_DEP_2) | instskip(NEXT) | instid1(VALU_DEP_2)
	v_dual_lshlrev_b32 v19, 2, v11 :: v_dual_bitop2_b32 v12, 4, v10 bitop3:0x14
	v_cndmask_b32_e64 v9, v10, v9, s0
	s_delay_alu instid0(VALU_DEP_2) | instskip(NEXT) | instid1(VALU_DEP_1)
	v_cmp_gt_i32_e64 s0, 32, v12
	v_dual_cndmask_b32 v12, v10, v12, s0 :: v_dual_bitop2_b32 v13, 2, v10 bitop3:0x14
	s_delay_alu instid0(VALU_DEP_1) | instskip(NEXT) | instid1(VALU_DEP_4)
	v_cmp_gt_i32_e64 s0, 32, v13
	v_dual_lshlrev_b32 v20, 2, v9 :: v_dual_bitop2_b32 v14, 1, v10 bitop3:0x14
	s_delay_alu instid0(VALU_DEP_2) | instskip(NEXT) | instid1(VALU_DEP_2)
	v_dual_lshlrev_b32 v21, 2, v12 :: v_dual_cndmask_b32 v13, v10, v13, s0
	v_cmp_gt_i32_e64 s0, 32, v14
	s_delay_alu instid0(VALU_DEP_1) | instskip(SKIP_1) | instid1(VALU_DEP_2)
	v_dual_cndmask_b32 v10, v10, v14, s0 :: v_dual_lshlrev_b32 v22, 2, v13
	v_cmp_eq_u32_e64 s0, 63, v8
	v_lshlrev_b32_e32 v23, 2, v10
	s_branch .LBB60_9
.LBB60_7:                               ;   in Loop: Header=BB60_9 Depth=1
	s_wait_xcnt 0x0
	s_or_b32 exec_lo, exec_lo, s21
	global_store_b64 v[10:11], v[8:9], off
.LBB60_8:                               ;   in Loop: Header=BB60_9 Depth=1
	s_wait_xcnt 0x0
	s_or_b32 exec_lo, exec_lo, s1
	v_add_nc_u64_e32 v[6:7], s[2:3], v[6:7]
	s_delay_alu instid0(VALU_DEP_1) | instskip(SKIP_1) | instid1(SALU_CYCLE_1)
	v_cmp_le_i64_e64 s1, s[4:5], v[6:7]
	s_or_b32 s20, s1, s20
	s_and_not1_b32 exec_lo, exec_lo, s20
	s_cbranch_execz .LBB60_16
.LBB60_9:                               ; =>This Loop Header: Depth=1
                                        ;     Child Loop BB60_11 Depth 2
	v_lshlrev_b64_e32 v[8:9], 3, v[6:7]
	s_mov_b32 s21, exec_lo
	s_wait_dscnt 0x0
	s_delay_alu instid0(VALU_DEP_1)
	v_add_nc_u64_e32 v[10:11], s[10:11], v[8:9]
	v_add_nc_u64_e32 v[8:9], s[8:9], v[8:9]
	global_load_b64 v[12:13], v[10:11], off
	global_load_b64 v[14:15], v[8:9], off
	s_wait_xcnt 0x0
	v_mov_b64_e32 v[8:9], 0
	s_wait_loadcnt 0x1
	v_sub_nc_u64_e64 v[10:11], v[12:13], s[16:17]
	s_wait_loadcnt 0x0
	v_add_nc_u64_e32 v[12:13], v[14:15], v[0:1]
	s_delay_alu instid0(VALU_DEP_1)
	v_cmpx_lt_i64_e64 v[12:13], v[10:11]
	s_cbranch_execz .LBB60_13
; %bb.10:                               ;   in Loop: Header=BB60_9 Depth=1
	v_lshlrev_b64_e32 v[8:9], 3, v[12:13]
	s_mov_b32 s22, 0
	s_delay_alu instid0(VALU_DEP_1)
	v_add_nc_u64_e32 v[14:15], s[14:15], v[8:9]
	v_add_nc_u64_e32 v[16:17], s[12:13], v[8:9]
	v_mov_b64_e32 v[8:9], 0
.LBB60_11:                              ;   Parent Loop BB60_9 Depth=1
                                        ; =>  This Inner Loop Header: Depth=2
	global_load_b64 v[24:25], v[16:17], off
	global_load_b64 v[26:27], v[14:15], off
	v_add_nc_u64_e32 v[12:13], 64, v[12:13]
	s_wait_xcnt 0x0
	v_add_nc_u64_e32 v[14:15], 0x200, v[14:15]
	v_add_nc_u64_e32 v[16:17], 0x200, v[16:17]
	s_delay_alu instid0(VALU_DEP_3)
	v_cmp_ge_i64_e64 s1, v[12:13], v[10:11]
	s_or_b32 s22, s1, s22
	s_wait_loadcnt 0x1
	v_lshl_add_u64 v[24:25], v[24:25], 3, s[18:19]
	s_wait_loadcnt 0x0
	v_mul_f64_e32 v[26:27], v[2:3], v[26:27]
	global_load_b64 v[24:25], v[24:25], off
	s_wait_loadcnt 0x0
	v_fmac_f64_e32 v[8:9], v[26:27], v[24:25]
	s_wait_xcnt 0x0
	s_and_not1_b32 exec_lo, exec_lo, s22
	s_cbranch_execnz .LBB60_11
; %bb.12:                               ;   in Loop: Header=BB60_9 Depth=1
	s_or_b32 exec_lo, exec_lo, s22
.LBB60_13:                              ;   in Loop: Header=BB60_9 Depth=1
	s_delay_alu instid0(SALU_CYCLE_1)
	s_or_b32 exec_lo, exec_lo, s21
	ds_bpermute_b32 v10, v18, v8
	ds_bpermute_b32 v11, v18, v9
	s_wait_dscnt 0x0
	v_add_f64_e32 v[8:9], v[8:9], v[10:11]
	ds_bpermute_b32 v10, v19, v8
	ds_bpermute_b32 v11, v19, v9
	s_wait_dscnt 0x0
	v_add_f64_e32 v[8:9], v[8:9], v[10:11]
	;; [unrolled: 4-line block ×5, first 2 shown]
	ds_bpermute_b32 v10, v23, v8
	ds_bpermute_b32 v11, v23, v9
	s_and_saveexec_b32 s1, s0
	s_cbranch_execz .LBB60_8
; %bb.14:                               ;   in Loop: Header=BB60_9 Depth=1
	s_wait_dscnt 0x0
	v_add_f64_e32 v[8:9], v[8:9], v[10:11]
	v_lshl_add_u64 v[10:11], v[6:7], 3, s[6:7]
	s_and_saveexec_b32 s21, vcc_lo
	s_cbranch_execz .LBB60_7
; %bb.15:                               ;   in Loop: Header=BB60_9 Depth=1
	global_load_b64 v[12:13], v[10:11], off
	s_wait_loadcnt 0x0
	v_fmac_f64_e32 v[8:9], v[4:5], v[12:13]
	s_branch .LBB60_7
.LBB60_16:
	s_endpgm
	.section	.rodata,"a",@progbits
	.p2align	6, 0x0
	.amdhsa_kernel _ZN9rocsparseL21csrmvn_general_kernelILj256ELj64EllddddEEvbT2_NS_24const_host_device_scalarIT6_EEPKT1_S7_PKS1_PKT3_PKT4_S4_PT5_21rocsparse_index_base_b
		.amdhsa_group_segment_fixed_size 0
		.amdhsa_private_segment_fixed_size 0
		.amdhsa_kernarg_size 344
		.amdhsa_user_sgpr_count 2
		.amdhsa_user_sgpr_dispatch_ptr 0
		.amdhsa_user_sgpr_queue_ptr 0
		.amdhsa_user_sgpr_kernarg_segment_ptr 1
		.amdhsa_user_sgpr_dispatch_id 0
		.amdhsa_user_sgpr_kernarg_preload_length 0
		.amdhsa_user_sgpr_kernarg_preload_offset 0
		.amdhsa_user_sgpr_private_segment_size 0
		.amdhsa_wavefront_size32 1
		.amdhsa_uses_dynamic_stack 0
		.amdhsa_enable_private_segment 0
		.amdhsa_system_sgpr_workgroup_id_x 1
		.amdhsa_system_sgpr_workgroup_id_y 0
		.amdhsa_system_sgpr_workgroup_id_z 0
		.amdhsa_system_sgpr_workgroup_info 0
		.amdhsa_system_vgpr_workitem_id 0
		.amdhsa_next_free_vgpr 28
		.amdhsa_next_free_sgpr 23
		.amdhsa_named_barrier_count 0
		.amdhsa_reserve_vcc 1
		.amdhsa_float_round_mode_32 0
		.amdhsa_float_round_mode_16_64 0
		.amdhsa_float_denorm_mode_32 3
		.amdhsa_float_denorm_mode_16_64 3
		.amdhsa_fp16_overflow 0
		.amdhsa_memory_ordered 1
		.amdhsa_forward_progress 1
		.amdhsa_inst_pref_size 8
		.amdhsa_round_robin_scheduling 0
		.amdhsa_exception_fp_ieee_invalid_op 0
		.amdhsa_exception_fp_denorm_src 0
		.amdhsa_exception_fp_ieee_div_zero 0
		.amdhsa_exception_fp_ieee_overflow 0
		.amdhsa_exception_fp_ieee_underflow 0
		.amdhsa_exception_fp_ieee_inexact 0
		.amdhsa_exception_int_div_zero 0
	.end_amdhsa_kernel
	.section	.text._ZN9rocsparseL21csrmvn_general_kernelILj256ELj64EllddddEEvbT2_NS_24const_host_device_scalarIT6_EEPKT1_S7_PKS1_PKT3_PKT4_S4_PT5_21rocsparse_index_base_b,"axG",@progbits,_ZN9rocsparseL21csrmvn_general_kernelILj256ELj64EllddddEEvbT2_NS_24const_host_device_scalarIT6_EEPKT1_S7_PKS1_PKT3_PKT4_S4_PT5_21rocsparse_index_base_b,comdat
.Lfunc_end60:
	.size	_ZN9rocsparseL21csrmvn_general_kernelILj256ELj64EllddddEEvbT2_NS_24const_host_device_scalarIT6_EEPKT1_S7_PKS1_PKT3_PKT4_S4_PT5_21rocsparse_index_base_b, .Lfunc_end60-_ZN9rocsparseL21csrmvn_general_kernelILj256ELj64EllddddEEvbT2_NS_24const_host_device_scalarIT6_EEPKT1_S7_PKS1_PKT3_PKT4_S4_PT5_21rocsparse_index_base_b
                                        ; -- End function
	.set _ZN9rocsparseL21csrmvn_general_kernelILj256ELj64EllddddEEvbT2_NS_24const_host_device_scalarIT6_EEPKT1_S7_PKS1_PKT3_PKT4_S4_PT5_21rocsparse_index_base_b.num_vgpr, 28
	.set _ZN9rocsparseL21csrmvn_general_kernelILj256ELj64EllddddEEvbT2_NS_24const_host_device_scalarIT6_EEPKT1_S7_PKS1_PKT3_PKT4_S4_PT5_21rocsparse_index_base_b.num_agpr, 0
	.set _ZN9rocsparseL21csrmvn_general_kernelILj256ELj64EllddddEEvbT2_NS_24const_host_device_scalarIT6_EEPKT1_S7_PKS1_PKT3_PKT4_S4_PT5_21rocsparse_index_base_b.numbered_sgpr, 23
	.set _ZN9rocsparseL21csrmvn_general_kernelILj256ELj64EllddddEEvbT2_NS_24const_host_device_scalarIT6_EEPKT1_S7_PKS1_PKT3_PKT4_S4_PT5_21rocsparse_index_base_b.num_named_barrier, 0
	.set _ZN9rocsparseL21csrmvn_general_kernelILj256ELj64EllddddEEvbT2_NS_24const_host_device_scalarIT6_EEPKT1_S7_PKS1_PKT3_PKT4_S4_PT5_21rocsparse_index_base_b.private_seg_size, 0
	.set _ZN9rocsparseL21csrmvn_general_kernelILj256ELj64EllddddEEvbT2_NS_24const_host_device_scalarIT6_EEPKT1_S7_PKS1_PKT3_PKT4_S4_PT5_21rocsparse_index_base_b.uses_vcc, 1
	.set _ZN9rocsparseL21csrmvn_general_kernelILj256ELj64EllddddEEvbT2_NS_24const_host_device_scalarIT6_EEPKT1_S7_PKS1_PKT3_PKT4_S4_PT5_21rocsparse_index_base_b.uses_flat_scratch, 0
	.set _ZN9rocsparseL21csrmvn_general_kernelILj256ELj64EllddddEEvbT2_NS_24const_host_device_scalarIT6_EEPKT1_S7_PKS1_PKT3_PKT4_S4_PT5_21rocsparse_index_base_b.has_dyn_sized_stack, 0
	.set _ZN9rocsparseL21csrmvn_general_kernelILj256ELj64EllddddEEvbT2_NS_24const_host_device_scalarIT6_EEPKT1_S7_PKS1_PKT3_PKT4_S4_PT5_21rocsparse_index_base_b.has_recursion, 0
	.set _ZN9rocsparseL21csrmvn_general_kernelILj256ELj64EllddddEEvbT2_NS_24const_host_device_scalarIT6_EEPKT1_S7_PKS1_PKT3_PKT4_S4_PT5_21rocsparse_index_base_b.has_indirect_call, 0
	.section	.AMDGPU.csdata,"",@progbits
; Kernel info:
; codeLenInByte = 1004
; TotalNumSgprs: 25
; NumVgprs: 28
; ScratchSize: 0
; MemoryBound: 1
; FloatMode: 240
; IeeeMode: 1
; LDSByteSize: 0 bytes/workgroup (compile time only)
; SGPRBlocks: 0
; VGPRBlocks: 1
; NumSGPRsForWavesPerEU: 25
; NumVGPRsForWavesPerEU: 28
; NamedBarCnt: 0
; Occupancy: 16
; WaveLimiterHint : 1
; COMPUTE_PGM_RSRC2:SCRATCH_EN: 0
; COMPUTE_PGM_RSRC2:USER_SGPR: 2
; COMPUTE_PGM_RSRC2:TRAP_HANDLER: 0
; COMPUTE_PGM_RSRC2:TGID_X_EN: 1
; COMPUTE_PGM_RSRC2:TGID_Y_EN: 0
; COMPUTE_PGM_RSRC2:TGID_Z_EN: 0
; COMPUTE_PGM_RSRC2:TIDIG_COMP_CNT: 0
	.section	.text._ZN9rocsparseL21csrmvt_general_kernelILj256ELj4EllddddEEvbbT2_NS_24const_host_device_scalarIT6_EEPKT1_S7_PKS1_PKT3_PKT4_PT5_21rocsparse_index_base_b,"axG",@progbits,_ZN9rocsparseL21csrmvt_general_kernelILj256ELj4EllddddEEvbbT2_NS_24const_host_device_scalarIT6_EEPKT1_S7_PKS1_PKT3_PKT4_PT5_21rocsparse_index_base_b,comdat
	.globl	_ZN9rocsparseL21csrmvt_general_kernelILj256ELj4EllddddEEvbbT2_NS_24const_host_device_scalarIT6_EEPKT1_S7_PKS1_PKT3_PKT4_PT5_21rocsparse_index_base_b ; -- Begin function _ZN9rocsparseL21csrmvt_general_kernelILj256ELj4EllddddEEvbbT2_NS_24const_host_device_scalarIT6_EEPKT1_S7_PKS1_PKT3_PKT4_PT5_21rocsparse_index_base_b
	.p2align	8
	.type	_ZN9rocsparseL21csrmvt_general_kernelILj256ELj4EllddddEEvbbT2_NS_24const_host_device_scalarIT6_EEPKT1_S7_PKS1_PKT3_PKT4_PT5_21rocsparse_index_base_b,@function
_ZN9rocsparseL21csrmvt_general_kernelILj256ELj4EllddddEEvbbT2_NS_24const_host_device_scalarIT6_EEPKT1_S7_PKS1_PKT3_PKT4_PT5_21rocsparse_index_base_b: ; @_ZN9rocsparseL21csrmvt_general_kernelILj256ELj4EllddddEEvbbT2_NS_24const_host_device_scalarIT6_EEPKT1_S7_PKS1_PKT3_PKT4_PT5_21rocsparse_index_base_b
; %bb.0:
	s_clause 0x1
	s_load_b64 s[2:3], s[0:1], 0x48
	s_load_b256 s[4:11], s[0:1], 0x8
	s_wait_kmcnt 0x0
	s_bitcmp1_b32 s3, 0
	v_mov_b64_e32 v[2:3], s[6:7]
	s_cselect_b32 s3, -1, 0
	s_delay_alu instid0(SALU_CYCLE_1)
	s_and_b32 vcc_lo, exec_lo, s3
	s_cbranch_vccnz .LBB61_2
; %bb.1:
	v_mov_b32_e32 v1, 0
	flat_load_b64 v[2:3], v1, s[6:7]
.LBB61_2:
	s_mov_b32 s3, exec_lo
	s_wait_loadcnt_dscnt 0x0
	s_delay_alu instid0(VALU_DEP_1)
	v_cmpx_neq_f64_e32 0, v[2:3]
	s_cbranch_execz .LBB61_20
; %bb.3:
	s_clause 0x1
	s_load_b32 s3, s[0:1], 0x0
	s_load_b32 s6, s[0:1], 0x50
	s_bfe_u32 s7, ttmp6, 0x4000c
	s_and_b32 s12, ttmp6, 15
	s_add_co_i32 s7, s7, 1
	s_getreg_b32 s13, hwreg(HW_REG_IB_STS2, 6, 4)
	s_mul_i32 s7, ttmp9, s7
	v_mov_b32_e32 v5, 0
	s_add_co_i32 s7, s12, s7
	s_wait_kmcnt 0x0
	s_and_b32 s3, s3, 1
	s_lshl_b32 s6, s6, 6
	s_cmp_eq_u32 s13, 0
	s_load_b256 s[12:19], s[0:1], 0x28
	s_wait_xcnt 0x0
	s_cselect_b32 s0, ttmp9, s7
	s_mov_b32 s7, 0
	v_lshl_or_b32 v1, s0, 8, v0
	v_and_b32_e32 v0, 3, v0
	s_cmp_eq_u32 s3, 0
	s_mov_b32 s1, -1
	s_delay_alu instid0(VALU_DEP_2) | instskip(NEXT) | instid1(VALU_DEP_1)
	v_lshrrev_b32_e32 v4, 2, v1
	v_cmp_gt_i64_e64 s0, s[4:5], v[4:5]
	s_cbranch_scc0 .LBB61_11
; %bb.4:
	s_and_saveexec_b32 s1, s0
	s_cbranch_execz .LBB61_10
; %bb.5:
	v_mov_b32_e32 v1, 0
	s_mov_b32 s3, 0
	v_mov_b64_e32 v[8:9], v[4:5]
	s_mov_b32 s20, s3
	s_delay_alu instid0(VALU_DEP_2)
	v_sub_nc_u64_e64 v[6:7], v[0:1], s[2:3]
	s_branch .LBB61_7
.LBB61_6:                               ;   in Loop: Header=BB61_7 Depth=1
	s_or_b32 exec_lo, exec_lo, s21
	v_add_nc_u64_e32 v[8:9], s[6:7], v[8:9]
	s_delay_alu instid0(VALU_DEP_1) | instskip(SKIP_1) | instid1(SALU_CYCLE_1)
	v_cmp_le_i64_e32 vcc_lo, s[4:5], v[8:9]
	s_or_b32 s20, vcc_lo, s20
	s_and_not1_b32 exec_lo, exec_lo, s20
	s_cbranch_execz .LBB61_10
.LBB61_7:                               ; =>This Loop Header: Depth=1
                                        ;     Child Loop BB61_9 Depth 2
	s_delay_alu instid0(VALU_DEP_2) | instskip(SKIP_1) | instid1(VALU_DEP_1)
	v_lshlrev_b64_e32 v[10:11], 3, v[8:9]
	s_mov_b32 s21, exec_lo
	v_add_nc_u64_e32 v[12:13], s[10:11], v[10:11]
	v_add_nc_u64_e32 v[10:11], s[8:9], v[10:11]
	global_load_b64 v[14:15], v[12:13], off
	global_load_b64 v[16:17], v[10:11], off
	s_wait_loadcnt 0x1
	s_wait_xcnt 0x0
	v_sub_nc_u64_e64 v[10:11], v[14:15], s[2:3]
	s_wait_loadcnt 0x0
	v_add_nc_u64_e32 v[12:13], v[16:17], v[6:7]
	s_delay_alu instid0(VALU_DEP_1)
	v_cmpx_lt_i64_e64 v[12:13], v[10:11]
	s_cbranch_execz .LBB61_6
; %bb.8:                                ;   in Loop: Header=BB61_7 Depth=1
	s_wait_kmcnt 0x0
	v_lshl_add_u64 v[14:15], v[8:9], 3, s[16:17]
	v_lshlrev_b64_e32 v[18:19], 3, v[12:13]
	s_mov_b32 s22, 0
	global_load_b64 v[14:15], v[14:15], off
	v_add_nc_u64_e32 v[16:17], s[12:13], v[18:19]
	v_add_nc_u64_e32 v[18:19], s[14:15], v[18:19]
	s_wait_loadcnt 0x0
	s_wait_xcnt 0x0
	v_mul_f64_e32 v[14:15], v[2:3], v[14:15]
.LBB61_9:                               ;   Parent Loop BB61_7 Depth=1
                                        ; =>  This Inner Loop Header: Depth=2
	global_load_b64 v[20:21], v[18:19], off
	global_load_b64 v[22:23], v[16:17], off
	v_add_nc_u64_e32 v[12:13], 4, v[12:13]
	s_wait_xcnt 0x0
	v_add_nc_u64_e32 v[16:17], 32, v[16:17]
	v_add_nc_u64_e32 v[18:19], 32, v[18:19]
	s_delay_alu instid0(VALU_DEP_3)
	v_cmp_ge_i64_e32 vcc_lo, v[12:13], v[10:11]
	s_or_b32 s22, vcc_lo, s22
	s_wait_loadcnt 0x1
	v_mul_f64_e32 v[20:21], v[14:15], v[20:21]
	s_wait_loadcnt 0x0
	v_sub_nc_u64_e64 v[22:23], v[22:23], s[2:3]
	s_delay_alu instid0(VALU_DEP_1)
	v_lshl_add_u64 v[22:23], v[22:23], 3, s[18:19]
	global_atomic_add_f64 v[22:23], v[20:21], off scope:SCOPE_DEV
	s_wait_xcnt 0x0
	s_and_not1_b32 exec_lo, exec_lo, s22
	s_cbranch_execnz .LBB61_9
	s_branch .LBB61_6
.LBB61_10:
	s_or_b32 exec_lo, exec_lo, s1
	s_mov_b32 s1, 0
.LBB61_11:
	s_delay_alu instid0(SALU_CYCLE_1)
	s_and_not1_b32 vcc_lo, exec_lo, s1
	s_cbranch_vccnz .LBB61_20
; %bb.12:
	s_and_b32 exec_lo, exec_lo, s0
	s_cbranch_execz .LBB61_20
; %bb.13:
	v_mov_b32_e32 v1, 0
	s_mov_b32 s3, 0
	s_delay_alu instid0(SALU_CYCLE_1) | instskip(NEXT) | instid1(VALU_DEP_1)
	s_mov_b32 s0, s3
	v_sub_nc_u64_e64 v[0:1], v[0:1], s[2:3]
	s_branch .LBB61_15
.LBB61_14:                              ;   in Loop: Header=BB61_15 Depth=1
	s_or_b32 exec_lo, exec_lo, s1
	v_add_nc_u64_e32 v[4:5], s[6:7], v[4:5]
	s_delay_alu instid0(VALU_DEP_1) | instskip(SKIP_1) | instid1(SALU_CYCLE_1)
	v_cmp_le_i64_e32 vcc_lo, s[4:5], v[4:5]
	s_or_b32 s0, vcc_lo, s0
	s_and_not1_b32 exec_lo, exec_lo, s0
	s_cbranch_execz .LBB61_20
.LBB61_15:                              ; =>This Loop Header: Depth=1
                                        ;     Child Loop BB61_18 Depth 2
	v_lshlrev_b64_e32 v[6:7], 3, v[4:5]
	s_mov_b32 s1, exec_lo
	s_delay_alu instid0(VALU_DEP_1)
	v_add_nc_u64_e32 v[8:9], s[10:11], v[6:7]
	v_add_nc_u64_e32 v[6:7], s[8:9], v[6:7]
	global_load_b64 v[10:11], v[8:9], off
	global_load_b64 v[12:13], v[6:7], off
	s_wait_loadcnt 0x1
	s_wait_xcnt 0x0
	v_sub_nc_u64_e64 v[6:7], v[10:11], s[2:3]
	s_wait_loadcnt 0x0
	v_add_nc_u64_e32 v[8:9], v[12:13], v[0:1]
	s_delay_alu instid0(VALU_DEP_1)
	v_cmpx_lt_i64_e64 v[8:9], v[6:7]
	s_cbranch_execz .LBB61_14
; %bb.16:                               ;   in Loop: Header=BB61_15 Depth=1
	s_wait_kmcnt 0x0
	v_lshl_add_u64 v[10:11], v[4:5], 3, s[16:17]
	v_lshlrev_b64_e32 v[14:15], 3, v[8:9]
	s_mov_b32 s20, 0
	global_load_b64 v[10:11], v[10:11], off
	v_add_nc_u64_e32 v[12:13], s[12:13], v[14:15]
	v_add_nc_u64_e32 v[14:15], s[14:15], v[14:15]
	s_wait_loadcnt 0x0
	v_mul_f64_e32 v[10:11], v[2:3], v[10:11]
	s_branch .LBB61_18
.LBB61_17:                              ;   in Loop: Header=BB61_18 Depth=2
	s_wait_xcnt 0x0
	s_or_b32 exec_lo, exec_lo, s21
	v_add_nc_u64_e32 v[8:9], 4, v[8:9]
	v_add_nc_u64_e32 v[12:13], 32, v[12:13]
	;; [unrolled: 1-line block ×3, first 2 shown]
	s_delay_alu instid0(VALU_DEP_3) | instskip(SKIP_1) | instid1(SALU_CYCLE_1)
	v_cmp_ge_i64_e32 vcc_lo, v[8:9], v[6:7]
	s_or_b32 s20, vcc_lo, s20
	s_and_not1_b32 exec_lo, exec_lo, s20
	s_cbranch_execz .LBB61_14
.LBB61_18:                              ;   Parent Loop BB61_15 Depth=1
                                        ; =>  This Inner Loop Header: Depth=2
	global_load_b64 v[16:17], v[12:13], off
	s_mov_b32 s21, exec_lo
	s_wait_loadcnt 0x0
	v_sub_nc_u64_e64 v[16:17], v[16:17], s[2:3]
	s_wait_xcnt 0x0
	s_delay_alu instid0(VALU_DEP_1)
	v_cmpx_ne_u64_e64 v[16:17], v[4:5]
	s_cbranch_execz .LBB61_17
; %bb.19:                               ;   in Loop: Header=BB61_18 Depth=2
	global_load_b64 v[18:19], v[14:15], off
	v_lshl_add_u64 v[16:17], v[16:17], 3, s[18:19]
	s_wait_loadcnt 0x0
	v_mul_f64_e32 v[18:19], v[10:11], v[18:19]
	s_wait_xcnt 0x0
	global_atomic_add_f64 v[16:17], v[18:19], off scope:SCOPE_DEV
	s_branch .LBB61_17
.LBB61_20:
	s_endpgm
	.section	.rodata,"a",@progbits
	.p2align	6, 0x0
	.amdhsa_kernel _ZN9rocsparseL21csrmvt_general_kernelILj256ELj4EllddddEEvbbT2_NS_24const_host_device_scalarIT6_EEPKT1_S7_PKS1_PKT3_PKT4_PT5_21rocsparse_index_base_b
		.amdhsa_group_segment_fixed_size 0
		.amdhsa_private_segment_fixed_size 0
		.amdhsa_kernarg_size 336
		.amdhsa_user_sgpr_count 2
		.amdhsa_user_sgpr_dispatch_ptr 0
		.amdhsa_user_sgpr_queue_ptr 0
		.amdhsa_user_sgpr_kernarg_segment_ptr 1
		.amdhsa_user_sgpr_dispatch_id 0
		.amdhsa_user_sgpr_kernarg_preload_length 0
		.amdhsa_user_sgpr_kernarg_preload_offset 0
		.amdhsa_user_sgpr_private_segment_size 0
		.amdhsa_wavefront_size32 1
		.amdhsa_uses_dynamic_stack 0
		.amdhsa_enable_private_segment 0
		.amdhsa_system_sgpr_workgroup_id_x 1
		.amdhsa_system_sgpr_workgroup_id_y 0
		.amdhsa_system_sgpr_workgroup_id_z 0
		.amdhsa_system_sgpr_workgroup_info 0
		.amdhsa_system_vgpr_workitem_id 0
		.amdhsa_next_free_vgpr 24
		.amdhsa_next_free_sgpr 23
		.amdhsa_named_barrier_count 0
		.amdhsa_reserve_vcc 1
		.amdhsa_float_round_mode_32 0
		.amdhsa_float_round_mode_16_64 0
		.amdhsa_float_denorm_mode_32 3
		.amdhsa_float_denorm_mode_16_64 3
		.amdhsa_fp16_overflow 0
		.amdhsa_memory_ordered 1
		.amdhsa_forward_progress 1
		.amdhsa_inst_pref_size 7
		.amdhsa_round_robin_scheduling 0
		.amdhsa_exception_fp_ieee_invalid_op 0
		.amdhsa_exception_fp_denorm_src 0
		.amdhsa_exception_fp_ieee_div_zero 0
		.amdhsa_exception_fp_ieee_overflow 0
		.amdhsa_exception_fp_ieee_underflow 0
		.amdhsa_exception_fp_ieee_inexact 0
		.amdhsa_exception_int_div_zero 0
	.end_amdhsa_kernel
	.section	.text._ZN9rocsparseL21csrmvt_general_kernelILj256ELj4EllddddEEvbbT2_NS_24const_host_device_scalarIT6_EEPKT1_S7_PKS1_PKT3_PKT4_PT5_21rocsparse_index_base_b,"axG",@progbits,_ZN9rocsparseL21csrmvt_general_kernelILj256ELj4EllddddEEvbbT2_NS_24const_host_device_scalarIT6_EEPKT1_S7_PKS1_PKT3_PKT4_PT5_21rocsparse_index_base_b,comdat
.Lfunc_end61:
	.size	_ZN9rocsparseL21csrmvt_general_kernelILj256ELj4EllddddEEvbbT2_NS_24const_host_device_scalarIT6_EEPKT1_S7_PKS1_PKT3_PKT4_PT5_21rocsparse_index_base_b, .Lfunc_end61-_ZN9rocsparseL21csrmvt_general_kernelILj256ELj4EllddddEEvbbT2_NS_24const_host_device_scalarIT6_EEPKT1_S7_PKS1_PKT3_PKT4_PT5_21rocsparse_index_base_b
                                        ; -- End function
	.set _ZN9rocsparseL21csrmvt_general_kernelILj256ELj4EllddddEEvbbT2_NS_24const_host_device_scalarIT6_EEPKT1_S7_PKS1_PKT3_PKT4_PT5_21rocsparse_index_base_b.num_vgpr, 24
	.set _ZN9rocsparseL21csrmvt_general_kernelILj256ELj4EllddddEEvbbT2_NS_24const_host_device_scalarIT6_EEPKT1_S7_PKS1_PKT3_PKT4_PT5_21rocsparse_index_base_b.num_agpr, 0
	.set _ZN9rocsparseL21csrmvt_general_kernelILj256ELj4EllddddEEvbbT2_NS_24const_host_device_scalarIT6_EEPKT1_S7_PKS1_PKT3_PKT4_PT5_21rocsparse_index_base_b.numbered_sgpr, 23
	.set _ZN9rocsparseL21csrmvt_general_kernelILj256ELj4EllddddEEvbbT2_NS_24const_host_device_scalarIT6_EEPKT1_S7_PKS1_PKT3_PKT4_PT5_21rocsparse_index_base_b.num_named_barrier, 0
	.set _ZN9rocsparseL21csrmvt_general_kernelILj256ELj4EllddddEEvbbT2_NS_24const_host_device_scalarIT6_EEPKT1_S7_PKS1_PKT3_PKT4_PT5_21rocsparse_index_base_b.private_seg_size, 0
	.set _ZN9rocsparseL21csrmvt_general_kernelILj256ELj4EllddddEEvbbT2_NS_24const_host_device_scalarIT6_EEPKT1_S7_PKS1_PKT3_PKT4_PT5_21rocsparse_index_base_b.uses_vcc, 1
	.set _ZN9rocsparseL21csrmvt_general_kernelILj256ELj4EllddddEEvbbT2_NS_24const_host_device_scalarIT6_EEPKT1_S7_PKS1_PKT3_PKT4_PT5_21rocsparse_index_base_b.uses_flat_scratch, 0
	.set _ZN9rocsparseL21csrmvt_general_kernelILj256ELj4EllddddEEvbbT2_NS_24const_host_device_scalarIT6_EEPKT1_S7_PKS1_PKT3_PKT4_PT5_21rocsparse_index_base_b.has_dyn_sized_stack, 0
	.set _ZN9rocsparseL21csrmvt_general_kernelILj256ELj4EllddddEEvbbT2_NS_24const_host_device_scalarIT6_EEPKT1_S7_PKS1_PKT3_PKT4_PT5_21rocsparse_index_base_b.has_recursion, 0
	.set _ZN9rocsparseL21csrmvt_general_kernelILj256ELj4EllddddEEvbbT2_NS_24const_host_device_scalarIT6_EEPKT1_S7_PKS1_PKT3_PKT4_PT5_21rocsparse_index_base_b.has_indirect_call, 0
	.section	.AMDGPU.csdata,"",@progbits
; Kernel info:
; codeLenInByte = 888
; TotalNumSgprs: 25
; NumVgprs: 24
; ScratchSize: 0
; MemoryBound: 0
; FloatMode: 240
; IeeeMode: 1
; LDSByteSize: 0 bytes/workgroup (compile time only)
; SGPRBlocks: 0
; VGPRBlocks: 1
; NumSGPRsForWavesPerEU: 25
; NumVGPRsForWavesPerEU: 24
; NamedBarCnt: 0
; Occupancy: 16
; WaveLimiterHint : 1
; COMPUTE_PGM_RSRC2:SCRATCH_EN: 0
; COMPUTE_PGM_RSRC2:USER_SGPR: 2
; COMPUTE_PGM_RSRC2:TRAP_HANDLER: 0
; COMPUTE_PGM_RSRC2:TGID_X_EN: 1
; COMPUTE_PGM_RSRC2:TGID_Y_EN: 0
; COMPUTE_PGM_RSRC2:TGID_Z_EN: 0
; COMPUTE_PGM_RSRC2:TIDIG_COMP_CNT: 0
	.section	.text._ZN9rocsparseL21csrmvt_general_kernelILj256ELj8EllddddEEvbbT2_NS_24const_host_device_scalarIT6_EEPKT1_S7_PKS1_PKT3_PKT4_PT5_21rocsparse_index_base_b,"axG",@progbits,_ZN9rocsparseL21csrmvt_general_kernelILj256ELj8EllddddEEvbbT2_NS_24const_host_device_scalarIT6_EEPKT1_S7_PKS1_PKT3_PKT4_PT5_21rocsparse_index_base_b,comdat
	.globl	_ZN9rocsparseL21csrmvt_general_kernelILj256ELj8EllddddEEvbbT2_NS_24const_host_device_scalarIT6_EEPKT1_S7_PKS1_PKT3_PKT4_PT5_21rocsparse_index_base_b ; -- Begin function _ZN9rocsparseL21csrmvt_general_kernelILj256ELj8EllddddEEvbbT2_NS_24const_host_device_scalarIT6_EEPKT1_S7_PKS1_PKT3_PKT4_PT5_21rocsparse_index_base_b
	.p2align	8
	.type	_ZN9rocsparseL21csrmvt_general_kernelILj256ELj8EllddddEEvbbT2_NS_24const_host_device_scalarIT6_EEPKT1_S7_PKS1_PKT3_PKT4_PT5_21rocsparse_index_base_b,@function
_ZN9rocsparseL21csrmvt_general_kernelILj256ELj8EllddddEEvbbT2_NS_24const_host_device_scalarIT6_EEPKT1_S7_PKS1_PKT3_PKT4_PT5_21rocsparse_index_base_b: ; @_ZN9rocsparseL21csrmvt_general_kernelILj256ELj8EllddddEEvbbT2_NS_24const_host_device_scalarIT6_EEPKT1_S7_PKS1_PKT3_PKT4_PT5_21rocsparse_index_base_b
; %bb.0:
	s_clause 0x1
	s_load_b64 s[2:3], s[0:1], 0x48
	s_load_b256 s[4:11], s[0:1], 0x8
	s_wait_kmcnt 0x0
	s_bitcmp1_b32 s3, 0
	v_mov_b64_e32 v[2:3], s[6:7]
	s_cselect_b32 s3, -1, 0
	s_delay_alu instid0(SALU_CYCLE_1)
	s_and_b32 vcc_lo, exec_lo, s3
	s_cbranch_vccnz .LBB62_2
; %bb.1:
	v_mov_b32_e32 v1, 0
	flat_load_b64 v[2:3], v1, s[6:7]
.LBB62_2:
	s_mov_b32 s3, exec_lo
	s_wait_loadcnt_dscnt 0x0
	s_delay_alu instid0(VALU_DEP_1)
	v_cmpx_neq_f64_e32 0, v[2:3]
	s_cbranch_execz .LBB62_20
; %bb.3:
	s_clause 0x1
	s_load_b32 s3, s[0:1], 0x0
	s_load_b32 s6, s[0:1], 0x50
	s_bfe_u32 s7, ttmp6, 0x4000c
	s_and_b32 s12, ttmp6, 15
	s_add_co_i32 s7, s7, 1
	s_getreg_b32 s13, hwreg(HW_REG_IB_STS2, 6, 4)
	s_mul_i32 s7, ttmp9, s7
	v_mov_b32_e32 v5, 0
	s_add_co_i32 s7, s12, s7
	s_wait_kmcnt 0x0
	s_and_b32 s3, s3, 1
	s_lshl_b32 s6, s6, 5
	s_cmp_eq_u32 s13, 0
	s_load_b256 s[12:19], s[0:1], 0x28
	s_wait_xcnt 0x0
	s_cselect_b32 s0, ttmp9, s7
	s_mov_b32 s7, 0
	v_lshl_or_b32 v1, s0, 8, v0
	v_and_b32_e32 v0, 7, v0
	s_cmp_eq_u32 s3, 0
	s_mov_b32 s1, -1
	s_delay_alu instid0(VALU_DEP_2) | instskip(NEXT) | instid1(VALU_DEP_1)
	v_lshrrev_b32_e32 v4, 3, v1
	v_cmp_gt_i64_e64 s0, s[4:5], v[4:5]
	s_cbranch_scc0 .LBB62_11
; %bb.4:
	s_and_saveexec_b32 s1, s0
	s_cbranch_execz .LBB62_10
; %bb.5:
	v_mov_b32_e32 v1, 0
	s_mov_b32 s3, 0
	v_mov_b64_e32 v[8:9], v[4:5]
	s_mov_b32 s20, s3
	s_delay_alu instid0(VALU_DEP_2)
	v_sub_nc_u64_e64 v[6:7], v[0:1], s[2:3]
	s_branch .LBB62_7
.LBB62_6:                               ;   in Loop: Header=BB62_7 Depth=1
	s_or_b32 exec_lo, exec_lo, s21
	v_add_nc_u64_e32 v[8:9], s[6:7], v[8:9]
	s_delay_alu instid0(VALU_DEP_1) | instskip(SKIP_1) | instid1(SALU_CYCLE_1)
	v_cmp_le_i64_e32 vcc_lo, s[4:5], v[8:9]
	s_or_b32 s20, vcc_lo, s20
	s_and_not1_b32 exec_lo, exec_lo, s20
	s_cbranch_execz .LBB62_10
.LBB62_7:                               ; =>This Loop Header: Depth=1
                                        ;     Child Loop BB62_9 Depth 2
	s_delay_alu instid0(VALU_DEP_2) | instskip(SKIP_1) | instid1(VALU_DEP_1)
	v_lshlrev_b64_e32 v[10:11], 3, v[8:9]
	s_mov_b32 s21, exec_lo
	v_add_nc_u64_e32 v[12:13], s[10:11], v[10:11]
	v_add_nc_u64_e32 v[10:11], s[8:9], v[10:11]
	global_load_b64 v[14:15], v[12:13], off
	global_load_b64 v[16:17], v[10:11], off
	s_wait_loadcnt 0x1
	s_wait_xcnt 0x0
	v_sub_nc_u64_e64 v[10:11], v[14:15], s[2:3]
	s_wait_loadcnt 0x0
	v_add_nc_u64_e32 v[12:13], v[16:17], v[6:7]
	s_delay_alu instid0(VALU_DEP_1)
	v_cmpx_lt_i64_e64 v[12:13], v[10:11]
	s_cbranch_execz .LBB62_6
; %bb.8:                                ;   in Loop: Header=BB62_7 Depth=1
	s_wait_kmcnt 0x0
	v_lshl_add_u64 v[14:15], v[8:9], 3, s[16:17]
	v_lshlrev_b64_e32 v[18:19], 3, v[12:13]
	s_mov_b32 s22, 0
	global_load_b64 v[14:15], v[14:15], off
	v_add_nc_u64_e32 v[16:17], s[12:13], v[18:19]
	v_add_nc_u64_e32 v[18:19], s[14:15], v[18:19]
	s_wait_loadcnt 0x0
	s_wait_xcnt 0x0
	v_mul_f64_e32 v[14:15], v[2:3], v[14:15]
.LBB62_9:                               ;   Parent Loop BB62_7 Depth=1
                                        ; =>  This Inner Loop Header: Depth=2
	global_load_b64 v[20:21], v[18:19], off
	global_load_b64 v[22:23], v[16:17], off
	v_add_nc_u64_e32 v[12:13], 8, v[12:13]
	s_wait_xcnt 0x0
	v_add_nc_u64_e32 v[16:17], 64, v[16:17]
	v_add_nc_u64_e32 v[18:19], 64, v[18:19]
	s_delay_alu instid0(VALU_DEP_3)
	v_cmp_ge_i64_e32 vcc_lo, v[12:13], v[10:11]
	s_or_b32 s22, vcc_lo, s22
	s_wait_loadcnt 0x1
	v_mul_f64_e32 v[20:21], v[14:15], v[20:21]
	s_wait_loadcnt 0x0
	v_sub_nc_u64_e64 v[22:23], v[22:23], s[2:3]
	s_delay_alu instid0(VALU_DEP_1)
	v_lshl_add_u64 v[22:23], v[22:23], 3, s[18:19]
	global_atomic_add_f64 v[22:23], v[20:21], off scope:SCOPE_DEV
	s_wait_xcnt 0x0
	s_and_not1_b32 exec_lo, exec_lo, s22
	s_cbranch_execnz .LBB62_9
	s_branch .LBB62_6
.LBB62_10:
	s_or_b32 exec_lo, exec_lo, s1
	s_mov_b32 s1, 0
.LBB62_11:
	s_delay_alu instid0(SALU_CYCLE_1)
	s_and_not1_b32 vcc_lo, exec_lo, s1
	s_cbranch_vccnz .LBB62_20
; %bb.12:
	s_and_b32 exec_lo, exec_lo, s0
	s_cbranch_execz .LBB62_20
; %bb.13:
	v_mov_b32_e32 v1, 0
	s_mov_b32 s3, 0
	s_delay_alu instid0(SALU_CYCLE_1) | instskip(NEXT) | instid1(VALU_DEP_1)
	s_mov_b32 s0, s3
	v_sub_nc_u64_e64 v[0:1], v[0:1], s[2:3]
	s_branch .LBB62_15
.LBB62_14:                              ;   in Loop: Header=BB62_15 Depth=1
	s_or_b32 exec_lo, exec_lo, s1
	v_add_nc_u64_e32 v[4:5], s[6:7], v[4:5]
	s_delay_alu instid0(VALU_DEP_1) | instskip(SKIP_1) | instid1(SALU_CYCLE_1)
	v_cmp_le_i64_e32 vcc_lo, s[4:5], v[4:5]
	s_or_b32 s0, vcc_lo, s0
	s_and_not1_b32 exec_lo, exec_lo, s0
	s_cbranch_execz .LBB62_20
.LBB62_15:                              ; =>This Loop Header: Depth=1
                                        ;     Child Loop BB62_18 Depth 2
	v_lshlrev_b64_e32 v[6:7], 3, v[4:5]
	s_mov_b32 s1, exec_lo
	s_delay_alu instid0(VALU_DEP_1)
	v_add_nc_u64_e32 v[8:9], s[10:11], v[6:7]
	v_add_nc_u64_e32 v[6:7], s[8:9], v[6:7]
	global_load_b64 v[10:11], v[8:9], off
	global_load_b64 v[12:13], v[6:7], off
	s_wait_loadcnt 0x1
	s_wait_xcnt 0x0
	v_sub_nc_u64_e64 v[6:7], v[10:11], s[2:3]
	s_wait_loadcnt 0x0
	v_add_nc_u64_e32 v[8:9], v[12:13], v[0:1]
	s_delay_alu instid0(VALU_DEP_1)
	v_cmpx_lt_i64_e64 v[8:9], v[6:7]
	s_cbranch_execz .LBB62_14
; %bb.16:                               ;   in Loop: Header=BB62_15 Depth=1
	s_wait_kmcnt 0x0
	v_lshl_add_u64 v[10:11], v[4:5], 3, s[16:17]
	v_lshlrev_b64_e32 v[14:15], 3, v[8:9]
	s_mov_b32 s20, 0
	global_load_b64 v[10:11], v[10:11], off
	v_add_nc_u64_e32 v[12:13], s[12:13], v[14:15]
	v_add_nc_u64_e32 v[14:15], s[14:15], v[14:15]
	s_wait_loadcnt 0x0
	v_mul_f64_e32 v[10:11], v[2:3], v[10:11]
	s_branch .LBB62_18
.LBB62_17:                              ;   in Loop: Header=BB62_18 Depth=2
	s_wait_xcnt 0x0
	s_or_b32 exec_lo, exec_lo, s21
	v_add_nc_u64_e32 v[8:9], 8, v[8:9]
	v_add_nc_u64_e32 v[12:13], 64, v[12:13]
	;; [unrolled: 1-line block ×3, first 2 shown]
	s_delay_alu instid0(VALU_DEP_3) | instskip(SKIP_1) | instid1(SALU_CYCLE_1)
	v_cmp_ge_i64_e32 vcc_lo, v[8:9], v[6:7]
	s_or_b32 s20, vcc_lo, s20
	s_and_not1_b32 exec_lo, exec_lo, s20
	s_cbranch_execz .LBB62_14
.LBB62_18:                              ;   Parent Loop BB62_15 Depth=1
                                        ; =>  This Inner Loop Header: Depth=2
	global_load_b64 v[16:17], v[12:13], off
	s_mov_b32 s21, exec_lo
	s_wait_loadcnt 0x0
	v_sub_nc_u64_e64 v[16:17], v[16:17], s[2:3]
	s_wait_xcnt 0x0
	s_delay_alu instid0(VALU_DEP_1)
	v_cmpx_ne_u64_e64 v[16:17], v[4:5]
	s_cbranch_execz .LBB62_17
; %bb.19:                               ;   in Loop: Header=BB62_18 Depth=2
	global_load_b64 v[18:19], v[14:15], off
	v_lshl_add_u64 v[16:17], v[16:17], 3, s[18:19]
	s_wait_loadcnt 0x0
	v_mul_f64_e32 v[18:19], v[10:11], v[18:19]
	s_wait_xcnt 0x0
	global_atomic_add_f64 v[16:17], v[18:19], off scope:SCOPE_DEV
	s_branch .LBB62_17
.LBB62_20:
	s_endpgm
	.section	.rodata,"a",@progbits
	.p2align	6, 0x0
	.amdhsa_kernel _ZN9rocsparseL21csrmvt_general_kernelILj256ELj8EllddddEEvbbT2_NS_24const_host_device_scalarIT6_EEPKT1_S7_PKS1_PKT3_PKT4_PT5_21rocsparse_index_base_b
		.amdhsa_group_segment_fixed_size 0
		.amdhsa_private_segment_fixed_size 0
		.amdhsa_kernarg_size 336
		.amdhsa_user_sgpr_count 2
		.amdhsa_user_sgpr_dispatch_ptr 0
		.amdhsa_user_sgpr_queue_ptr 0
		.amdhsa_user_sgpr_kernarg_segment_ptr 1
		.amdhsa_user_sgpr_dispatch_id 0
		.amdhsa_user_sgpr_kernarg_preload_length 0
		.amdhsa_user_sgpr_kernarg_preload_offset 0
		.amdhsa_user_sgpr_private_segment_size 0
		.amdhsa_wavefront_size32 1
		.amdhsa_uses_dynamic_stack 0
		.amdhsa_enable_private_segment 0
		.amdhsa_system_sgpr_workgroup_id_x 1
		.amdhsa_system_sgpr_workgroup_id_y 0
		.amdhsa_system_sgpr_workgroup_id_z 0
		.amdhsa_system_sgpr_workgroup_info 0
		.amdhsa_system_vgpr_workitem_id 0
		.amdhsa_next_free_vgpr 24
		.amdhsa_next_free_sgpr 23
		.amdhsa_named_barrier_count 0
		.amdhsa_reserve_vcc 1
		.amdhsa_float_round_mode_32 0
		.amdhsa_float_round_mode_16_64 0
		.amdhsa_float_denorm_mode_32 3
		.amdhsa_float_denorm_mode_16_64 3
		.amdhsa_fp16_overflow 0
		.amdhsa_memory_ordered 1
		.amdhsa_forward_progress 1
		.amdhsa_inst_pref_size 7
		.amdhsa_round_robin_scheduling 0
		.amdhsa_exception_fp_ieee_invalid_op 0
		.amdhsa_exception_fp_denorm_src 0
		.amdhsa_exception_fp_ieee_div_zero 0
		.amdhsa_exception_fp_ieee_overflow 0
		.amdhsa_exception_fp_ieee_underflow 0
		.amdhsa_exception_fp_ieee_inexact 0
		.amdhsa_exception_int_div_zero 0
	.end_amdhsa_kernel
	.section	.text._ZN9rocsparseL21csrmvt_general_kernelILj256ELj8EllddddEEvbbT2_NS_24const_host_device_scalarIT6_EEPKT1_S7_PKS1_PKT3_PKT4_PT5_21rocsparse_index_base_b,"axG",@progbits,_ZN9rocsparseL21csrmvt_general_kernelILj256ELj8EllddddEEvbbT2_NS_24const_host_device_scalarIT6_EEPKT1_S7_PKS1_PKT3_PKT4_PT5_21rocsparse_index_base_b,comdat
.Lfunc_end62:
	.size	_ZN9rocsparseL21csrmvt_general_kernelILj256ELj8EllddddEEvbbT2_NS_24const_host_device_scalarIT6_EEPKT1_S7_PKS1_PKT3_PKT4_PT5_21rocsparse_index_base_b, .Lfunc_end62-_ZN9rocsparseL21csrmvt_general_kernelILj256ELj8EllddddEEvbbT2_NS_24const_host_device_scalarIT6_EEPKT1_S7_PKS1_PKT3_PKT4_PT5_21rocsparse_index_base_b
                                        ; -- End function
	.set _ZN9rocsparseL21csrmvt_general_kernelILj256ELj8EllddddEEvbbT2_NS_24const_host_device_scalarIT6_EEPKT1_S7_PKS1_PKT3_PKT4_PT5_21rocsparse_index_base_b.num_vgpr, 24
	.set _ZN9rocsparseL21csrmvt_general_kernelILj256ELj8EllddddEEvbbT2_NS_24const_host_device_scalarIT6_EEPKT1_S7_PKS1_PKT3_PKT4_PT5_21rocsparse_index_base_b.num_agpr, 0
	.set _ZN9rocsparseL21csrmvt_general_kernelILj256ELj8EllddddEEvbbT2_NS_24const_host_device_scalarIT6_EEPKT1_S7_PKS1_PKT3_PKT4_PT5_21rocsparse_index_base_b.numbered_sgpr, 23
	.set _ZN9rocsparseL21csrmvt_general_kernelILj256ELj8EllddddEEvbbT2_NS_24const_host_device_scalarIT6_EEPKT1_S7_PKS1_PKT3_PKT4_PT5_21rocsparse_index_base_b.num_named_barrier, 0
	.set _ZN9rocsparseL21csrmvt_general_kernelILj256ELj8EllddddEEvbbT2_NS_24const_host_device_scalarIT6_EEPKT1_S7_PKS1_PKT3_PKT4_PT5_21rocsparse_index_base_b.private_seg_size, 0
	.set _ZN9rocsparseL21csrmvt_general_kernelILj256ELj8EllddddEEvbbT2_NS_24const_host_device_scalarIT6_EEPKT1_S7_PKS1_PKT3_PKT4_PT5_21rocsparse_index_base_b.uses_vcc, 1
	.set _ZN9rocsparseL21csrmvt_general_kernelILj256ELj8EllddddEEvbbT2_NS_24const_host_device_scalarIT6_EEPKT1_S7_PKS1_PKT3_PKT4_PT5_21rocsparse_index_base_b.uses_flat_scratch, 0
	.set _ZN9rocsparseL21csrmvt_general_kernelILj256ELj8EllddddEEvbbT2_NS_24const_host_device_scalarIT6_EEPKT1_S7_PKS1_PKT3_PKT4_PT5_21rocsparse_index_base_b.has_dyn_sized_stack, 0
	.set _ZN9rocsparseL21csrmvt_general_kernelILj256ELj8EllddddEEvbbT2_NS_24const_host_device_scalarIT6_EEPKT1_S7_PKS1_PKT3_PKT4_PT5_21rocsparse_index_base_b.has_recursion, 0
	.set _ZN9rocsparseL21csrmvt_general_kernelILj256ELj8EllddddEEvbbT2_NS_24const_host_device_scalarIT6_EEPKT1_S7_PKS1_PKT3_PKT4_PT5_21rocsparse_index_base_b.has_indirect_call, 0
	.section	.AMDGPU.csdata,"",@progbits
; Kernel info:
; codeLenInByte = 888
; TotalNumSgprs: 25
; NumVgprs: 24
; ScratchSize: 0
; MemoryBound: 0
; FloatMode: 240
; IeeeMode: 1
; LDSByteSize: 0 bytes/workgroup (compile time only)
; SGPRBlocks: 0
; VGPRBlocks: 1
; NumSGPRsForWavesPerEU: 25
; NumVGPRsForWavesPerEU: 24
; NamedBarCnt: 0
; Occupancy: 16
; WaveLimiterHint : 1
; COMPUTE_PGM_RSRC2:SCRATCH_EN: 0
; COMPUTE_PGM_RSRC2:USER_SGPR: 2
; COMPUTE_PGM_RSRC2:TRAP_HANDLER: 0
; COMPUTE_PGM_RSRC2:TGID_X_EN: 1
; COMPUTE_PGM_RSRC2:TGID_Y_EN: 0
; COMPUTE_PGM_RSRC2:TGID_Z_EN: 0
; COMPUTE_PGM_RSRC2:TIDIG_COMP_CNT: 0
	.section	.text._ZN9rocsparseL21csrmvt_general_kernelILj256ELj16EllddddEEvbbT2_NS_24const_host_device_scalarIT6_EEPKT1_S7_PKS1_PKT3_PKT4_PT5_21rocsparse_index_base_b,"axG",@progbits,_ZN9rocsparseL21csrmvt_general_kernelILj256ELj16EllddddEEvbbT2_NS_24const_host_device_scalarIT6_EEPKT1_S7_PKS1_PKT3_PKT4_PT5_21rocsparse_index_base_b,comdat
	.globl	_ZN9rocsparseL21csrmvt_general_kernelILj256ELj16EllddddEEvbbT2_NS_24const_host_device_scalarIT6_EEPKT1_S7_PKS1_PKT3_PKT4_PT5_21rocsparse_index_base_b ; -- Begin function _ZN9rocsparseL21csrmvt_general_kernelILj256ELj16EllddddEEvbbT2_NS_24const_host_device_scalarIT6_EEPKT1_S7_PKS1_PKT3_PKT4_PT5_21rocsparse_index_base_b
	.p2align	8
	.type	_ZN9rocsparseL21csrmvt_general_kernelILj256ELj16EllddddEEvbbT2_NS_24const_host_device_scalarIT6_EEPKT1_S7_PKS1_PKT3_PKT4_PT5_21rocsparse_index_base_b,@function
_ZN9rocsparseL21csrmvt_general_kernelILj256ELj16EllddddEEvbbT2_NS_24const_host_device_scalarIT6_EEPKT1_S7_PKS1_PKT3_PKT4_PT5_21rocsparse_index_base_b: ; @_ZN9rocsparseL21csrmvt_general_kernelILj256ELj16EllddddEEvbbT2_NS_24const_host_device_scalarIT6_EEPKT1_S7_PKS1_PKT3_PKT4_PT5_21rocsparse_index_base_b
; %bb.0:
	s_clause 0x1
	s_load_b64 s[2:3], s[0:1], 0x48
	s_load_b256 s[4:11], s[0:1], 0x8
	s_wait_kmcnt 0x0
	s_bitcmp1_b32 s3, 0
	v_mov_b64_e32 v[2:3], s[6:7]
	s_cselect_b32 s3, -1, 0
	s_delay_alu instid0(SALU_CYCLE_1)
	s_and_b32 vcc_lo, exec_lo, s3
	s_cbranch_vccnz .LBB63_2
; %bb.1:
	v_mov_b32_e32 v1, 0
	flat_load_b64 v[2:3], v1, s[6:7]
.LBB63_2:
	s_mov_b32 s3, exec_lo
	s_wait_loadcnt_dscnt 0x0
	s_delay_alu instid0(VALU_DEP_1)
	v_cmpx_neq_f64_e32 0, v[2:3]
	s_cbranch_execz .LBB63_20
; %bb.3:
	s_clause 0x1
	s_load_b32 s3, s[0:1], 0x0
	s_load_b32 s6, s[0:1], 0x50
	s_bfe_u32 s7, ttmp6, 0x4000c
	s_and_b32 s12, ttmp6, 15
	s_add_co_i32 s7, s7, 1
	s_getreg_b32 s13, hwreg(HW_REG_IB_STS2, 6, 4)
	s_mul_i32 s7, ttmp9, s7
	v_mov_b32_e32 v5, 0
	s_add_co_i32 s7, s12, s7
	s_wait_kmcnt 0x0
	s_and_b32 s3, s3, 1
	s_lshl_b32 s6, s6, 4
	s_cmp_eq_u32 s13, 0
	s_load_b256 s[12:19], s[0:1], 0x28
	s_wait_xcnt 0x0
	s_cselect_b32 s0, ttmp9, s7
	s_mov_b32 s7, 0
	v_lshl_or_b32 v1, s0, 8, v0
	v_and_b32_e32 v0, 15, v0
	s_cmp_eq_u32 s3, 0
	s_mov_b32 s1, -1
	s_delay_alu instid0(VALU_DEP_2) | instskip(NEXT) | instid1(VALU_DEP_1)
	v_lshrrev_b32_e32 v4, 4, v1
	v_cmp_gt_i64_e64 s0, s[4:5], v[4:5]
	s_cbranch_scc0 .LBB63_11
; %bb.4:
	s_and_saveexec_b32 s1, s0
	s_cbranch_execz .LBB63_10
; %bb.5:
	v_mov_b32_e32 v1, 0
	s_mov_b32 s3, 0
	v_mov_b64_e32 v[8:9], v[4:5]
	s_mov_b32 s20, s3
	s_delay_alu instid0(VALU_DEP_2)
	v_sub_nc_u64_e64 v[6:7], v[0:1], s[2:3]
	s_branch .LBB63_7
.LBB63_6:                               ;   in Loop: Header=BB63_7 Depth=1
	s_or_b32 exec_lo, exec_lo, s21
	v_add_nc_u64_e32 v[8:9], s[6:7], v[8:9]
	s_delay_alu instid0(VALU_DEP_1) | instskip(SKIP_1) | instid1(SALU_CYCLE_1)
	v_cmp_le_i64_e32 vcc_lo, s[4:5], v[8:9]
	s_or_b32 s20, vcc_lo, s20
	s_and_not1_b32 exec_lo, exec_lo, s20
	s_cbranch_execz .LBB63_10
.LBB63_7:                               ; =>This Loop Header: Depth=1
                                        ;     Child Loop BB63_9 Depth 2
	s_delay_alu instid0(VALU_DEP_2) | instskip(SKIP_1) | instid1(VALU_DEP_1)
	v_lshlrev_b64_e32 v[10:11], 3, v[8:9]
	s_mov_b32 s21, exec_lo
	v_add_nc_u64_e32 v[12:13], s[10:11], v[10:11]
	v_add_nc_u64_e32 v[10:11], s[8:9], v[10:11]
	global_load_b64 v[14:15], v[12:13], off
	global_load_b64 v[16:17], v[10:11], off
	s_wait_loadcnt 0x1
	s_wait_xcnt 0x0
	v_sub_nc_u64_e64 v[10:11], v[14:15], s[2:3]
	s_wait_loadcnt 0x0
	v_add_nc_u64_e32 v[12:13], v[16:17], v[6:7]
	s_delay_alu instid0(VALU_DEP_1)
	v_cmpx_lt_i64_e64 v[12:13], v[10:11]
	s_cbranch_execz .LBB63_6
; %bb.8:                                ;   in Loop: Header=BB63_7 Depth=1
	s_wait_kmcnt 0x0
	v_lshl_add_u64 v[14:15], v[8:9], 3, s[16:17]
	v_lshlrev_b64_e32 v[18:19], 3, v[12:13]
	s_mov_b32 s22, 0
	global_load_b64 v[14:15], v[14:15], off
	v_add_nc_u64_e32 v[16:17], s[12:13], v[18:19]
	v_add_nc_u64_e32 v[18:19], s[14:15], v[18:19]
	s_wait_loadcnt 0x0
	s_wait_xcnt 0x0
	v_mul_f64_e32 v[14:15], v[2:3], v[14:15]
.LBB63_9:                               ;   Parent Loop BB63_7 Depth=1
                                        ; =>  This Inner Loop Header: Depth=2
	global_load_b64 v[20:21], v[18:19], off
	global_load_b64 v[22:23], v[16:17], off
	v_add_nc_u64_e32 v[12:13], 16, v[12:13]
	s_wait_xcnt 0x0
	v_add_nc_u64_e32 v[16:17], 0x80, v[16:17]
	v_add_nc_u64_e32 v[18:19], 0x80, v[18:19]
	s_delay_alu instid0(VALU_DEP_3)
	v_cmp_ge_i64_e32 vcc_lo, v[12:13], v[10:11]
	s_or_b32 s22, vcc_lo, s22
	s_wait_loadcnt 0x1
	v_mul_f64_e32 v[20:21], v[14:15], v[20:21]
	s_wait_loadcnt 0x0
	v_sub_nc_u64_e64 v[22:23], v[22:23], s[2:3]
	s_delay_alu instid0(VALU_DEP_1)
	v_lshl_add_u64 v[22:23], v[22:23], 3, s[18:19]
	global_atomic_add_f64 v[22:23], v[20:21], off scope:SCOPE_DEV
	s_wait_xcnt 0x0
	s_and_not1_b32 exec_lo, exec_lo, s22
	s_cbranch_execnz .LBB63_9
	s_branch .LBB63_6
.LBB63_10:
	s_or_b32 exec_lo, exec_lo, s1
	s_mov_b32 s1, 0
.LBB63_11:
	s_delay_alu instid0(SALU_CYCLE_1)
	s_and_not1_b32 vcc_lo, exec_lo, s1
	s_cbranch_vccnz .LBB63_20
; %bb.12:
	s_and_b32 exec_lo, exec_lo, s0
	s_cbranch_execz .LBB63_20
; %bb.13:
	v_mov_b32_e32 v1, 0
	s_mov_b32 s3, 0
	s_delay_alu instid0(SALU_CYCLE_1) | instskip(NEXT) | instid1(VALU_DEP_1)
	s_mov_b32 s0, s3
	v_sub_nc_u64_e64 v[0:1], v[0:1], s[2:3]
	s_branch .LBB63_15
.LBB63_14:                              ;   in Loop: Header=BB63_15 Depth=1
	s_or_b32 exec_lo, exec_lo, s1
	v_add_nc_u64_e32 v[4:5], s[6:7], v[4:5]
	s_delay_alu instid0(VALU_DEP_1) | instskip(SKIP_1) | instid1(SALU_CYCLE_1)
	v_cmp_le_i64_e32 vcc_lo, s[4:5], v[4:5]
	s_or_b32 s0, vcc_lo, s0
	s_and_not1_b32 exec_lo, exec_lo, s0
	s_cbranch_execz .LBB63_20
.LBB63_15:                              ; =>This Loop Header: Depth=1
                                        ;     Child Loop BB63_18 Depth 2
	v_lshlrev_b64_e32 v[6:7], 3, v[4:5]
	s_mov_b32 s1, exec_lo
	s_delay_alu instid0(VALU_DEP_1)
	v_add_nc_u64_e32 v[8:9], s[10:11], v[6:7]
	v_add_nc_u64_e32 v[6:7], s[8:9], v[6:7]
	global_load_b64 v[10:11], v[8:9], off
	global_load_b64 v[12:13], v[6:7], off
	s_wait_loadcnt 0x1
	s_wait_xcnt 0x0
	v_sub_nc_u64_e64 v[6:7], v[10:11], s[2:3]
	s_wait_loadcnt 0x0
	v_add_nc_u64_e32 v[8:9], v[12:13], v[0:1]
	s_delay_alu instid0(VALU_DEP_1)
	v_cmpx_lt_i64_e64 v[8:9], v[6:7]
	s_cbranch_execz .LBB63_14
; %bb.16:                               ;   in Loop: Header=BB63_15 Depth=1
	s_wait_kmcnt 0x0
	v_lshl_add_u64 v[10:11], v[4:5], 3, s[16:17]
	v_lshlrev_b64_e32 v[14:15], 3, v[8:9]
	s_mov_b32 s20, 0
	global_load_b64 v[10:11], v[10:11], off
	v_add_nc_u64_e32 v[12:13], s[12:13], v[14:15]
	v_add_nc_u64_e32 v[14:15], s[14:15], v[14:15]
	s_wait_loadcnt 0x0
	v_mul_f64_e32 v[10:11], v[2:3], v[10:11]
	s_branch .LBB63_18
.LBB63_17:                              ;   in Loop: Header=BB63_18 Depth=2
	s_wait_xcnt 0x0
	s_or_b32 exec_lo, exec_lo, s21
	v_add_nc_u64_e32 v[8:9], 16, v[8:9]
	v_add_nc_u64_e32 v[12:13], 0x80, v[12:13]
	;; [unrolled: 1-line block ×3, first 2 shown]
	s_delay_alu instid0(VALU_DEP_3) | instskip(SKIP_1) | instid1(SALU_CYCLE_1)
	v_cmp_ge_i64_e32 vcc_lo, v[8:9], v[6:7]
	s_or_b32 s20, vcc_lo, s20
	s_and_not1_b32 exec_lo, exec_lo, s20
	s_cbranch_execz .LBB63_14
.LBB63_18:                              ;   Parent Loop BB63_15 Depth=1
                                        ; =>  This Inner Loop Header: Depth=2
	global_load_b64 v[16:17], v[12:13], off
	s_mov_b32 s21, exec_lo
	s_wait_loadcnt 0x0
	v_sub_nc_u64_e64 v[16:17], v[16:17], s[2:3]
	s_wait_xcnt 0x0
	s_delay_alu instid0(VALU_DEP_1)
	v_cmpx_ne_u64_e64 v[16:17], v[4:5]
	s_cbranch_execz .LBB63_17
; %bb.19:                               ;   in Loop: Header=BB63_18 Depth=2
	global_load_b64 v[18:19], v[14:15], off
	v_lshl_add_u64 v[16:17], v[16:17], 3, s[18:19]
	s_wait_loadcnt 0x0
	v_mul_f64_e32 v[18:19], v[10:11], v[18:19]
	s_wait_xcnt 0x0
	global_atomic_add_f64 v[16:17], v[18:19], off scope:SCOPE_DEV
	s_branch .LBB63_17
.LBB63_20:
	s_endpgm
	.section	.rodata,"a",@progbits
	.p2align	6, 0x0
	.amdhsa_kernel _ZN9rocsparseL21csrmvt_general_kernelILj256ELj16EllddddEEvbbT2_NS_24const_host_device_scalarIT6_EEPKT1_S7_PKS1_PKT3_PKT4_PT5_21rocsparse_index_base_b
		.amdhsa_group_segment_fixed_size 0
		.amdhsa_private_segment_fixed_size 0
		.amdhsa_kernarg_size 336
		.amdhsa_user_sgpr_count 2
		.amdhsa_user_sgpr_dispatch_ptr 0
		.amdhsa_user_sgpr_queue_ptr 0
		.amdhsa_user_sgpr_kernarg_segment_ptr 1
		.amdhsa_user_sgpr_dispatch_id 0
		.amdhsa_user_sgpr_kernarg_preload_length 0
		.amdhsa_user_sgpr_kernarg_preload_offset 0
		.amdhsa_user_sgpr_private_segment_size 0
		.amdhsa_wavefront_size32 1
		.amdhsa_uses_dynamic_stack 0
		.amdhsa_enable_private_segment 0
		.amdhsa_system_sgpr_workgroup_id_x 1
		.amdhsa_system_sgpr_workgroup_id_y 0
		.amdhsa_system_sgpr_workgroup_id_z 0
		.amdhsa_system_sgpr_workgroup_info 0
		.amdhsa_system_vgpr_workitem_id 0
		.amdhsa_next_free_vgpr 24
		.amdhsa_next_free_sgpr 23
		.amdhsa_named_barrier_count 0
		.amdhsa_reserve_vcc 1
		.amdhsa_float_round_mode_32 0
		.amdhsa_float_round_mode_16_64 0
		.amdhsa_float_denorm_mode_32 3
		.amdhsa_float_denorm_mode_16_64 3
		.amdhsa_fp16_overflow 0
		.amdhsa_memory_ordered 1
		.amdhsa_forward_progress 1
		.amdhsa_inst_pref_size 8
		.amdhsa_round_robin_scheduling 0
		.amdhsa_exception_fp_ieee_invalid_op 0
		.amdhsa_exception_fp_denorm_src 0
		.amdhsa_exception_fp_ieee_div_zero 0
		.amdhsa_exception_fp_ieee_overflow 0
		.amdhsa_exception_fp_ieee_underflow 0
		.amdhsa_exception_fp_ieee_inexact 0
		.amdhsa_exception_int_div_zero 0
	.end_amdhsa_kernel
	.section	.text._ZN9rocsparseL21csrmvt_general_kernelILj256ELj16EllddddEEvbbT2_NS_24const_host_device_scalarIT6_EEPKT1_S7_PKS1_PKT3_PKT4_PT5_21rocsparse_index_base_b,"axG",@progbits,_ZN9rocsparseL21csrmvt_general_kernelILj256ELj16EllddddEEvbbT2_NS_24const_host_device_scalarIT6_EEPKT1_S7_PKS1_PKT3_PKT4_PT5_21rocsparse_index_base_b,comdat
.Lfunc_end63:
	.size	_ZN9rocsparseL21csrmvt_general_kernelILj256ELj16EllddddEEvbbT2_NS_24const_host_device_scalarIT6_EEPKT1_S7_PKS1_PKT3_PKT4_PT5_21rocsparse_index_base_b, .Lfunc_end63-_ZN9rocsparseL21csrmvt_general_kernelILj256ELj16EllddddEEvbbT2_NS_24const_host_device_scalarIT6_EEPKT1_S7_PKS1_PKT3_PKT4_PT5_21rocsparse_index_base_b
                                        ; -- End function
	.set _ZN9rocsparseL21csrmvt_general_kernelILj256ELj16EllddddEEvbbT2_NS_24const_host_device_scalarIT6_EEPKT1_S7_PKS1_PKT3_PKT4_PT5_21rocsparse_index_base_b.num_vgpr, 24
	.set _ZN9rocsparseL21csrmvt_general_kernelILj256ELj16EllddddEEvbbT2_NS_24const_host_device_scalarIT6_EEPKT1_S7_PKS1_PKT3_PKT4_PT5_21rocsparse_index_base_b.num_agpr, 0
	.set _ZN9rocsparseL21csrmvt_general_kernelILj256ELj16EllddddEEvbbT2_NS_24const_host_device_scalarIT6_EEPKT1_S7_PKS1_PKT3_PKT4_PT5_21rocsparse_index_base_b.numbered_sgpr, 23
	.set _ZN9rocsparseL21csrmvt_general_kernelILj256ELj16EllddddEEvbbT2_NS_24const_host_device_scalarIT6_EEPKT1_S7_PKS1_PKT3_PKT4_PT5_21rocsparse_index_base_b.num_named_barrier, 0
	.set _ZN9rocsparseL21csrmvt_general_kernelILj256ELj16EllddddEEvbbT2_NS_24const_host_device_scalarIT6_EEPKT1_S7_PKS1_PKT3_PKT4_PT5_21rocsparse_index_base_b.private_seg_size, 0
	.set _ZN9rocsparseL21csrmvt_general_kernelILj256ELj16EllddddEEvbbT2_NS_24const_host_device_scalarIT6_EEPKT1_S7_PKS1_PKT3_PKT4_PT5_21rocsparse_index_base_b.uses_vcc, 1
	.set _ZN9rocsparseL21csrmvt_general_kernelILj256ELj16EllddddEEvbbT2_NS_24const_host_device_scalarIT6_EEPKT1_S7_PKS1_PKT3_PKT4_PT5_21rocsparse_index_base_b.uses_flat_scratch, 0
	.set _ZN9rocsparseL21csrmvt_general_kernelILj256ELj16EllddddEEvbbT2_NS_24const_host_device_scalarIT6_EEPKT1_S7_PKS1_PKT3_PKT4_PT5_21rocsparse_index_base_b.has_dyn_sized_stack, 0
	.set _ZN9rocsparseL21csrmvt_general_kernelILj256ELj16EllddddEEvbbT2_NS_24const_host_device_scalarIT6_EEPKT1_S7_PKS1_PKT3_PKT4_PT5_21rocsparse_index_base_b.has_recursion, 0
	.set _ZN9rocsparseL21csrmvt_general_kernelILj256ELj16EllddddEEvbbT2_NS_24const_host_device_scalarIT6_EEPKT1_S7_PKS1_PKT3_PKT4_PT5_21rocsparse_index_base_b.has_indirect_call, 0
	.section	.AMDGPU.csdata,"",@progbits
; Kernel info:
; codeLenInByte = 904
; TotalNumSgprs: 25
; NumVgprs: 24
; ScratchSize: 0
; MemoryBound: 0
; FloatMode: 240
; IeeeMode: 1
; LDSByteSize: 0 bytes/workgroup (compile time only)
; SGPRBlocks: 0
; VGPRBlocks: 1
; NumSGPRsForWavesPerEU: 25
; NumVGPRsForWavesPerEU: 24
; NamedBarCnt: 0
; Occupancy: 16
; WaveLimiterHint : 1
; COMPUTE_PGM_RSRC2:SCRATCH_EN: 0
; COMPUTE_PGM_RSRC2:USER_SGPR: 2
; COMPUTE_PGM_RSRC2:TRAP_HANDLER: 0
; COMPUTE_PGM_RSRC2:TGID_X_EN: 1
; COMPUTE_PGM_RSRC2:TGID_Y_EN: 0
; COMPUTE_PGM_RSRC2:TGID_Z_EN: 0
; COMPUTE_PGM_RSRC2:TIDIG_COMP_CNT: 0
	.section	.text._ZN9rocsparseL21csrmvt_general_kernelILj256ELj32EllddddEEvbbT2_NS_24const_host_device_scalarIT6_EEPKT1_S7_PKS1_PKT3_PKT4_PT5_21rocsparse_index_base_b,"axG",@progbits,_ZN9rocsparseL21csrmvt_general_kernelILj256ELj32EllddddEEvbbT2_NS_24const_host_device_scalarIT6_EEPKT1_S7_PKS1_PKT3_PKT4_PT5_21rocsparse_index_base_b,comdat
	.globl	_ZN9rocsparseL21csrmvt_general_kernelILj256ELj32EllddddEEvbbT2_NS_24const_host_device_scalarIT6_EEPKT1_S7_PKS1_PKT3_PKT4_PT5_21rocsparse_index_base_b ; -- Begin function _ZN9rocsparseL21csrmvt_general_kernelILj256ELj32EllddddEEvbbT2_NS_24const_host_device_scalarIT6_EEPKT1_S7_PKS1_PKT3_PKT4_PT5_21rocsparse_index_base_b
	.p2align	8
	.type	_ZN9rocsparseL21csrmvt_general_kernelILj256ELj32EllddddEEvbbT2_NS_24const_host_device_scalarIT6_EEPKT1_S7_PKS1_PKT3_PKT4_PT5_21rocsparse_index_base_b,@function
_ZN9rocsparseL21csrmvt_general_kernelILj256ELj32EllddddEEvbbT2_NS_24const_host_device_scalarIT6_EEPKT1_S7_PKS1_PKT3_PKT4_PT5_21rocsparse_index_base_b: ; @_ZN9rocsparseL21csrmvt_general_kernelILj256ELj32EllddddEEvbbT2_NS_24const_host_device_scalarIT6_EEPKT1_S7_PKS1_PKT3_PKT4_PT5_21rocsparse_index_base_b
; %bb.0:
	s_clause 0x1
	s_load_b64 s[2:3], s[0:1], 0x48
	s_load_b256 s[4:11], s[0:1], 0x8
	s_wait_kmcnt 0x0
	s_bitcmp1_b32 s3, 0
	v_mov_b64_e32 v[2:3], s[6:7]
	s_cselect_b32 s3, -1, 0
	s_delay_alu instid0(SALU_CYCLE_1)
	s_and_b32 vcc_lo, exec_lo, s3
	s_cbranch_vccnz .LBB64_2
; %bb.1:
	v_mov_b32_e32 v1, 0
	flat_load_b64 v[2:3], v1, s[6:7]
.LBB64_2:
	s_mov_b32 s3, exec_lo
	s_wait_loadcnt_dscnt 0x0
	s_delay_alu instid0(VALU_DEP_1)
	v_cmpx_neq_f64_e32 0, v[2:3]
	s_cbranch_execz .LBB64_20
; %bb.3:
	s_clause 0x1
	s_load_b32 s3, s[0:1], 0x0
	s_load_b32 s6, s[0:1], 0x50
	s_bfe_u32 s7, ttmp6, 0x4000c
	s_and_b32 s12, ttmp6, 15
	s_add_co_i32 s7, s7, 1
	s_getreg_b32 s13, hwreg(HW_REG_IB_STS2, 6, 4)
	s_mul_i32 s7, ttmp9, s7
	v_mov_b32_e32 v5, 0
	s_add_co_i32 s7, s12, s7
	s_wait_kmcnt 0x0
	s_and_b32 s3, s3, 1
	s_lshl_b32 s6, s6, 3
	s_cmp_eq_u32 s13, 0
	s_load_b256 s[12:19], s[0:1], 0x28
	s_wait_xcnt 0x0
	s_cselect_b32 s0, ttmp9, s7
	s_mov_b32 s7, 0
	v_lshl_or_b32 v1, s0, 8, v0
	v_and_b32_e32 v0, 31, v0
	s_cmp_eq_u32 s3, 0
	s_mov_b32 s1, -1
	s_delay_alu instid0(VALU_DEP_2) | instskip(NEXT) | instid1(VALU_DEP_1)
	v_lshrrev_b32_e32 v4, 5, v1
	v_cmp_gt_i64_e64 s0, s[4:5], v[4:5]
	s_cbranch_scc0 .LBB64_11
; %bb.4:
	s_and_saveexec_b32 s1, s0
	s_cbranch_execz .LBB64_10
; %bb.5:
	v_mov_b32_e32 v1, 0
	s_mov_b32 s3, 0
	v_mov_b64_e32 v[8:9], v[4:5]
	s_mov_b32 s20, s3
	s_delay_alu instid0(VALU_DEP_2)
	v_sub_nc_u64_e64 v[6:7], v[0:1], s[2:3]
	s_branch .LBB64_7
.LBB64_6:                               ;   in Loop: Header=BB64_7 Depth=1
	s_or_b32 exec_lo, exec_lo, s21
	v_add_nc_u64_e32 v[8:9], s[6:7], v[8:9]
	s_delay_alu instid0(VALU_DEP_1) | instskip(SKIP_1) | instid1(SALU_CYCLE_1)
	v_cmp_le_i64_e32 vcc_lo, s[4:5], v[8:9]
	s_or_b32 s20, vcc_lo, s20
	s_and_not1_b32 exec_lo, exec_lo, s20
	s_cbranch_execz .LBB64_10
.LBB64_7:                               ; =>This Loop Header: Depth=1
                                        ;     Child Loop BB64_9 Depth 2
	s_delay_alu instid0(VALU_DEP_2) | instskip(SKIP_1) | instid1(VALU_DEP_1)
	v_lshlrev_b64_e32 v[10:11], 3, v[8:9]
	s_mov_b32 s21, exec_lo
	v_add_nc_u64_e32 v[12:13], s[10:11], v[10:11]
	v_add_nc_u64_e32 v[10:11], s[8:9], v[10:11]
	global_load_b64 v[14:15], v[12:13], off
	global_load_b64 v[16:17], v[10:11], off
	s_wait_loadcnt 0x1
	s_wait_xcnt 0x0
	v_sub_nc_u64_e64 v[10:11], v[14:15], s[2:3]
	s_wait_loadcnt 0x0
	v_add_nc_u64_e32 v[12:13], v[16:17], v[6:7]
	s_delay_alu instid0(VALU_DEP_1)
	v_cmpx_lt_i64_e64 v[12:13], v[10:11]
	s_cbranch_execz .LBB64_6
; %bb.8:                                ;   in Loop: Header=BB64_7 Depth=1
	s_wait_kmcnt 0x0
	v_lshl_add_u64 v[14:15], v[8:9], 3, s[16:17]
	v_lshlrev_b64_e32 v[18:19], 3, v[12:13]
	s_mov_b32 s22, 0
	global_load_b64 v[14:15], v[14:15], off
	v_add_nc_u64_e32 v[16:17], s[12:13], v[18:19]
	v_add_nc_u64_e32 v[18:19], s[14:15], v[18:19]
	s_wait_loadcnt 0x0
	s_wait_xcnt 0x0
	v_mul_f64_e32 v[14:15], v[2:3], v[14:15]
.LBB64_9:                               ;   Parent Loop BB64_7 Depth=1
                                        ; =>  This Inner Loop Header: Depth=2
	global_load_b64 v[20:21], v[18:19], off
	global_load_b64 v[22:23], v[16:17], off
	v_add_nc_u64_e32 v[12:13], 32, v[12:13]
	s_wait_xcnt 0x0
	v_add_nc_u64_e32 v[16:17], 0x100, v[16:17]
	v_add_nc_u64_e32 v[18:19], 0x100, v[18:19]
	s_delay_alu instid0(VALU_DEP_3)
	v_cmp_ge_i64_e32 vcc_lo, v[12:13], v[10:11]
	s_or_b32 s22, vcc_lo, s22
	s_wait_loadcnt 0x1
	v_mul_f64_e32 v[20:21], v[14:15], v[20:21]
	s_wait_loadcnt 0x0
	v_sub_nc_u64_e64 v[22:23], v[22:23], s[2:3]
	s_delay_alu instid0(VALU_DEP_1)
	v_lshl_add_u64 v[22:23], v[22:23], 3, s[18:19]
	global_atomic_add_f64 v[22:23], v[20:21], off scope:SCOPE_DEV
	s_wait_xcnt 0x0
	s_and_not1_b32 exec_lo, exec_lo, s22
	s_cbranch_execnz .LBB64_9
	s_branch .LBB64_6
.LBB64_10:
	s_or_b32 exec_lo, exec_lo, s1
	s_mov_b32 s1, 0
.LBB64_11:
	s_delay_alu instid0(SALU_CYCLE_1)
	s_and_not1_b32 vcc_lo, exec_lo, s1
	s_cbranch_vccnz .LBB64_20
; %bb.12:
	s_and_b32 exec_lo, exec_lo, s0
	s_cbranch_execz .LBB64_20
; %bb.13:
	v_mov_b32_e32 v1, 0
	s_mov_b32 s3, 0
	s_delay_alu instid0(SALU_CYCLE_1) | instskip(NEXT) | instid1(VALU_DEP_1)
	s_mov_b32 s0, s3
	v_sub_nc_u64_e64 v[0:1], v[0:1], s[2:3]
	s_branch .LBB64_15
.LBB64_14:                              ;   in Loop: Header=BB64_15 Depth=1
	s_or_b32 exec_lo, exec_lo, s1
	v_add_nc_u64_e32 v[4:5], s[6:7], v[4:5]
	s_delay_alu instid0(VALU_DEP_1) | instskip(SKIP_1) | instid1(SALU_CYCLE_1)
	v_cmp_le_i64_e32 vcc_lo, s[4:5], v[4:5]
	s_or_b32 s0, vcc_lo, s0
	s_and_not1_b32 exec_lo, exec_lo, s0
	s_cbranch_execz .LBB64_20
.LBB64_15:                              ; =>This Loop Header: Depth=1
                                        ;     Child Loop BB64_18 Depth 2
	v_lshlrev_b64_e32 v[6:7], 3, v[4:5]
	s_mov_b32 s1, exec_lo
	s_delay_alu instid0(VALU_DEP_1)
	v_add_nc_u64_e32 v[8:9], s[10:11], v[6:7]
	v_add_nc_u64_e32 v[6:7], s[8:9], v[6:7]
	global_load_b64 v[10:11], v[8:9], off
	global_load_b64 v[12:13], v[6:7], off
	s_wait_loadcnt 0x1
	s_wait_xcnt 0x0
	v_sub_nc_u64_e64 v[6:7], v[10:11], s[2:3]
	s_wait_loadcnt 0x0
	v_add_nc_u64_e32 v[8:9], v[12:13], v[0:1]
	s_delay_alu instid0(VALU_DEP_1)
	v_cmpx_lt_i64_e64 v[8:9], v[6:7]
	s_cbranch_execz .LBB64_14
; %bb.16:                               ;   in Loop: Header=BB64_15 Depth=1
	s_wait_kmcnt 0x0
	v_lshl_add_u64 v[10:11], v[4:5], 3, s[16:17]
	v_lshlrev_b64_e32 v[14:15], 3, v[8:9]
	s_mov_b32 s20, 0
	global_load_b64 v[10:11], v[10:11], off
	v_add_nc_u64_e32 v[12:13], s[12:13], v[14:15]
	v_add_nc_u64_e32 v[14:15], s[14:15], v[14:15]
	s_wait_loadcnt 0x0
	v_mul_f64_e32 v[10:11], v[2:3], v[10:11]
	s_branch .LBB64_18
.LBB64_17:                              ;   in Loop: Header=BB64_18 Depth=2
	s_wait_xcnt 0x0
	s_or_b32 exec_lo, exec_lo, s21
	v_add_nc_u64_e32 v[8:9], 32, v[8:9]
	v_add_nc_u64_e32 v[12:13], 0x100, v[12:13]
	;; [unrolled: 1-line block ×3, first 2 shown]
	s_delay_alu instid0(VALU_DEP_3) | instskip(SKIP_1) | instid1(SALU_CYCLE_1)
	v_cmp_ge_i64_e32 vcc_lo, v[8:9], v[6:7]
	s_or_b32 s20, vcc_lo, s20
	s_and_not1_b32 exec_lo, exec_lo, s20
	s_cbranch_execz .LBB64_14
.LBB64_18:                              ;   Parent Loop BB64_15 Depth=1
                                        ; =>  This Inner Loop Header: Depth=2
	global_load_b64 v[16:17], v[12:13], off
	s_mov_b32 s21, exec_lo
	s_wait_loadcnt 0x0
	v_sub_nc_u64_e64 v[16:17], v[16:17], s[2:3]
	s_wait_xcnt 0x0
	s_delay_alu instid0(VALU_DEP_1)
	v_cmpx_ne_u64_e64 v[16:17], v[4:5]
	s_cbranch_execz .LBB64_17
; %bb.19:                               ;   in Loop: Header=BB64_18 Depth=2
	global_load_b64 v[18:19], v[14:15], off
	v_lshl_add_u64 v[16:17], v[16:17], 3, s[18:19]
	s_wait_loadcnt 0x0
	v_mul_f64_e32 v[18:19], v[10:11], v[18:19]
	s_wait_xcnt 0x0
	global_atomic_add_f64 v[16:17], v[18:19], off scope:SCOPE_DEV
	s_branch .LBB64_17
.LBB64_20:
	s_endpgm
	.section	.rodata,"a",@progbits
	.p2align	6, 0x0
	.amdhsa_kernel _ZN9rocsparseL21csrmvt_general_kernelILj256ELj32EllddddEEvbbT2_NS_24const_host_device_scalarIT6_EEPKT1_S7_PKS1_PKT3_PKT4_PT5_21rocsparse_index_base_b
		.amdhsa_group_segment_fixed_size 0
		.amdhsa_private_segment_fixed_size 0
		.amdhsa_kernarg_size 336
		.amdhsa_user_sgpr_count 2
		.amdhsa_user_sgpr_dispatch_ptr 0
		.amdhsa_user_sgpr_queue_ptr 0
		.amdhsa_user_sgpr_kernarg_segment_ptr 1
		.amdhsa_user_sgpr_dispatch_id 0
		.amdhsa_user_sgpr_kernarg_preload_length 0
		.amdhsa_user_sgpr_kernarg_preload_offset 0
		.amdhsa_user_sgpr_private_segment_size 0
		.amdhsa_wavefront_size32 1
		.amdhsa_uses_dynamic_stack 0
		.amdhsa_enable_private_segment 0
		.amdhsa_system_sgpr_workgroup_id_x 1
		.amdhsa_system_sgpr_workgroup_id_y 0
		.amdhsa_system_sgpr_workgroup_id_z 0
		.amdhsa_system_sgpr_workgroup_info 0
		.amdhsa_system_vgpr_workitem_id 0
		.amdhsa_next_free_vgpr 24
		.amdhsa_next_free_sgpr 23
		.amdhsa_named_barrier_count 0
		.amdhsa_reserve_vcc 1
		.amdhsa_float_round_mode_32 0
		.amdhsa_float_round_mode_16_64 0
		.amdhsa_float_denorm_mode_32 3
		.amdhsa_float_denorm_mode_16_64 3
		.amdhsa_fp16_overflow 0
		.amdhsa_memory_ordered 1
		.amdhsa_forward_progress 1
		.amdhsa_inst_pref_size 8
		.amdhsa_round_robin_scheduling 0
		.amdhsa_exception_fp_ieee_invalid_op 0
		.amdhsa_exception_fp_denorm_src 0
		.amdhsa_exception_fp_ieee_div_zero 0
		.amdhsa_exception_fp_ieee_overflow 0
		.amdhsa_exception_fp_ieee_underflow 0
		.amdhsa_exception_fp_ieee_inexact 0
		.amdhsa_exception_int_div_zero 0
	.end_amdhsa_kernel
	.section	.text._ZN9rocsparseL21csrmvt_general_kernelILj256ELj32EllddddEEvbbT2_NS_24const_host_device_scalarIT6_EEPKT1_S7_PKS1_PKT3_PKT4_PT5_21rocsparse_index_base_b,"axG",@progbits,_ZN9rocsparseL21csrmvt_general_kernelILj256ELj32EllddddEEvbbT2_NS_24const_host_device_scalarIT6_EEPKT1_S7_PKS1_PKT3_PKT4_PT5_21rocsparse_index_base_b,comdat
.Lfunc_end64:
	.size	_ZN9rocsparseL21csrmvt_general_kernelILj256ELj32EllddddEEvbbT2_NS_24const_host_device_scalarIT6_EEPKT1_S7_PKS1_PKT3_PKT4_PT5_21rocsparse_index_base_b, .Lfunc_end64-_ZN9rocsparseL21csrmvt_general_kernelILj256ELj32EllddddEEvbbT2_NS_24const_host_device_scalarIT6_EEPKT1_S7_PKS1_PKT3_PKT4_PT5_21rocsparse_index_base_b
                                        ; -- End function
	.set _ZN9rocsparseL21csrmvt_general_kernelILj256ELj32EllddddEEvbbT2_NS_24const_host_device_scalarIT6_EEPKT1_S7_PKS1_PKT3_PKT4_PT5_21rocsparse_index_base_b.num_vgpr, 24
	.set _ZN9rocsparseL21csrmvt_general_kernelILj256ELj32EllddddEEvbbT2_NS_24const_host_device_scalarIT6_EEPKT1_S7_PKS1_PKT3_PKT4_PT5_21rocsparse_index_base_b.num_agpr, 0
	.set _ZN9rocsparseL21csrmvt_general_kernelILj256ELj32EllddddEEvbbT2_NS_24const_host_device_scalarIT6_EEPKT1_S7_PKS1_PKT3_PKT4_PT5_21rocsparse_index_base_b.numbered_sgpr, 23
	.set _ZN9rocsparseL21csrmvt_general_kernelILj256ELj32EllddddEEvbbT2_NS_24const_host_device_scalarIT6_EEPKT1_S7_PKS1_PKT3_PKT4_PT5_21rocsparse_index_base_b.num_named_barrier, 0
	.set _ZN9rocsparseL21csrmvt_general_kernelILj256ELj32EllddddEEvbbT2_NS_24const_host_device_scalarIT6_EEPKT1_S7_PKS1_PKT3_PKT4_PT5_21rocsparse_index_base_b.private_seg_size, 0
	.set _ZN9rocsparseL21csrmvt_general_kernelILj256ELj32EllddddEEvbbT2_NS_24const_host_device_scalarIT6_EEPKT1_S7_PKS1_PKT3_PKT4_PT5_21rocsparse_index_base_b.uses_vcc, 1
	.set _ZN9rocsparseL21csrmvt_general_kernelILj256ELj32EllddddEEvbbT2_NS_24const_host_device_scalarIT6_EEPKT1_S7_PKS1_PKT3_PKT4_PT5_21rocsparse_index_base_b.uses_flat_scratch, 0
	.set _ZN9rocsparseL21csrmvt_general_kernelILj256ELj32EllddddEEvbbT2_NS_24const_host_device_scalarIT6_EEPKT1_S7_PKS1_PKT3_PKT4_PT5_21rocsparse_index_base_b.has_dyn_sized_stack, 0
	.set _ZN9rocsparseL21csrmvt_general_kernelILj256ELj32EllddddEEvbbT2_NS_24const_host_device_scalarIT6_EEPKT1_S7_PKS1_PKT3_PKT4_PT5_21rocsparse_index_base_b.has_recursion, 0
	.set _ZN9rocsparseL21csrmvt_general_kernelILj256ELj32EllddddEEvbbT2_NS_24const_host_device_scalarIT6_EEPKT1_S7_PKS1_PKT3_PKT4_PT5_21rocsparse_index_base_b.has_indirect_call, 0
	.section	.AMDGPU.csdata,"",@progbits
; Kernel info:
; codeLenInByte = 904
; TotalNumSgprs: 25
; NumVgprs: 24
; ScratchSize: 0
; MemoryBound: 0
; FloatMode: 240
; IeeeMode: 1
; LDSByteSize: 0 bytes/workgroup (compile time only)
; SGPRBlocks: 0
; VGPRBlocks: 1
; NumSGPRsForWavesPerEU: 25
; NumVGPRsForWavesPerEU: 24
; NamedBarCnt: 0
; Occupancy: 16
; WaveLimiterHint : 1
; COMPUTE_PGM_RSRC2:SCRATCH_EN: 0
; COMPUTE_PGM_RSRC2:USER_SGPR: 2
; COMPUTE_PGM_RSRC2:TRAP_HANDLER: 0
; COMPUTE_PGM_RSRC2:TGID_X_EN: 1
; COMPUTE_PGM_RSRC2:TGID_Y_EN: 0
; COMPUTE_PGM_RSRC2:TGID_Z_EN: 0
; COMPUTE_PGM_RSRC2:TIDIG_COMP_CNT: 0
	.section	.text._ZN9rocsparseL21csrmvt_general_kernelILj256ELj64EllddddEEvbbT2_NS_24const_host_device_scalarIT6_EEPKT1_S7_PKS1_PKT3_PKT4_PT5_21rocsparse_index_base_b,"axG",@progbits,_ZN9rocsparseL21csrmvt_general_kernelILj256ELj64EllddddEEvbbT2_NS_24const_host_device_scalarIT6_EEPKT1_S7_PKS1_PKT3_PKT4_PT5_21rocsparse_index_base_b,comdat
	.globl	_ZN9rocsparseL21csrmvt_general_kernelILj256ELj64EllddddEEvbbT2_NS_24const_host_device_scalarIT6_EEPKT1_S7_PKS1_PKT3_PKT4_PT5_21rocsparse_index_base_b ; -- Begin function _ZN9rocsparseL21csrmvt_general_kernelILj256ELj64EllddddEEvbbT2_NS_24const_host_device_scalarIT6_EEPKT1_S7_PKS1_PKT3_PKT4_PT5_21rocsparse_index_base_b
	.p2align	8
	.type	_ZN9rocsparseL21csrmvt_general_kernelILj256ELj64EllddddEEvbbT2_NS_24const_host_device_scalarIT6_EEPKT1_S7_PKS1_PKT3_PKT4_PT5_21rocsparse_index_base_b,@function
_ZN9rocsparseL21csrmvt_general_kernelILj256ELj64EllddddEEvbbT2_NS_24const_host_device_scalarIT6_EEPKT1_S7_PKS1_PKT3_PKT4_PT5_21rocsparse_index_base_b: ; @_ZN9rocsparseL21csrmvt_general_kernelILj256ELj64EllddddEEvbbT2_NS_24const_host_device_scalarIT6_EEPKT1_S7_PKS1_PKT3_PKT4_PT5_21rocsparse_index_base_b
; %bb.0:
	s_clause 0x1
	s_load_b64 s[2:3], s[0:1], 0x48
	s_load_b256 s[4:11], s[0:1], 0x8
	s_wait_kmcnt 0x0
	s_bitcmp1_b32 s3, 0
	v_mov_b64_e32 v[2:3], s[6:7]
	s_cselect_b32 s3, -1, 0
	s_delay_alu instid0(SALU_CYCLE_1)
	s_and_b32 vcc_lo, exec_lo, s3
	s_cbranch_vccnz .LBB65_2
; %bb.1:
	v_mov_b32_e32 v1, 0
	flat_load_b64 v[2:3], v1, s[6:7]
.LBB65_2:
	s_mov_b32 s3, exec_lo
	s_wait_loadcnt_dscnt 0x0
	s_delay_alu instid0(VALU_DEP_1)
	v_cmpx_neq_f64_e32 0, v[2:3]
	s_cbranch_execz .LBB65_20
; %bb.3:
	s_clause 0x1
	s_load_b32 s3, s[0:1], 0x0
	s_load_b32 s6, s[0:1], 0x50
	s_bfe_u32 s7, ttmp6, 0x4000c
	s_and_b32 s12, ttmp6, 15
	s_add_co_i32 s7, s7, 1
	s_getreg_b32 s13, hwreg(HW_REG_IB_STS2, 6, 4)
	s_mul_i32 s7, ttmp9, s7
	v_mov_b32_e32 v5, 0
	s_add_co_i32 s7, s12, s7
	s_wait_kmcnt 0x0
	s_and_b32 s3, s3, 1
	s_lshl_b32 s6, s6, 2
	s_cmp_eq_u32 s13, 0
	s_load_b256 s[12:19], s[0:1], 0x28
	s_wait_xcnt 0x0
	s_cselect_b32 s0, ttmp9, s7
	s_mov_b32 s7, 0
	v_lshl_or_b32 v1, s0, 8, v0
	v_and_b32_e32 v0, 63, v0
	s_cmp_eq_u32 s3, 0
	s_mov_b32 s1, -1
	s_delay_alu instid0(VALU_DEP_2) | instskip(NEXT) | instid1(VALU_DEP_1)
	v_lshrrev_b32_e32 v4, 6, v1
	v_cmp_gt_i64_e64 s0, s[4:5], v[4:5]
	s_cbranch_scc0 .LBB65_11
; %bb.4:
	s_and_saveexec_b32 s1, s0
	s_cbranch_execz .LBB65_10
; %bb.5:
	v_mov_b32_e32 v1, 0
	s_mov_b32 s3, 0
	v_mov_b64_e32 v[8:9], v[4:5]
	s_mov_b32 s20, s3
	s_delay_alu instid0(VALU_DEP_2)
	v_sub_nc_u64_e64 v[6:7], v[0:1], s[2:3]
	s_branch .LBB65_7
.LBB65_6:                               ;   in Loop: Header=BB65_7 Depth=1
	s_or_b32 exec_lo, exec_lo, s21
	v_add_nc_u64_e32 v[8:9], s[6:7], v[8:9]
	s_delay_alu instid0(VALU_DEP_1) | instskip(SKIP_1) | instid1(SALU_CYCLE_1)
	v_cmp_le_i64_e32 vcc_lo, s[4:5], v[8:9]
	s_or_b32 s20, vcc_lo, s20
	s_and_not1_b32 exec_lo, exec_lo, s20
	s_cbranch_execz .LBB65_10
.LBB65_7:                               ; =>This Loop Header: Depth=1
                                        ;     Child Loop BB65_9 Depth 2
	s_delay_alu instid0(VALU_DEP_2) | instskip(SKIP_1) | instid1(VALU_DEP_1)
	v_lshlrev_b64_e32 v[10:11], 3, v[8:9]
	s_mov_b32 s21, exec_lo
	v_add_nc_u64_e32 v[12:13], s[10:11], v[10:11]
	v_add_nc_u64_e32 v[10:11], s[8:9], v[10:11]
	global_load_b64 v[14:15], v[12:13], off
	global_load_b64 v[16:17], v[10:11], off
	s_wait_loadcnt 0x1
	s_wait_xcnt 0x0
	v_sub_nc_u64_e64 v[10:11], v[14:15], s[2:3]
	s_wait_loadcnt 0x0
	v_add_nc_u64_e32 v[12:13], v[16:17], v[6:7]
	s_delay_alu instid0(VALU_DEP_1)
	v_cmpx_lt_i64_e64 v[12:13], v[10:11]
	s_cbranch_execz .LBB65_6
; %bb.8:                                ;   in Loop: Header=BB65_7 Depth=1
	s_wait_kmcnt 0x0
	v_lshl_add_u64 v[14:15], v[8:9], 3, s[16:17]
	v_lshlrev_b64_e32 v[18:19], 3, v[12:13]
	s_mov_b32 s22, 0
	global_load_b64 v[14:15], v[14:15], off
	v_add_nc_u64_e32 v[16:17], s[12:13], v[18:19]
	v_add_nc_u64_e32 v[18:19], s[14:15], v[18:19]
	s_wait_loadcnt 0x0
	s_wait_xcnt 0x0
	v_mul_f64_e32 v[14:15], v[2:3], v[14:15]
.LBB65_9:                               ;   Parent Loop BB65_7 Depth=1
                                        ; =>  This Inner Loop Header: Depth=2
	global_load_b64 v[20:21], v[18:19], off
	global_load_b64 v[22:23], v[16:17], off
	v_add_nc_u64_e32 v[12:13], 64, v[12:13]
	s_wait_xcnt 0x0
	v_add_nc_u64_e32 v[16:17], 0x200, v[16:17]
	v_add_nc_u64_e32 v[18:19], 0x200, v[18:19]
	s_delay_alu instid0(VALU_DEP_3)
	v_cmp_ge_i64_e32 vcc_lo, v[12:13], v[10:11]
	s_or_b32 s22, vcc_lo, s22
	s_wait_loadcnt 0x1
	v_mul_f64_e32 v[20:21], v[14:15], v[20:21]
	s_wait_loadcnt 0x0
	v_sub_nc_u64_e64 v[22:23], v[22:23], s[2:3]
	s_delay_alu instid0(VALU_DEP_1)
	v_lshl_add_u64 v[22:23], v[22:23], 3, s[18:19]
	global_atomic_add_f64 v[22:23], v[20:21], off scope:SCOPE_DEV
	s_wait_xcnt 0x0
	s_and_not1_b32 exec_lo, exec_lo, s22
	s_cbranch_execnz .LBB65_9
	s_branch .LBB65_6
.LBB65_10:
	s_or_b32 exec_lo, exec_lo, s1
	s_mov_b32 s1, 0
.LBB65_11:
	s_delay_alu instid0(SALU_CYCLE_1)
	s_and_not1_b32 vcc_lo, exec_lo, s1
	s_cbranch_vccnz .LBB65_20
; %bb.12:
	s_and_b32 exec_lo, exec_lo, s0
	s_cbranch_execz .LBB65_20
; %bb.13:
	v_mov_b32_e32 v1, 0
	s_mov_b32 s3, 0
	s_delay_alu instid0(SALU_CYCLE_1) | instskip(NEXT) | instid1(VALU_DEP_1)
	s_mov_b32 s0, s3
	v_sub_nc_u64_e64 v[0:1], v[0:1], s[2:3]
	s_branch .LBB65_15
.LBB65_14:                              ;   in Loop: Header=BB65_15 Depth=1
	s_or_b32 exec_lo, exec_lo, s1
	v_add_nc_u64_e32 v[4:5], s[6:7], v[4:5]
	s_delay_alu instid0(VALU_DEP_1) | instskip(SKIP_1) | instid1(SALU_CYCLE_1)
	v_cmp_le_i64_e32 vcc_lo, s[4:5], v[4:5]
	s_or_b32 s0, vcc_lo, s0
	s_and_not1_b32 exec_lo, exec_lo, s0
	s_cbranch_execz .LBB65_20
.LBB65_15:                              ; =>This Loop Header: Depth=1
                                        ;     Child Loop BB65_18 Depth 2
	v_lshlrev_b64_e32 v[6:7], 3, v[4:5]
	s_mov_b32 s1, exec_lo
	s_delay_alu instid0(VALU_DEP_1)
	v_add_nc_u64_e32 v[8:9], s[10:11], v[6:7]
	v_add_nc_u64_e32 v[6:7], s[8:9], v[6:7]
	global_load_b64 v[10:11], v[8:9], off
	global_load_b64 v[12:13], v[6:7], off
	s_wait_loadcnt 0x1
	s_wait_xcnt 0x0
	v_sub_nc_u64_e64 v[6:7], v[10:11], s[2:3]
	s_wait_loadcnt 0x0
	v_add_nc_u64_e32 v[8:9], v[12:13], v[0:1]
	s_delay_alu instid0(VALU_DEP_1)
	v_cmpx_lt_i64_e64 v[8:9], v[6:7]
	s_cbranch_execz .LBB65_14
; %bb.16:                               ;   in Loop: Header=BB65_15 Depth=1
	s_wait_kmcnt 0x0
	v_lshl_add_u64 v[10:11], v[4:5], 3, s[16:17]
	v_lshlrev_b64_e32 v[14:15], 3, v[8:9]
	s_mov_b32 s20, 0
	global_load_b64 v[10:11], v[10:11], off
	v_add_nc_u64_e32 v[12:13], s[12:13], v[14:15]
	v_add_nc_u64_e32 v[14:15], s[14:15], v[14:15]
	s_wait_loadcnt 0x0
	v_mul_f64_e32 v[10:11], v[2:3], v[10:11]
	s_branch .LBB65_18
.LBB65_17:                              ;   in Loop: Header=BB65_18 Depth=2
	s_wait_xcnt 0x0
	s_or_b32 exec_lo, exec_lo, s21
	v_add_nc_u64_e32 v[8:9], 64, v[8:9]
	v_add_nc_u64_e32 v[12:13], 0x200, v[12:13]
	;; [unrolled: 1-line block ×3, first 2 shown]
	s_delay_alu instid0(VALU_DEP_3) | instskip(SKIP_1) | instid1(SALU_CYCLE_1)
	v_cmp_ge_i64_e32 vcc_lo, v[8:9], v[6:7]
	s_or_b32 s20, vcc_lo, s20
	s_and_not1_b32 exec_lo, exec_lo, s20
	s_cbranch_execz .LBB65_14
.LBB65_18:                              ;   Parent Loop BB65_15 Depth=1
                                        ; =>  This Inner Loop Header: Depth=2
	global_load_b64 v[16:17], v[12:13], off
	s_mov_b32 s21, exec_lo
	s_wait_loadcnt 0x0
	v_sub_nc_u64_e64 v[16:17], v[16:17], s[2:3]
	s_wait_xcnt 0x0
	s_delay_alu instid0(VALU_DEP_1)
	v_cmpx_ne_u64_e64 v[16:17], v[4:5]
	s_cbranch_execz .LBB65_17
; %bb.19:                               ;   in Loop: Header=BB65_18 Depth=2
	global_load_b64 v[18:19], v[14:15], off
	v_lshl_add_u64 v[16:17], v[16:17], 3, s[18:19]
	s_wait_loadcnt 0x0
	v_mul_f64_e32 v[18:19], v[10:11], v[18:19]
	s_wait_xcnt 0x0
	global_atomic_add_f64 v[16:17], v[18:19], off scope:SCOPE_DEV
	s_branch .LBB65_17
.LBB65_20:
	s_endpgm
	.section	.rodata,"a",@progbits
	.p2align	6, 0x0
	.amdhsa_kernel _ZN9rocsparseL21csrmvt_general_kernelILj256ELj64EllddddEEvbbT2_NS_24const_host_device_scalarIT6_EEPKT1_S7_PKS1_PKT3_PKT4_PT5_21rocsparse_index_base_b
		.amdhsa_group_segment_fixed_size 0
		.amdhsa_private_segment_fixed_size 0
		.amdhsa_kernarg_size 336
		.amdhsa_user_sgpr_count 2
		.amdhsa_user_sgpr_dispatch_ptr 0
		.amdhsa_user_sgpr_queue_ptr 0
		.amdhsa_user_sgpr_kernarg_segment_ptr 1
		.amdhsa_user_sgpr_dispatch_id 0
		.amdhsa_user_sgpr_kernarg_preload_length 0
		.amdhsa_user_sgpr_kernarg_preload_offset 0
		.amdhsa_user_sgpr_private_segment_size 0
		.amdhsa_wavefront_size32 1
		.amdhsa_uses_dynamic_stack 0
		.amdhsa_enable_private_segment 0
		.amdhsa_system_sgpr_workgroup_id_x 1
		.amdhsa_system_sgpr_workgroup_id_y 0
		.amdhsa_system_sgpr_workgroup_id_z 0
		.amdhsa_system_sgpr_workgroup_info 0
		.amdhsa_system_vgpr_workitem_id 0
		.amdhsa_next_free_vgpr 24
		.amdhsa_next_free_sgpr 23
		.amdhsa_named_barrier_count 0
		.amdhsa_reserve_vcc 1
		.amdhsa_float_round_mode_32 0
		.amdhsa_float_round_mode_16_64 0
		.amdhsa_float_denorm_mode_32 3
		.amdhsa_float_denorm_mode_16_64 3
		.amdhsa_fp16_overflow 0
		.amdhsa_memory_ordered 1
		.amdhsa_forward_progress 1
		.amdhsa_inst_pref_size 8
		.amdhsa_round_robin_scheduling 0
		.amdhsa_exception_fp_ieee_invalid_op 0
		.amdhsa_exception_fp_denorm_src 0
		.amdhsa_exception_fp_ieee_div_zero 0
		.amdhsa_exception_fp_ieee_overflow 0
		.amdhsa_exception_fp_ieee_underflow 0
		.amdhsa_exception_fp_ieee_inexact 0
		.amdhsa_exception_int_div_zero 0
	.end_amdhsa_kernel
	.section	.text._ZN9rocsparseL21csrmvt_general_kernelILj256ELj64EllddddEEvbbT2_NS_24const_host_device_scalarIT6_EEPKT1_S7_PKS1_PKT3_PKT4_PT5_21rocsparse_index_base_b,"axG",@progbits,_ZN9rocsparseL21csrmvt_general_kernelILj256ELj64EllddddEEvbbT2_NS_24const_host_device_scalarIT6_EEPKT1_S7_PKS1_PKT3_PKT4_PT5_21rocsparse_index_base_b,comdat
.Lfunc_end65:
	.size	_ZN9rocsparseL21csrmvt_general_kernelILj256ELj64EllddddEEvbbT2_NS_24const_host_device_scalarIT6_EEPKT1_S7_PKS1_PKT3_PKT4_PT5_21rocsparse_index_base_b, .Lfunc_end65-_ZN9rocsparseL21csrmvt_general_kernelILj256ELj64EllddddEEvbbT2_NS_24const_host_device_scalarIT6_EEPKT1_S7_PKS1_PKT3_PKT4_PT5_21rocsparse_index_base_b
                                        ; -- End function
	.set _ZN9rocsparseL21csrmvt_general_kernelILj256ELj64EllddddEEvbbT2_NS_24const_host_device_scalarIT6_EEPKT1_S7_PKS1_PKT3_PKT4_PT5_21rocsparse_index_base_b.num_vgpr, 24
	.set _ZN9rocsparseL21csrmvt_general_kernelILj256ELj64EllddddEEvbbT2_NS_24const_host_device_scalarIT6_EEPKT1_S7_PKS1_PKT3_PKT4_PT5_21rocsparse_index_base_b.num_agpr, 0
	.set _ZN9rocsparseL21csrmvt_general_kernelILj256ELj64EllddddEEvbbT2_NS_24const_host_device_scalarIT6_EEPKT1_S7_PKS1_PKT3_PKT4_PT5_21rocsparse_index_base_b.numbered_sgpr, 23
	.set _ZN9rocsparseL21csrmvt_general_kernelILj256ELj64EllddddEEvbbT2_NS_24const_host_device_scalarIT6_EEPKT1_S7_PKS1_PKT3_PKT4_PT5_21rocsparse_index_base_b.num_named_barrier, 0
	.set _ZN9rocsparseL21csrmvt_general_kernelILj256ELj64EllddddEEvbbT2_NS_24const_host_device_scalarIT6_EEPKT1_S7_PKS1_PKT3_PKT4_PT5_21rocsparse_index_base_b.private_seg_size, 0
	.set _ZN9rocsparseL21csrmvt_general_kernelILj256ELj64EllddddEEvbbT2_NS_24const_host_device_scalarIT6_EEPKT1_S7_PKS1_PKT3_PKT4_PT5_21rocsparse_index_base_b.uses_vcc, 1
	.set _ZN9rocsparseL21csrmvt_general_kernelILj256ELj64EllddddEEvbbT2_NS_24const_host_device_scalarIT6_EEPKT1_S7_PKS1_PKT3_PKT4_PT5_21rocsparse_index_base_b.uses_flat_scratch, 0
	.set _ZN9rocsparseL21csrmvt_general_kernelILj256ELj64EllddddEEvbbT2_NS_24const_host_device_scalarIT6_EEPKT1_S7_PKS1_PKT3_PKT4_PT5_21rocsparse_index_base_b.has_dyn_sized_stack, 0
	.set _ZN9rocsparseL21csrmvt_general_kernelILj256ELj64EllddddEEvbbT2_NS_24const_host_device_scalarIT6_EEPKT1_S7_PKS1_PKT3_PKT4_PT5_21rocsparse_index_base_b.has_recursion, 0
	.set _ZN9rocsparseL21csrmvt_general_kernelILj256ELj64EllddddEEvbbT2_NS_24const_host_device_scalarIT6_EEPKT1_S7_PKS1_PKT3_PKT4_PT5_21rocsparse_index_base_b.has_indirect_call, 0
	.section	.AMDGPU.csdata,"",@progbits
; Kernel info:
; codeLenInByte = 904
; TotalNumSgprs: 25
; NumVgprs: 24
; ScratchSize: 0
; MemoryBound: 0
; FloatMode: 240
; IeeeMode: 1
; LDSByteSize: 0 bytes/workgroup (compile time only)
; SGPRBlocks: 0
; VGPRBlocks: 1
; NumSGPRsForWavesPerEU: 25
; NumVGPRsForWavesPerEU: 24
; NamedBarCnt: 0
; Occupancy: 16
; WaveLimiterHint : 1
; COMPUTE_PGM_RSRC2:SCRATCH_EN: 0
; COMPUTE_PGM_RSRC2:USER_SGPR: 2
; COMPUTE_PGM_RSRC2:TRAP_HANDLER: 0
; COMPUTE_PGM_RSRC2:TGID_X_EN: 1
; COMPUTE_PGM_RSRC2:TGID_Y_EN: 0
; COMPUTE_PGM_RSRC2:TGID_Z_EN: 0
; COMPUTE_PGM_RSRC2:TIDIG_COMP_CNT: 0
	.section	.text._ZN9rocsparseL21csrmvn_general_kernelILj256ELj2Eii21rocsparse_complex_numIfES2_S2_S2_EEvbT2_NS_24const_host_device_scalarIT6_EEPKT1_S9_PKS3_PKT3_PKT4_S6_PT5_21rocsparse_index_base_b,"axG",@progbits,_ZN9rocsparseL21csrmvn_general_kernelILj256ELj2Eii21rocsparse_complex_numIfES2_S2_S2_EEvbT2_NS_24const_host_device_scalarIT6_EEPKT1_S9_PKS3_PKT3_PKT4_S6_PT5_21rocsparse_index_base_b,comdat
	.globl	_ZN9rocsparseL21csrmvn_general_kernelILj256ELj2Eii21rocsparse_complex_numIfES2_S2_S2_EEvbT2_NS_24const_host_device_scalarIT6_EEPKT1_S9_PKS3_PKT3_PKT4_S6_PT5_21rocsparse_index_base_b ; -- Begin function _ZN9rocsparseL21csrmvn_general_kernelILj256ELj2Eii21rocsparse_complex_numIfES2_S2_S2_EEvbT2_NS_24const_host_device_scalarIT6_EEPKT1_S9_PKS3_PKT3_PKT4_S6_PT5_21rocsparse_index_base_b
	.p2align	8
	.type	_ZN9rocsparseL21csrmvn_general_kernelILj256ELj2Eii21rocsparse_complex_numIfES2_S2_S2_EEvbT2_NS_24const_host_device_scalarIT6_EEPKT1_S9_PKS3_PKT3_PKT4_S6_PT5_21rocsparse_index_base_b,@function
_ZN9rocsparseL21csrmvn_general_kernelILj256ELj2Eii21rocsparse_complex_numIfES2_S2_S2_EEvbT2_NS_24const_host_device_scalarIT6_EEPKT1_S9_PKS3_PKT3_PKT4_S6_PT5_21rocsparse_index_base_b: ; @_ZN9rocsparseL21csrmvn_general_kernelILj256ELj2Eii21rocsparse_complex_numIfES2_S2_S2_EEvbT2_NS_24const_host_device_scalarIT6_EEPKT1_S9_PKS3_PKT3_PKT4_S6_PT5_21rocsparse_index_base_b
; %bb.0:
	s_clause 0x2
	s_load_b64 s[16:17], s[0:1], 0x48
	s_load_b128 s[12:15], s[0:1], 0x8
	s_load_b64 s[2:3], s[0:1], 0x38
	v_mov_b32_e32 v1, 0
	s_add_nc_u64 s[4:5], s[0:1], 8
	s_add_nc_u64 s[6:7], s[0:1], 56
	s_wait_kmcnt 0x0
	s_bitcmp1_b32 s17, 0
	s_cselect_b32 s5, s5, s13
	s_cselect_b32 s4, s4, s12
	;; [unrolled: 1-line block ×4, first 2 shown]
	s_clause 0x1
	flat_load_b64 v[2:3], v1, s[4:5]
	flat_load_b64 v[4:5], v1, s[2:3]
	s_wait_loadcnt_dscnt 0x101
	v_cmp_neq_f32_e32 vcc_lo, 0, v2
	s_wait_xcnt 0x0
	v_cmp_neq_f32_e64 s2, 0, v3
	s_wait_loadcnt_dscnt 0x0
	v_cmp_neq_f32_e64 s3, 1.0, v4
	v_cmp_neq_f32_e64 s4, 0, v5
	s_or_b32 s2, vcc_lo, s2
	s_or_b32 s3, s3, s4
	s_delay_alu instid0(SALU_CYCLE_1) | instskip(NEXT) | instid1(SALU_CYCLE_1)
	s_or_b32 s2, s2, s3
	s_and_saveexec_b32 s3, s2
	s_cbranch_execz .LBB66_12
; %bb.1:
	s_bfe_u32 s4, ttmp6, 0x4000c
	s_load_b64 s[2:3], s[0:1], 0x0
	s_add_co_i32 s4, s4, 1
	s_and_b32 s5, ttmp6, 15
	s_mul_i32 s4, ttmp9, s4
	s_getreg_b32 s6, hwreg(HW_REG_IB_STS2, 6, 4)
	s_add_co_i32 s5, s5, s4
	s_cmp_eq_u32 s6, 0
	s_cselect_b32 s4, ttmp9, s5
	s_delay_alu instid0(SALU_CYCLE_1) | instskip(NEXT) | instid1(VALU_DEP_1)
	v_lshl_or_b32 v1, s4, 8, v0
	v_lshrrev_b32_e32 v6, 1, v1
	s_wait_kmcnt 0x0
	s_delay_alu instid0(VALU_DEP_1)
	v_cmp_gt_i32_e32 vcc_lo, s3, v6
	s_and_b32 exec_lo, exec_lo, vcc_lo
	s_cbranch_execz .LBB66_12
; %bb.2:
	s_clause 0x2
	s_load_b32 s17, s[0:1], 0x50
	s_load_b64 s[12:13], s[0:1], 0x40
	s_load_b256 s[4:11], s[0:1], 0x18
	v_mbcnt_lo_u32_b32 v7, -1, 0
	v_dual_mov_b32 v9, v4 :: v_dual_bitop2_b32 v10, 1, v0 bitop3:0x40
	s_wait_xcnt 0x0
	v_cmp_neq_f32_e64 s0, 0, v4
	s_delay_alu instid0(VALU_DEP_3)
	v_dual_mov_b32 v1, v2 :: v_dual_bitop2_b32 v11, 1, v7 bitop3:0x14
	v_cmp_neq_f32_e64 s1, 0, v5
	v_xor_b32_e32 v0, 0x80000000, v3
	v_xor_b32_e32 v8, 0x80000000, v5
	v_subrev_nc_u32_e32 v14, s16, v10
	v_cmp_gt_i32_e32 vcc_lo, 32, v11
	v_cndmask_b32_e32 v7, v7, v11, vcc_lo
	v_cmp_eq_u32_e32 vcc_lo, 1, v10
	s_wait_kmcnt 0x0
	s_lshl_b32 s18, s17, 7
	s_bitcmp1_b32 s2, 0
	v_lshlrev_b32_e32 v15, 2, v7
	s_cselect_b32 s2, -1, 0
	s_ashr_i32 s17, s16, 31
	s_or_b32 s1, s0, s1
	s_lshl_b64 s[20:21], s[16:17], 3
	s_mov_b32 s17, 0
	s_sub_nc_u64 s[10:11], s[10:11], s[20:21]
	s_branch .LBB66_5
.LBB66_3:                               ;   in Loop: Header=BB66_5 Depth=1
	s_wait_xcnt 0x0
	s_or_b32 exec_lo, exec_lo, s19
	global_store_b64 v[10:11], v[12:13], off
.LBB66_4:                               ;   in Loop: Header=BB66_5 Depth=1
	s_wait_xcnt 0x0
	s_or_b32 exec_lo, exec_lo, s0
	v_add_nc_u32_e32 v6, s18, v6
	s_delay_alu instid0(VALU_DEP_1) | instskip(SKIP_1) | instid1(SALU_CYCLE_1)
	v_cmp_le_i32_e64 s0, s3, v6
	s_or_b32 s17, s0, s17
	s_and_not1_b32 exec_lo, exec_lo, s17
	s_cbranch_execz .LBB66_12
.LBB66_5:                               ; =>This Loop Header: Depth=1
                                        ;     Child Loop BB66_7 Depth 2
	s_clause 0x1
	global_load_b32 v7, v6, s[4:5] scale_offset
	global_load_b32 v10, v6, s[14:15] scale_offset
	s_mov_b32 s19, exec_lo
	v_mov_b32_e32 v11, 0
	s_wait_loadcnt 0x1
	v_subrev_nc_u32_e32 v7, s16, v7
	s_wait_loadcnt_dscnt 0x1
	s_delay_alu instid0(VALU_DEP_2) | instskip(SKIP_1) | instid1(VALU_DEP_1)
	v_dual_add_nc_u32 v12, v10, v14 :: v_dual_mov_b32 v10, v11
	s_wait_xcnt 0x0
	v_cmpx_lt_i32_e64 v12, v7
	s_cbranch_execz .LBB66_9
; %bb.6:                                ;   in Loop: Header=BB66_5 Depth=1
	v_mov_b32_e32 v10, 0
	s_mov_b32 s20, 0
	s_delay_alu instid0(VALU_DEP_1)
	v_mov_b32_e32 v11, v10
.LBB66_7:                               ;   Parent Loop BB66_5 Depth=1
                                        ; =>  This Inner Loop Header: Depth=2
	s_wait_dscnt 0x0
	s_clause 0x1
	global_load_b32 v13, v12, s[6:7] scale_offset
	global_load_b64 v[16:17], v12, s[8:9] scale_offset
	s_wait_xcnt 0x0
	v_add_nc_u32_e32 v12, 2, v12
	s_delay_alu instid0(VALU_DEP_1)
	v_cmp_ge_i32_e64 s0, v12, v7
	s_or_b32 s20, s0, s20
	s_wait_loadcnt 0x1
	global_load_b64 v[18:19], v13, s[10:11] scale_offset
	s_wait_loadcnt 0x1
	v_cndmask_b32_e64 v20, v17, -v17, s2
	s_delay_alu instid0(VALU_DEP_1) | instskip(NEXT) | instid1(VALU_DEP_1)
	v_pk_mul_f32 v[20:21], v[20:21], v[0:1] op_sel_hi:[0,1]
	v_pk_fma_f32 v[16:17], v[2:3], v[16:17], v[20:21] op_sel_hi:[1,0,1]
	s_wait_loadcnt 0x0
	s_delay_alu instid0(VALU_DEP_1) | instskip(NEXT) | instid1(VALU_DEP_1)
	v_pk_fma_f32 v[10:11], v[16:17], v[18:19], v[10:11] op_sel_hi:[1,0,1]
	v_pk_fma_f32 v[10:11], v[16:17], v[18:19], v[10:11] op_sel:[1,1,0] op_sel_hi:[0,1,1] neg_lo:[1,0,0]
	s_wait_xcnt 0x0
	s_and_not1_b32 exec_lo, exec_lo, s20
	s_cbranch_execnz .LBB66_7
; %bb.8:                                ;   in Loop: Header=BB66_5 Depth=1
	s_or_b32 exec_lo, exec_lo, s20
.LBB66_9:                               ;   in Loop: Header=BB66_5 Depth=1
	s_delay_alu instid0(SALU_CYCLE_1)
	s_or_b32 exec_lo, exec_lo, s19
	ds_bpermute_b32 v12, v15, v10
	s_wait_dscnt 0x1
	ds_bpermute_b32 v13, v15, v11
	v_ashrrev_i32_e32 v7, 31, v6
	s_and_saveexec_b32 s0, vcc_lo
	s_cbranch_execz .LBB66_4
; %bb.10:                               ;   in Loop: Header=BB66_5 Depth=1
	s_wait_dscnt 0x0
	v_pk_add_f32 v[12:13], v[10:11], v[12:13]
	v_lshl_add_u64 v[10:11], v[6:7], 3, s[12:13]
	s_and_saveexec_b32 s19, s1
	s_cbranch_execz .LBB66_3
; %bb.11:                               ;   in Loop: Header=BB66_5 Depth=1
	global_load_b64 v[16:17], v[10:11], off
	s_wait_loadcnt 0x0
	v_pk_fma_f32 v[12:13], v[4:5], v[16:17], v[12:13] op_sel_hi:[1,0,1]
	s_delay_alu instid0(VALU_DEP_1)
	v_pk_fma_f32 v[12:13], v[8:9], v[16:17], v[12:13] op_sel:[0,1,0]
	s_branch .LBB66_3
.LBB66_12:
	s_endpgm
	.section	.rodata,"a",@progbits
	.p2align	6, 0x0
	.amdhsa_kernel _ZN9rocsparseL21csrmvn_general_kernelILj256ELj2Eii21rocsparse_complex_numIfES2_S2_S2_EEvbT2_NS_24const_host_device_scalarIT6_EEPKT1_S9_PKS3_PKT3_PKT4_S6_PT5_21rocsparse_index_base_b
		.amdhsa_group_segment_fixed_size 0
		.amdhsa_private_segment_fixed_size 0
		.amdhsa_kernarg_size 336
		.amdhsa_user_sgpr_count 2
		.amdhsa_user_sgpr_dispatch_ptr 0
		.amdhsa_user_sgpr_queue_ptr 0
		.amdhsa_user_sgpr_kernarg_segment_ptr 1
		.amdhsa_user_sgpr_dispatch_id 0
		.amdhsa_user_sgpr_kernarg_preload_length 0
		.amdhsa_user_sgpr_kernarg_preload_offset 0
		.amdhsa_user_sgpr_private_segment_size 0
		.amdhsa_wavefront_size32 1
		.amdhsa_uses_dynamic_stack 0
		.amdhsa_enable_private_segment 0
		.amdhsa_system_sgpr_workgroup_id_x 1
		.amdhsa_system_sgpr_workgroup_id_y 0
		.amdhsa_system_sgpr_workgroup_id_z 0
		.amdhsa_system_sgpr_workgroup_info 0
		.amdhsa_system_vgpr_workitem_id 0
		.amdhsa_next_free_vgpr 22
		.amdhsa_next_free_sgpr 22
		.amdhsa_named_barrier_count 0
		.amdhsa_reserve_vcc 1
		.amdhsa_float_round_mode_32 0
		.amdhsa_float_round_mode_16_64 0
		.amdhsa_float_denorm_mode_32 3
		.amdhsa_float_denorm_mode_16_64 3
		.amdhsa_fp16_overflow 0
		.amdhsa_memory_ordered 1
		.amdhsa_forward_progress 1
		.amdhsa_inst_pref_size 7
		.amdhsa_round_robin_scheduling 0
		.amdhsa_exception_fp_ieee_invalid_op 0
		.amdhsa_exception_fp_denorm_src 0
		.amdhsa_exception_fp_ieee_div_zero 0
		.amdhsa_exception_fp_ieee_overflow 0
		.amdhsa_exception_fp_ieee_underflow 0
		.amdhsa_exception_fp_ieee_inexact 0
		.amdhsa_exception_int_div_zero 0
	.end_amdhsa_kernel
	.section	.text._ZN9rocsparseL21csrmvn_general_kernelILj256ELj2Eii21rocsparse_complex_numIfES2_S2_S2_EEvbT2_NS_24const_host_device_scalarIT6_EEPKT1_S9_PKS3_PKT3_PKT4_S6_PT5_21rocsparse_index_base_b,"axG",@progbits,_ZN9rocsparseL21csrmvn_general_kernelILj256ELj2Eii21rocsparse_complex_numIfES2_S2_S2_EEvbT2_NS_24const_host_device_scalarIT6_EEPKT1_S9_PKS3_PKT3_PKT4_S6_PT5_21rocsparse_index_base_b,comdat
.Lfunc_end66:
	.size	_ZN9rocsparseL21csrmvn_general_kernelILj256ELj2Eii21rocsparse_complex_numIfES2_S2_S2_EEvbT2_NS_24const_host_device_scalarIT6_EEPKT1_S9_PKS3_PKT3_PKT4_S6_PT5_21rocsparse_index_base_b, .Lfunc_end66-_ZN9rocsparseL21csrmvn_general_kernelILj256ELj2Eii21rocsparse_complex_numIfES2_S2_S2_EEvbT2_NS_24const_host_device_scalarIT6_EEPKT1_S9_PKS3_PKT3_PKT4_S6_PT5_21rocsparse_index_base_b
                                        ; -- End function
	.set _ZN9rocsparseL21csrmvn_general_kernelILj256ELj2Eii21rocsparse_complex_numIfES2_S2_S2_EEvbT2_NS_24const_host_device_scalarIT6_EEPKT1_S9_PKS3_PKT3_PKT4_S6_PT5_21rocsparse_index_base_b.num_vgpr, 22
	.set _ZN9rocsparseL21csrmvn_general_kernelILj256ELj2Eii21rocsparse_complex_numIfES2_S2_S2_EEvbT2_NS_24const_host_device_scalarIT6_EEPKT1_S9_PKS3_PKT3_PKT4_S6_PT5_21rocsparse_index_base_b.num_agpr, 0
	.set _ZN9rocsparseL21csrmvn_general_kernelILj256ELj2Eii21rocsparse_complex_numIfES2_S2_S2_EEvbT2_NS_24const_host_device_scalarIT6_EEPKT1_S9_PKS3_PKT3_PKT4_S6_PT5_21rocsparse_index_base_b.numbered_sgpr, 22
	.set _ZN9rocsparseL21csrmvn_general_kernelILj256ELj2Eii21rocsparse_complex_numIfES2_S2_S2_EEvbT2_NS_24const_host_device_scalarIT6_EEPKT1_S9_PKS3_PKT3_PKT4_S6_PT5_21rocsparse_index_base_b.num_named_barrier, 0
	.set _ZN9rocsparseL21csrmvn_general_kernelILj256ELj2Eii21rocsparse_complex_numIfES2_S2_S2_EEvbT2_NS_24const_host_device_scalarIT6_EEPKT1_S9_PKS3_PKT3_PKT4_S6_PT5_21rocsparse_index_base_b.private_seg_size, 0
	.set _ZN9rocsparseL21csrmvn_general_kernelILj256ELj2Eii21rocsparse_complex_numIfES2_S2_S2_EEvbT2_NS_24const_host_device_scalarIT6_EEPKT1_S9_PKS3_PKT3_PKT4_S6_PT5_21rocsparse_index_base_b.uses_vcc, 1
	.set _ZN9rocsparseL21csrmvn_general_kernelILj256ELj2Eii21rocsparse_complex_numIfES2_S2_S2_EEvbT2_NS_24const_host_device_scalarIT6_EEPKT1_S9_PKS3_PKT3_PKT4_S6_PT5_21rocsparse_index_base_b.uses_flat_scratch, 1
	.set _ZN9rocsparseL21csrmvn_general_kernelILj256ELj2Eii21rocsparse_complex_numIfES2_S2_S2_EEvbT2_NS_24const_host_device_scalarIT6_EEPKT1_S9_PKS3_PKT3_PKT4_S6_PT5_21rocsparse_index_base_b.has_dyn_sized_stack, 0
	.set _ZN9rocsparseL21csrmvn_general_kernelILj256ELj2Eii21rocsparse_complex_numIfES2_S2_S2_EEvbT2_NS_24const_host_device_scalarIT6_EEPKT1_S9_PKS3_PKT3_PKT4_S6_PT5_21rocsparse_index_base_b.has_recursion, 0
	.set _ZN9rocsparseL21csrmvn_general_kernelILj256ELj2Eii21rocsparse_complex_numIfES2_S2_S2_EEvbT2_NS_24const_host_device_scalarIT6_EEPKT1_S9_PKS3_PKT3_PKT4_S6_PT5_21rocsparse_index_base_b.has_indirect_call, 0
	.section	.AMDGPU.csdata,"",@progbits
; Kernel info:
; codeLenInByte = 804
; TotalNumSgprs: 24
; NumVgprs: 22
; ScratchSize: 0
; MemoryBound: 0
; FloatMode: 240
; IeeeMode: 1
; LDSByteSize: 0 bytes/workgroup (compile time only)
; SGPRBlocks: 0
; VGPRBlocks: 1
; NumSGPRsForWavesPerEU: 24
; NumVGPRsForWavesPerEU: 22
; NamedBarCnt: 0
; Occupancy: 16
; WaveLimiterHint : 1
; COMPUTE_PGM_RSRC2:SCRATCH_EN: 0
; COMPUTE_PGM_RSRC2:USER_SGPR: 2
; COMPUTE_PGM_RSRC2:TRAP_HANDLER: 0
; COMPUTE_PGM_RSRC2:TGID_X_EN: 1
; COMPUTE_PGM_RSRC2:TGID_Y_EN: 0
; COMPUTE_PGM_RSRC2:TGID_Z_EN: 0
; COMPUTE_PGM_RSRC2:TIDIG_COMP_CNT: 0
	.section	.text._ZN9rocsparseL21csrmvn_general_kernelILj256ELj4Eii21rocsparse_complex_numIfES2_S2_S2_EEvbT2_NS_24const_host_device_scalarIT6_EEPKT1_S9_PKS3_PKT3_PKT4_S6_PT5_21rocsparse_index_base_b,"axG",@progbits,_ZN9rocsparseL21csrmvn_general_kernelILj256ELj4Eii21rocsparse_complex_numIfES2_S2_S2_EEvbT2_NS_24const_host_device_scalarIT6_EEPKT1_S9_PKS3_PKT3_PKT4_S6_PT5_21rocsparse_index_base_b,comdat
	.globl	_ZN9rocsparseL21csrmvn_general_kernelILj256ELj4Eii21rocsparse_complex_numIfES2_S2_S2_EEvbT2_NS_24const_host_device_scalarIT6_EEPKT1_S9_PKS3_PKT3_PKT4_S6_PT5_21rocsparse_index_base_b ; -- Begin function _ZN9rocsparseL21csrmvn_general_kernelILj256ELj4Eii21rocsparse_complex_numIfES2_S2_S2_EEvbT2_NS_24const_host_device_scalarIT6_EEPKT1_S9_PKS3_PKT3_PKT4_S6_PT5_21rocsparse_index_base_b
	.p2align	8
	.type	_ZN9rocsparseL21csrmvn_general_kernelILj256ELj4Eii21rocsparse_complex_numIfES2_S2_S2_EEvbT2_NS_24const_host_device_scalarIT6_EEPKT1_S9_PKS3_PKT3_PKT4_S6_PT5_21rocsparse_index_base_b,@function
_ZN9rocsparseL21csrmvn_general_kernelILj256ELj4Eii21rocsparse_complex_numIfES2_S2_S2_EEvbT2_NS_24const_host_device_scalarIT6_EEPKT1_S9_PKS3_PKT3_PKT4_S6_PT5_21rocsparse_index_base_b: ; @_ZN9rocsparseL21csrmvn_general_kernelILj256ELj4Eii21rocsparse_complex_numIfES2_S2_S2_EEvbT2_NS_24const_host_device_scalarIT6_EEPKT1_S9_PKS3_PKT3_PKT4_S6_PT5_21rocsparse_index_base_b
; %bb.0:
	s_clause 0x2
	s_load_b64 s[16:17], s[0:1], 0x48
	s_load_b128 s[12:15], s[0:1], 0x8
	s_load_b64 s[2:3], s[0:1], 0x38
	v_mov_b32_e32 v1, 0
	s_add_nc_u64 s[4:5], s[0:1], 8
	s_add_nc_u64 s[6:7], s[0:1], 56
	s_wait_kmcnt 0x0
	s_bitcmp1_b32 s17, 0
	s_cselect_b32 s5, s5, s13
	s_cselect_b32 s4, s4, s12
	;; [unrolled: 1-line block ×4, first 2 shown]
	s_clause 0x1
	flat_load_b64 v[2:3], v1, s[4:5]
	flat_load_b64 v[4:5], v1, s[2:3]
	s_wait_loadcnt_dscnt 0x101
	v_cmp_neq_f32_e32 vcc_lo, 0, v2
	s_wait_xcnt 0x0
	v_cmp_neq_f32_e64 s2, 0, v3
	s_wait_loadcnt_dscnt 0x0
	v_cmp_neq_f32_e64 s3, 1.0, v4
	v_cmp_neq_f32_e64 s4, 0, v5
	s_or_b32 s2, vcc_lo, s2
	s_or_b32 s3, s3, s4
	s_delay_alu instid0(SALU_CYCLE_1) | instskip(NEXT) | instid1(SALU_CYCLE_1)
	s_or_b32 s2, s2, s3
	s_and_saveexec_b32 s3, s2
	s_cbranch_execz .LBB67_12
; %bb.1:
	s_bfe_u32 s2, ttmp6, 0x4000c
	s_load_b64 s[12:13], s[0:1], 0x0
	s_add_co_i32 s2, s2, 1
	s_and_b32 s3, ttmp6, 15
	s_mul_i32 s2, ttmp9, s2
	s_getreg_b32 s4, hwreg(HW_REG_IB_STS2, 6, 4)
	s_add_co_i32 s3, s3, s2
	s_cmp_eq_u32 s4, 0
	s_cselect_b32 s2, ttmp9, s3
	s_delay_alu instid0(SALU_CYCLE_1) | instskip(NEXT) | instid1(VALU_DEP_1)
	v_lshl_or_b32 v1, s2, 8, v0
	v_lshrrev_b32_e32 v6, 2, v1
	s_wait_kmcnt 0x0
	s_delay_alu instid0(VALU_DEP_1)
	v_cmp_gt_i32_e32 vcc_lo, s13, v6
	s_and_b32 exec_lo, exec_lo, vcc_lo
	s_cbranch_execz .LBB67_12
; %bb.2:
	v_mbcnt_lo_u32_b32 v10, -1, 0
	s_clause 0x2
	s_load_b32 s3, s[0:1], 0x50
	s_load_b64 s[18:19], s[0:1], 0x40
	s_load_b256 s[4:11], s[0:1], 0x18
	v_dual_mov_b32 v9, v4 :: v_dual_bitop2_b32 v7, 3, v0 bitop3:0x40
	s_wait_xcnt 0x0
	v_cmp_neq_f32_e64 s0, 0, v4
	v_dual_mov_b32 v1, v2 :: v_dual_bitop2_b32 v11, 2, v10 bitop3:0x14
	s_delay_alu instid0(VALU_DEP_3) | instskip(SKIP_2) | instid1(VALU_DEP_4)
	v_subrev_nc_u32_e32 v14, s16, v7
	v_cmp_eq_u32_e32 vcc_lo, 3, v7
	v_cmp_neq_f32_e64 s1, 0, v5
	v_cmp_gt_i32_e64 s2, 32, v11
	v_xor_b32_e32 v12, 1, v10
	v_xor_b32_e32 v0, 0x80000000, v3
	;; [unrolled: 1-line block ×3, first 2 shown]
	s_delay_alu instid0(VALU_DEP_4) | instskip(NEXT) | instid1(VALU_DEP_4)
	v_cndmask_b32_e64 v7, v10, v11, s2
	v_cmp_gt_i32_e64 s2, 32, v12
	s_wait_kmcnt 0x0
	s_lshl_b32 s20, s3, 6
	s_bitcmp1_b32 s12, 0
	v_dual_cndmask_b32 v10, v10, v12, s2 :: v_dual_lshlrev_b32 v15, 2, v7
	s_cselect_b32 s12, -1, 0
	s_ashr_i32 s17, s16, 31
	s_or_b32 s1, s0, s1
	s_delay_alu instid0(VALU_DEP_1)
	v_lshlrev_b32_e32 v16, 2, v10
	s_lshl_b64 s[2:3], s[16:17], 3
	s_mov_b32 s17, 0
	s_sub_nc_u64 s[2:3], s[10:11], s[2:3]
	s_branch .LBB67_5
.LBB67_3:                               ;   in Loop: Header=BB67_5 Depth=1
	s_wait_xcnt 0x0
	s_or_b32 exec_lo, exec_lo, s10
	global_store_b64 v[10:11], v[12:13], off
.LBB67_4:                               ;   in Loop: Header=BB67_5 Depth=1
	s_wait_xcnt 0x0
	s_or_b32 exec_lo, exec_lo, s0
	v_add_nc_u32_e32 v6, s20, v6
	s_delay_alu instid0(VALU_DEP_1) | instskip(SKIP_1) | instid1(SALU_CYCLE_1)
	v_cmp_le_i32_e64 s0, s13, v6
	s_or_b32 s17, s0, s17
	s_and_not1_b32 exec_lo, exec_lo, s17
	s_cbranch_execz .LBB67_12
.LBB67_5:                               ; =>This Loop Header: Depth=1
                                        ;     Child Loop BB67_7 Depth 2
	s_clause 0x1
	global_load_b32 v7, v6, s[4:5] scale_offset
	global_load_b32 v10, v6, s[14:15] scale_offset
	s_mov_b32 s10, exec_lo
	v_mov_b32_e32 v11, 0
	s_wait_loadcnt 0x1
	v_subrev_nc_u32_e32 v7, s16, v7
	s_wait_loadcnt_dscnt 0x1
	s_delay_alu instid0(VALU_DEP_2) | instskip(SKIP_1) | instid1(VALU_DEP_1)
	v_dual_add_nc_u32 v12, v10, v14 :: v_dual_mov_b32 v10, v11
	s_wait_xcnt 0x0
	v_cmpx_lt_i32_e64 v12, v7
	s_cbranch_execz .LBB67_9
; %bb.6:                                ;   in Loop: Header=BB67_5 Depth=1
	v_mov_b32_e32 v10, 0
	s_mov_b32 s11, 0
	s_delay_alu instid0(VALU_DEP_1)
	v_mov_b32_e32 v11, v10
.LBB67_7:                               ;   Parent Loop BB67_5 Depth=1
                                        ; =>  This Inner Loop Header: Depth=2
	s_wait_dscnt 0x0
	s_clause 0x1
	global_load_b32 v13, v12, s[6:7] scale_offset
	global_load_b64 v[18:19], v12, s[8:9] scale_offset
	s_wait_xcnt 0x0
	v_add_nc_u32_e32 v12, 4, v12
	s_delay_alu instid0(VALU_DEP_1)
	v_cmp_ge_i32_e64 s0, v12, v7
	s_or_b32 s11, s0, s11
	s_wait_loadcnt 0x1
	global_load_b64 v[20:21], v13, s[2:3] scale_offset
	s_wait_loadcnt 0x1
	v_cndmask_b32_e64 v22, v19, -v19, s12
	s_delay_alu instid0(VALU_DEP_1) | instskip(NEXT) | instid1(VALU_DEP_1)
	v_pk_mul_f32 v[22:23], v[22:23], v[0:1] op_sel_hi:[0,1]
	v_pk_fma_f32 v[18:19], v[2:3], v[18:19], v[22:23] op_sel_hi:[1,0,1]
	s_wait_loadcnt 0x0
	s_delay_alu instid0(VALU_DEP_1) | instskip(NEXT) | instid1(VALU_DEP_1)
	v_pk_fma_f32 v[10:11], v[18:19], v[20:21], v[10:11] op_sel_hi:[1,0,1]
	v_pk_fma_f32 v[10:11], v[18:19], v[20:21], v[10:11] op_sel:[1,1,0] op_sel_hi:[0,1,1] neg_lo:[1,0,0]
	s_wait_xcnt 0x0
	s_and_not1_b32 exec_lo, exec_lo, s11
	s_cbranch_execnz .LBB67_7
; %bb.8:                                ;   in Loop: Header=BB67_5 Depth=1
	s_or_b32 exec_lo, exec_lo, s11
.LBB67_9:                               ;   in Loop: Header=BB67_5 Depth=1
	s_delay_alu instid0(SALU_CYCLE_1)
	s_or_b32 exec_lo, exec_lo, s10
	ds_bpermute_b32 v12, v15, v10
	s_wait_dscnt 0x1
	ds_bpermute_b32 v13, v15, v11
	v_ashrrev_i32_e32 v7, 31, v6
	s_wait_dscnt 0x0
	v_pk_add_f32 v[10:11], v[10:11], v[12:13]
	ds_bpermute_b32 v12, v16, v10
	ds_bpermute_b32 v13, v16, v11
	s_and_saveexec_b32 s0, vcc_lo
	s_cbranch_execz .LBB67_4
; %bb.10:                               ;   in Loop: Header=BB67_5 Depth=1
	s_wait_dscnt 0x0
	v_pk_add_f32 v[12:13], v[10:11], v[12:13]
	v_lshl_add_u64 v[10:11], v[6:7], 3, s[18:19]
	s_and_saveexec_b32 s10, s1
	s_cbranch_execz .LBB67_3
; %bb.11:                               ;   in Loop: Header=BB67_5 Depth=1
	global_load_b64 v[18:19], v[10:11], off
	s_wait_loadcnt 0x0
	v_pk_fma_f32 v[12:13], v[4:5], v[18:19], v[12:13] op_sel_hi:[1,0,1]
	s_delay_alu instid0(VALU_DEP_1)
	v_pk_fma_f32 v[12:13], v[8:9], v[18:19], v[12:13] op_sel:[0,1,0]
	s_branch .LBB67_3
.LBB67_12:
	s_endpgm
	.section	.rodata,"a",@progbits
	.p2align	6, 0x0
	.amdhsa_kernel _ZN9rocsparseL21csrmvn_general_kernelILj256ELj4Eii21rocsparse_complex_numIfES2_S2_S2_EEvbT2_NS_24const_host_device_scalarIT6_EEPKT1_S9_PKS3_PKT3_PKT4_S6_PT5_21rocsparse_index_base_b
		.amdhsa_group_segment_fixed_size 0
		.amdhsa_private_segment_fixed_size 0
		.amdhsa_kernarg_size 336
		.amdhsa_user_sgpr_count 2
		.amdhsa_user_sgpr_dispatch_ptr 0
		.amdhsa_user_sgpr_queue_ptr 0
		.amdhsa_user_sgpr_kernarg_segment_ptr 1
		.amdhsa_user_sgpr_dispatch_id 0
		.amdhsa_user_sgpr_kernarg_preload_length 0
		.amdhsa_user_sgpr_kernarg_preload_offset 0
		.amdhsa_user_sgpr_private_segment_size 0
		.amdhsa_wavefront_size32 1
		.amdhsa_uses_dynamic_stack 0
		.amdhsa_enable_private_segment 0
		.amdhsa_system_sgpr_workgroup_id_x 1
		.amdhsa_system_sgpr_workgroup_id_y 0
		.amdhsa_system_sgpr_workgroup_id_z 0
		.amdhsa_system_sgpr_workgroup_info 0
		.amdhsa_system_vgpr_workitem_id 0
		.amdhsa_next_free_vgpr 24
		.amdhsa_next_free_sgpr 21
		.amdhsa_named_barrier_count 0
		.amdhsa_reserve_vcc 1
		.amdhsa_float_round_mode_32 0
		.amdhsa_float_round_mode_16_64 0
		.amdhsa_float_denorm_mode_32 3
		.amdhsa_float_denorm_mode_16_64 3
		.amdhsa_fp16_overflow 0
		.amdhsa_memory_ordered 1
		.amdhsa_forward_progress 1
		.amdhsa_inst_pref_size 7
		.amdhsa_round_robin_scheduling 0
		.amdhsa_exception_fp_ieee_invalid_op 0
		.amdhsa_exception_fp_denorm_src 0
		.amdhsa_exception_fp_ieee_div_zero 0
		.amdhsa_exception_fp_ieee_overflow 0
		.amdhsa_exception_fp_ieee_underflow 0
		.amdhsa_exception_fp_ieee_inexact 0
		.amdhsa_exception_int_div_zero 0
	.end_amdhsa_kernel
	.section	.text._ZN9rocsparseL21csrmvn_general_kernelILj256ELj4Eii21rocsparse_complex_numIfES2_S2_S2_EEvbT2_NS_24const_host_device_scalarIT6_EEPKT1_S9_PKS3_PKT3_PKT4_S6_PT5_21rocsparse_index_base_b,"axG",@progbits,_ZN9rocsparseL21csrmvn_general_kernelILj256ELj4Eii21rocsparse_complex_numIfES2_S2_S2_EEvbT2_NS_24const_host_device_scalarIT6_EEPKT1_S9_PKS3_PKT3_PKT4_S6_PT5_21rocsparse_index_base_b,comdat
.Lfunc_end67:
	.size	_ZN9rocsparseL21csrmvn_general_kernelILj256ELj4Eii21rocsparse_complex_numIfES2_S2_S2_EEvbT2_NS_24const_host_device_scalarIT6_EEPKT1_S9_PKS3_PKT3_PKT4_S6_PT5_21rocsparse_index_base_b, .Lfunc_end67-_ZN9rocsparseL21csrmvn_general_kernelILj256ELj4Eii21rocsparse_complex_numIfES2_S2_S2_EEvbT2_NS_24const_host_device_scalarIT6_EEPKT1_S9_PKS3_PKT3_PKT4_S6_PT5_21rocsparse_index_base_b
                                        ; -- End function
	.set _ZN9rocsparseL21csrmvn_general_kernelILj256ELj4Eii21rocsparse_complex_numIfES2_S2_S2_EEvbT2_NS_24const_host_device_scalarIT6_EEPKT1_S9_PKS3_PKT3_PKT4_S6_PT5_21rocsparse_index_base_b.num_vgpr, 24
	.set _ZN9rocsparseL21csrmvn_general_kernelILj256ELj4Eii21rocsparse_complex_numIfES2_S2_S2_EEvbT2_NS_24const_host_device_scalarIT6_EEPKT1_S9_PKS3_PKT3_PKT4_S6_PT5_21rocsparse_index_base_b.num_agpr, 0
	.set _ZN9rocsparseL21csrmvn_general_kernelILj256ELj4Eii21rocsparse_complex_numIfES2_S2_S2_EEvbT2_NS_24const_host_device_scalarIT6_EEPKT1_S9_PKS3_PKT3_PKT4_S6_PT5_21rocsparse_index_base_b.numbered_sgpr, 21
	.set _ZN9rocsparseL21csrmvn_general_kernelILj256ELj4Eii21rocsparse_complex_numIfES2_S2_S2_EEvbT2_NS_24const_host_device_scalarIT6_EEPKT1_S9_PKS3_PKT3_PKT4_S6_PT5_21rocsparse_index_base_b.num_named_barrier, 0
	.set _ZN9rocsparseL21csrmvn_general_kernelILj256ELj4Eii21rocsparse_complex_numIfES2_S2_S2_EEvbT2_NS_24const_host_device_scalarIT6_EEPKT1_S9_PKS3_PKT3_PKT4_S6_PT5_21rocsparse_index_base_b.private_seg_size, 0
	.set _ZN9rocsparseL21csrmvn_general_kernelILj256ELj4Eii21rocsparse_complex_numIfES2_S2_S2_EEvbT2_NS_24const_host_device_scalarIT6_EEPKT1_S9_PKS3_PKT3_PKT4_S6_PT5_21rocsparse_index_base_b.uses_vcc, 1
	.set _ZN9rocsparseL21csrmvn_general_kernelILj256ELj4Eii21rocsparse_complex_numIfES2_S2_S2_EEvbT2_NS_24const_host_device_scalarIT6_EEPKT1_S9_PKS3_PKT3_PKT4_S6_PT5_21rocsparse_index_base_b.uses_flat_scratch, 1
	.set _ZN9rocsparseL21csrmvn_general_kernelILj256ELj4Eii21rocsparse_complex_numIfES2_S2_S2_EEvbT2_NS_24const_host_device_scalarIT6_EEPKT1_S9_PKS3_PKT3_PKT4_S6_PT5_21rocsparse_index_base_b.has_dyn_sized_stack, 0
	.set _ZN9rocsparseL21csrmvn_general_kernelILj256ELj4Eii21rocsparse_complex_numIfES2_S2_S2_EEvbT2_NS_24const_host_device_scalarIT6_EEPKT1_S9_PKS3_PKT3_PKT4_S6_PT5_21rocsparse_index_base_b.has_recursion, 0
	.set _ZN9rocsparseL21csrmvn_general_kernelILj256ELj4Eii21rocsparse_complex_numIfES2_S2_S2_EEvbT2_NS_24const_host_device_scalarIT6_EEPKT1_S9_PKS3_PKT3_PKT4_S6_PT5_21rocsparse_index_base_b.has_indirect_call, 0
	.section	.AMDGPU.csdata,"",@progbits
; Kernel info:
; codeLenInByte = 872
; TotalNumSgprs: 23
; NumVgprs: 24
; ScratchSize: 0
; MemoryBound: 0
; FloatMode: 240
; IeeeMode: 1
; LDSByteSize: 0 bytes/workgroup (compile time only)
; SGPRBlocks: 0
; VGPRBlocks: 1
; NumSGPRsForWavesPerEU: 23
; NumVGPRsForWavesPerEU: 24
; NamedBarCnt: 0
; Occupancy: 16
; WaveLimiterHint : 1
; COMPUTE_PGM_RSRC2:SCRATCH_EN: 0
; COMPUTE_PGM_RSRC2:USER_SGPR: 2
; COMPUTE_PGM_RSRC2:TRAP_HANDLER: 0
; COMPUTE_PGM_RSRC2:TGID_X_EN: 1
; COMPUTE_PGM_RSRC2:TGID_Y_EN: 0
; COMPUTE_PGM_RSRC2:TGID_Z_EN: 0
; COMPUTE_PGM_RSRC2:TIDIG_COMP_CNT: 0
	.section	.text._ZN9rocsparseL21csrmvn_general_kernelILj256ELj8Eii21rocsparse_complex_numIfES2_S2_S2_EEvbT2_NS_24const_host_device_scalarIT6_EEPKT1_S9_PKS3_PKT3_PKT4_S6_PT5_21rocsparse_index_base_b,"axG",@progbits,_ZN9rocsparseL21csrmvn_general_kernelILj256ELj8Eii21rocsparse_complex_numIfES2_S2_S2_EEvbT2_NS_24const_host_device_scalarIT6_EEPKT1_S9_PKS3_PKT3_PKT4_S6_PT5_21rocsparse_index_base_b,comdat
	.globl	_ZN9rocsparseL21csrmvn_general_kernelILj256ELj8Eii21rocsparse_complex_numIfES2_S2_S2_EEvbT2_NS_24const_host_device_scalarIT6_EEPKT1_S9_PKS3_PKT3_PKT4_S6_PT5_21rocsparse_index_base_b ; -- Begin function _ZN9rocsparseL21csrmvn_general_kernelILj256ELj8Eii21rocsparse_complex_numIfES2_S2_S2_EEvbT2_NS_24const_host_device_scalarIT6_EEPKT1_S9_PKS3_PKT3_PKT4_S6_PT5_21rocsparse_index_base_b
	.p2align	8
	.type	_ZN9rocsparseL21csrmvn_general_kernelILj256ELj8Eii21rocsparse_complex_numIfES2_S2_S2_EEvbT2_NS_24const_host_device_scalarIT6_EEPKT1_S9_PKS3_PKT3_PKT4_S6_PT5_21rocsparse_index_base_b,@function
_ZN9rocsparseL21csrmvn_general_kernelILj256ELj8Eii21rocsparse_complex_numIfES2_S2_S2_EEvbT2_NS_24const_host_device_scalarIT6_EEPKT1_S9_PKS3_PKT3_PKT4_S6_PT5_21rocsparse_index_base_b: ; @_ZN9rocsparseL21csrmvn_general_kernelILj256ELj8Eii21rocsparse_complex_numIfES2_S2_S2_EEvbT2_NS_24const_host_device_scalarIT6_EEPKT1_S9_PKS3_PKT3_PKT4_S6_PT5_21rocsparse_index_base_b
; %bb.0:
	s_clause 0x2
	s_load_b64 s[16:17], s[0:1], 0x48
	s_load_b128 s[12:15], s[0:1], 0x8
	s_load_b64 s[2:3], s[0:1], 0x38
	v_mov_b32_e32 v1, 0
	s_add_nc_u64 s[4:5], s[0:1], 8
	s_add_nc_u64 s[6:7], s[0:1], 56
	s_wait_kmcnt 0x0
	s_bitcmp1_b32 s17, 0
	s_cselect_b32 s5, s5, s13
	s_cselect_b32 s4, s4, s12
	s_cselect_b32 s3, s7, s3
	s_cselect_b32 s2, s6, s2
	s_clause 0x1
	flat_load_b64 v[2:3], v1, s[4:5]
	flat_load_b64 v[4:5], v1, s[2:3]
	s_wait_loadcnt_dscnt 0x101
	v_cmp_neq_f32_e32 vcc_lo, 0, v2
	s_wait_xcnt 0x0
	v_cmp_neq_f32_e64 s2, 0, v3
	s_wait_loadcnt_dscnt 0x0
	v_cmp_neq_f32_e64 s3, 1.0, v4
	v_cmp_neq_f32_e64 s4, 0, v5
	s_or_b32 s2, vcc_lo, s2
	s_or_b32 s3, s3, s4
	s_delay_alu instid0(SALU_CYCLE_1) | instskip(NEXT) | instid1(SALU_CYCLE_1)
	s_or_b32 s2, s2, s3
	s_and_saveexec_b32 s3, s2
	s_cbranch_execz .LBB68_12
; %bb.1:
	s_bfe_u32 s4, ttmp6, 0x4000c
	s_load_b64 s[2:3], s[0:1], 0x0
	s_add_co_i32 s4, s4, 1
	s_and_b32 s5, ttmp6, 15
	s_mul_i32 s4, ttmp9, s4
	s_getreg_b32 s6, hwreg(HW_REG_IB_STS2, 6, 4)
	s_add_co_i32 s5, s5, s4
	s_cmp_eq_u32 s6, 0
	s_cselect_b32 s4, ttmp9, s5
	s_delay_alu instid0(SALU_CYCLE_1) | instskip(NEXT) | instid1(VALU_DEP_1)
	v_lshl_or_b32 v1, s4, 8, v0
	v_lshrrev_b32_e32 v6, 3, v1
	s_wait_kmcnt 0x0
	s_delay_alu instid0(VALU_DEP_1)
	v_cmp_gt_i32_e32 vcc_lo, s3, v6
	s_and_b32 exec_lo, exec_lo, vcc_lo
	s_cbranch_execz .LBB68_12
; %bb.2:
	v_mbcnt_lo_u32_b32 v1, -1, 0
	s_clause 0x2
	s_load_b32 s17, s[0:1], 0x50
	s_load_b64 s[12:13], s[0:1], 0x40
	s_load_b256 s[4:11], s[0:1], 0x18
	s_wait_xcnt 0x0
	v_cmp_neq_f32_e64 s0, 0, v4
	v_xor_b32_e32 v10, 1, v1
	v_xor_b32_e32 v8, 4, v1
	s_delay_alu instid0(VALU_DEP_1) | instskip(SKIP_3) | instid1(VALU_DEP_2)
	v_cmp_gt_i32_e64 s1, 32, v8
	v_xor_b32_e32 v9, 2, v1
	v_and_b32_e32 v7, 7, v0
	v_xor_b32_e32 v0, 0x80000000, v3
	v_subrev_nc_u32_e32 v14, s16, v7
	v_cmp_eq_u32_e32 vcc_lo, 7, v7
	v_cndmask_b32_e64 v7, v1, v8, s1
	v_cmp_gt_i32_e64 s1, 32, v9
	s_wait_kmcnt 0x0
	s_lshl_b32 s18, s17, 5
	s_bitcmp1_b32 s2, 0
	v_dual_lshlrev_b32 v15, 2, v7 :: v_dual_cndmask_b32 v8, v1, v9, s1
	v_cmp_gt_i32_e64 s1, 32, v10
	s_cselect_b32 s2, -1, 0
	s_ashr_i32 s17, s16, 31
	v_mov_b32_e32 v9, v4
	s_lshl_b64 s[20:21], s[16:17], 3
	v_cndmask_b32_e64 v1, v1, v10, s1
	v_cmp_neq_f32_e64 s1, 0, v5
	v_lshlrev_b32_e32 v16, 2, v8
	v_xor_b32_e32 v8, 0x80000000, v5
	s_sub_nc_u64 s[10:11], s[10:11], s[20:21]
	v_dual_lshlrev_b32 v17, 2, v1 :: v_dual_mov_b32 v1, v2
	s_mov_b32 s17, 0
	s_or_b32 s1, s0, s1
	s_branch .LBB68_5
.LBB68_3:                               ;   in Loop: Header=BB68_5 Depth=1
	s_wait_xcnt 0x0
	s_or_b32 exec_lo, exec_lo, s19
	global_store_b64 v[10:11], v[12:13], off
.LBB68_4:                               ;   in Loop: Header=BB68_5 Depth=1
	s_wait_xcnt 0x0
	s_or_b32 exec_lo, exec_lo, s0
	v_add_nc_u32_e32 v6, s18, v6
	s_delay_alu instid0(VALU_DEP_1) | instskip(SKIP_1) | instid1(SALU_CYCLE_1)
	v_cmp_le_i32_e64 s0, s3, v6
	s_or_b32 s17, s0, s17
	s_and_not1_b32 exec_lo, exec_lo, s17
	s_cbranch_execz .LBB68_12
.LBB68_5:                               ; =>This Loop Header: Depth=1
                                        ;     Child Loop BB68_7 Depth 2
	s_clause 0x1
	global_load_b32 v7, v6, s[4:5] scale_offset
	global_load_b32 v10, v6, s[14:15] scale_offset
	s_mov_b32 s19, exec_lo
	v_mov_b32_e32 v11, 0
	s_wait_loadcnt 0x1
	v_subrev_nc_u32_e32 v7, s16, v7
	s_wait_loadcnt_dscnt 0x1
	s_delay_alu instid0(VALU_DEP_2) | instskip(SKIP_1) | instid1(VALU_DEP_1)
	v_dual_add_nc_u32 v12, v10, v14 :: v_dual_mov_b32 v10, v11
	s_wait_xcnt 0x0
	v_cmpx_lt_i32_e64 v12, v7
	s_cbranch_execz .LBB68_9
; %bb.6:                                ;   in Loop: Header=BB68_5 Depth=1
	v_mov_b32_e32 v10, 0
	s_mov_b32 s20, 0
	s_delay_alu instid0(VALU_DEP_1)
	v_mov_b32_e32 v11, v10
.LBB68_7:                               ;   Parent Loop BB68_5 Depth=1
                                        ; =>  This Inner Loop Header: Depth=2
	s_wait_dscnt 0x0
	s_clause 0x1
	global_load_b32 v13, v12, s[6:7] scale_offset
	global_load_b64 v[18:19], v12, s[8:9] scale_offset
	s_wait_xcnt 0x0
	v_add_nc_u32_e32 v12, 8, v12
	s_delay_alu instid0(VALU_DEP_1)
	v_cmp_ge_i32_e64 s0, v12, v7
	s_or_b32 s20, s0, s20
	s_wait_loadcnt 0x1
	global_load_b64 v[20:21], v13, s[10:11] scale_offset
	s_wait_loadcnt 0x1
	v_cndmask_b32_e64 v22, v19, -v19, s2
	s_delay_alu instid0(VALU_DEP_1) | instskip(NEXT) | instid1(VALU_DEP_1)
	v_pk_mul_f32 v[22:23], v[22:23], v[0:1] op_sel_hi:[0,1]
	v_pk_fma_f32 v[18:19], v[2:3], v[18:19], v[22:23] op_sel_hi:[1,0,1]
	s_wait_loadcnt 0x0
	s_delay_alu instid0(VALU_DEP_1) | instskip(NEXT) | instid1(VALU_DEP_1)
	v_pk_fma_f32 v[10:11], v[18:19], v[20:21], v[10:11] op_sel_hi:[1,0,1]
	v_pk_fma_f32 v[10:11], v[18:19], v[20:21], v[10:11] op_sel:[1,1,0] op_sel_hi:[0,1,1] neg_lo:[1,0,0]
	s_wait_xcnt 0x0
	s_and_not1_b32 exec_lo, exec_lo, s20
	s_cbranch_execnz .LBB68_7
; %bb.8:                                ;   in Loop: Header=BB68_5 Depth=1
	s_or_b32 exec_lo, exec_lo, s20
.LBB68_9:                               ;   in Loop: Header=BB68_5 Depth=1
	s_delay_alu instid0(SALU_CYCLE_1)
	s_or_b32 exec_lo, exec_lo, s19
	ds_bpermute_b32 v12, v15, v10
	s_wait_dscnt 0x1
	ds_bpermute_b32 v13, v15, v11
	v_ashrrev_i32_e32 v7, 31, v6
	s_wait_dscnt 0x0
	v_pk_add_f32 v[10:11], v[10:11], v[12:13]
	ds_bpermute_b32 v12, v16, v10
	ds_bpermute_b32 v13, v16, v11
	s_wait_dscnt 0x0
	v_pk_add_f32 v[10:11], v[10:11], v[12:13]
	ds_bpermute_b32 v12, v17, v10
	ds_bpermute_b32 v13, v17, v11
	s_and_saveexec_b32 s0, vcc_lo
	s_cbranch_execz .LBB68_4
; %bb.10:                               ;   in Loop: Header=BB68_5 Depth=1
	s_wait_dscnt 0x0
	v_pk_add_f32 v[12:13], v[10:11], v[12:13]
	v_lshl_add_u64 v[10:11], v[6:7], 3, s[12:13]
	s_and_saveexec_b32 s19, s1
	s_cbranch_execz .LBB68_3
; %bb.11:                               ;   in Loop: Header=BB68_5 Depth=1
	global_load_b64 v[18:19], v[10:11], off
	s_wait_loadcnt 0x0
	v_pk_fma_f32 v[12:13], v[4:5], v[18:19], v[12:13] op_sel_hi:[1,0,1]
	s_delay_alu instid0(VALU_DEP_1)
	v_pk_fma_f32 v[12:13], v[8:9], v[18:19], v[12:13] op_sel:[0,1,0]
	s_branch .LBB68_3
.LBB68_12:
	s_endpgm
	.section	.rodata,"a",@progbits
	.p2align	6, 0x0
	.amdhsa_kernel _ZN9rocsparseL21csrmvn_general_kernelILj256ELj8Eii21rocsparse_complex_numIfES2_S2_S2_EEvbT2_NS_24const_host_device_scalarIT6_EEPKT1_S9_PKS3_PKT3_PKT4_S6_PT5_21rocsparse_index_base_b
		.amdhsa_group_segment_fixed_size 0
		.amdhsa_private_segment_fixed_size 0
		.amdhsa_kernarg_size 336
		.amdhsa_user_sgpr_count 2
		.amdhsa_user_sgpr_dispatch_ptr 0
		.amdhsa_user_sgpr_queue_ptr 0
		.amdhsa_user_sgpr_kernarg_segment_ptr 1
		.amdhsa_user_sgpr_dispatch_id 0
		.amdhsa_user_sgpr_kernarg_preload_length 0
		.amdhsa_user_sgpr_kernarg_preload_offset 0
		.amdhsa_user_sgpr_private_segment_size 0
		.amdhsa_wavefront_size32 1
		.amdhsa_uses_dynamic_stack 0
		.amdhsa_enable_private_segment 0
		.amdhsa_system_sgpr_workgroup_id_x 1
		.amdhsa_system_sgpr_workgroup_id_y 0
		.amdhsa_system_sgpr_workgroup_id_z 0
		.amdhsa_system_sgpr_workgroup_info 0
		.amdhsa_system_vgpr_workitem_id 0
		.amdhsa_next_free_vgpr 24
		.amdhsa_next_free_sgpr 22
		.amdhsa_named_barrier_count 0
		.amdhsa_reserve_vcc 1
		.amdhsa_float_round_mode_32 0
		.amdhsa_float_round_mode_16_64 0
		.amdhsa_float_denorm_mode_32 3
		.amdhsa_float_denorm_mode_16_64 3
		.amdhsa_fp16_overflow 0
		.amdhsa_memory_ordered 1
		.amdhsa_forward_progress 1
		.amdhsa_inst_pref_size 8
		.amdhsa_round_robin_scheduling 0
		.amdhsa_exception_fp_ieee_invalid_op 0
		.amdhsa_exception_fp_denorm_src 0
		.amdhsa_exception_fp_ieee_div_zero 0
		.amdhsa_exception_fp_ieee_overflow 0
		.amdhsa_exception_fp_ieee_underflow 0
		.amdhsa_exception_fp_ieee_inexact 0
		.amdhsa_exception_int_div_zero 0
	.end_amdhsa_kernel
	.section	.text._ZN9rocsparseL21csrmvn_general_kernelILj256ELj8Eii21rocsparse_complex_numIfES2_S2_S2_EEvbT2_NS_24const_host_device_scalarIT6_EEPKT1_S9_PKS3_PKT3_PKT4_S6_PT5_21rocsparse_index_base_b,"axG",@progbits,_ZN9rocsparseL21csrmvn_general_kernelILj256ELj8Eii21rocsparse_complex_numIfES2_S2_S2_EEvbT2_NS_24const_host_device_scalarIT6_EEPKT1_S9_PKS3_PKT3_PKT4_S6_PT5_21rocsparse_index_base_b,comdat
.Lfunc_end68:
	.size	_ZN9rocsparseL21csrmvn_general_kernelILj256ELj8Eii21rocsparse_complex_numIfES2_S2_S2_EEvbT2_NS_24const_host_device_scalarIT6_EEPKT1_S9_PKS3_PKT3_PKT4_S6_PT5_21rocsparse_index_base_b, .Lfunc_end68-_ZN9rocsparseL21csrmvn_general_kernelILj256ELj8Eii21rocsparse_complex_numIfES2_S2_S2_EEvbT2_NS_24const_host_device_scalarIT6_EEPKT1_S9_PKS3_PKT3_PKT4_S6_PT5_21rocsparse_index_base_b
                                        ; -- End function
	.set _ZN9rocsparseL21csrmvn_general_kernelILj256ELj8Eii21rocsparse_complex_numIfES2_S2_S2_EEvbT2_NS_24const_host_device_scalarIT6_EEPKT1_S9_PKS3_PKT3_PKT4_S6_PT5_21rocsparse_index_base_b.num_vgpr, 24
	.set _ZN9rocsparseL21csrmvn_general_kernelILj256ELj8Eii21rocsparse_complex_numIfES2_S2_S2_EEvbT2_NS_24const_host_device_scalarIT6_EEPKT1_S9_PKS3_PKT3_PKT4_S6_PT5_21rocsparse_index_base_b.num_agpr, 0
	.set _ZN9rocsparseL21csrmvn_general_kernelILj256ELj8Eii21rocsparse_complex_numIfES2_S2_S2_EEvbT2_NS_24const_host_device_scalarIT6_EEPKT1_S9_PKS3_PKT3_PKT4_S6_PT5_21rocsparse_index_base_b.numbered_sgpr, 22
	.set _ZN9rocsparseL21csrmvn_general_kernelILj256ELj8Eii21rocsparse_complex_numIfES2_S2_S2_EEvbT2_NS_24const_host_device_scalarIT6_EEPKT1_S9_PKS3_PKT3_PKT4_S6_PT5_21rocsparse_index_base_b.num_named_barrier, 0
	.set _ZN9rocsparseL21csrmvn_general_kernelILj256ELj8Eii21rocsparse_complex_numIfES2_S2_S2_EEvbT2_NS_24const_host_device_scalarIT6_EEPKT1_S9_PKS3_PKT3_PKT4_S6_PT5_21rocsparse_index_base_b.private_seg_size, 0
	.set _ZN9rocsparseL21csrmvn_general_kernelILj256ELj8Eii21rocsparse_complex_numIfES2_S2_S2_EEvbT2_NS_24const_host_device_scalarIT6_EEPKT1_S9_PKS3_PKT3_PKT4_S6_PT5_21rocsparse_index_base_b.uses_vcc, 1
	.set _ZN9rocsparseL21csrmvn_general_kernelILj256ELj8Eii21rocsparse_complex_numIfES2_S2_S2_EEvbT2_NS_24const_host_device_scalarIT6_EEPKT1_S9_PKS3_PKT3_PKT4_S6_PT5_21rocsparse_index_base_b.uses_flat_scratch, 1
	.set _ZN9rocsparseL21csrmvn_general_kernelILj256ELj8Eii21rocsparse_complex_numIfES2_S2_S2_EEvbT2_NS_24const_host_device_scalarIT6_EEPKT1_S9_PKS3_PKT3_PKT4_S6_PT5_21rocsparse_index_base_b.has_dyn_sized_stack, 0
	.set _ZN9rocsparseL21csrmvn_general_kernelILj256ELj8Eii21rocsparse_complex_numIfES2_S2_S2_EEvbT2_NS_24const_host_device_scalarIT6_EEPKT1_S9_PKS3_PKT3_PKT4_S6_PT5_21rocsparse_index_base_b.has_recursion, 0
	.set _ZN9rocsparseL21csrmvn_general_kernelILj256ELj8Eii21rocsparse_complex_numIfES2_S2_S2_EEvbT2_NS_24const_host_device_scalarIT6_EEPKT1_S9_PKS3_PKT3_PKT4_S6_PT5_21rocsparse_index_base_b.has_indirect_call, 0
	.section	.AMDGPU.csdata,"",@progbits
; Kernel info:
; codeLenInByte = 912
; TotalNumSgprs: 24
; NumVgprs: 24
; ScratchSize: 0
; MemoryBound: 0
; FloatMode: 240
; IeeeMode: 1
; LDSByteSize: 0 bytes/workgroup (compile time only)
; SGPRBlocks: 0
; VGPRBlocks: 1
; NumSGPRsForWavesPerEU: 24
; NumVGPRsForWavesPerEU: 24
; NamedBarCnt: 0
; Occupancy: 16
; WaveLimiterHint : 1
; COMPUTE_PGM_RSRC2:SCRATCH_EN: 0
; COMPUTE_PGM_RSRC2:USER_SGPR: 2
; COMPUTE_PGM_RSRC2:TRAP_HANDLER: 0
; COMPUTE_PGM_RSRC2:TGID_X_EN: 1
; COMPUTE_PGM_RSRC2:TGID_Y_EN: 0
; COMPUTE_PGM_RSRC2:TGID_Z_EN: 0
; COMPUTE_PGM_RSRC2:TIDIG_COMP_CNT: 0
	.section	.text._ZN9rocsparseL21csrmvn_general_kernelILj256ELj16Eii21rocsparse_complex_numIfES2_S2_S2_EEvbT2_NS_24const_host_device_scalarIT6_EEPKT1_S9_PKS3_PKT3_PKT4_S6_PT5_21rocsparse_index_base_b,"axG",@progbits,_ZN9rocsparseL21csrmvn_general_kernelILj256ELj16Eii21rocsparse_complex_numIfES2_S2_S2_EEvbT2_NS_24const_host_device_scalarIT6_EEPKT1_S9_PKS3_PKT3_PKT4_S6_PT5_21rocsparse_index_base_b,comdat
	.globl	_ZN9rocsparseL21csrmvn_general_kernelILj256ELj16Eii21rocsparse_complex_numIfES2_S2_S2_EEvbT2_NS_24const_host_device_scalarIT6_EEPKT1_S9_PKS3_PKT3_PKT4_S6_PT5_21rocsparse_index_base_b ; -- Begin function _ZN9rocsparseL21csrmvn_general_kernelILj256ELj16Eii21rocsparse_complex_numIfES2_S2_S2_EEvbT2_NS_24const_host_device_scalarIT6_EEPKT1_S9_PKS3_PKT3_PKT4_S6_PT5_21rocsparse_index_base_b
	.p2align	8
	.type	_ZN9rocsparseL21csrmvn_general_kernelILj256ELj16Eii21rocsparse_complex_numIfES2_S2_S2_EEvbT2_NS_24const_host_device_scalarIT6_EEPKT1_S9_PKS3_PKT3_PKT4_S6_PT5_21rocsparse_index_base_b,@function
_ZN9rocsparseL21csrmvn_general_kernelILj256ELj16Eii21rocsparse_complex_numIfES2_S2_S2_EEvbT2_NS_24const_host_device_scalarIT6_EEPKT1_S9_PKS3_PKT3_PKT4_S6_PT5_21rocsparse_index_base_b: ; @_ZN9rocsparseL21csrmvn_general_kernelILj256ELj16Eii21rocsparse_complex_numIfES2_S2_S2_EEvbT2_NS_24const_host_device_scalarIT6_EEPKT1_S9_PKS3_PKT3_PKT4_S6_PT5_21rocsparse_index_base_b
; %bb.0:
	s_clause 0x2
	s_load_b64 s[16:17], s[0:1], 0x48
	s_load_b128 s[12:15], s[0:1], 0x8
	s_load_b64 s[2:3], s[0:1], 0x38
	v_mov_b32_e32 v1, 0
	s_add_nc_u64 s[4:5], s[0:1], 8
	s_add_nc_u64 s[6:7], s[0:1], 56
	s_wait_kmcnt 0x0
	s_bitcmp1_b32 s17, 0
	s_cselect_b32 s5, s5, s13
	s_cselect_b32 s4, s4, s12
	;; [unrolled: 1-line block ×4, first 2 shown]
	s_clause 0x1
	flat_load_b64 v[2:3], v1, s[4:5]
	flat_load_b64 v[4:5], v1, s[2:3]
	s_wait_loadcnt_dscnt 0x101
	v_cmp_neq_f32_e32 vcc_lo, 0, v2
	s_wait_xcnt 0x0
	v_cmp_neq_f32_e64 s2, 0, v3
	s_wait_loadcnt_dscnt 0x0
	v_cmp_neq_f32_e64 s3, 1.0, v4
	v_cmp_neq_f32_e64 s4, 0, v5
	s_or_b32 s2, vcc_lo, s2
	s_or_b32 s3, s3, s4
	s_delay_alu instid0(SALU_CYCLE_1) | instskip(NEXT) | instid1(SALU_CYCLE_1)
	s_or_b32 s2, s2, s3
	s_and_saveexec_b32 s3, s2
	s_cbranch_execz .LBB69_12
; %bb.1:
	s_bfe_u32 s4, ttmp6, 0x4000c
	s_load_b64 s[2:3], s[0:1], 0x0
	s_add_co_i32 s4, s4, 1
	s_and_b32 s5, ttmp6, 15
	s_mul_i32 s4, ttmp9, s4
	s_getreg_b32 s6, hwreg(HW_REG_IB_STS2, 6, 4)
	s_add_co_i32 s5, s5, s4
	s_cmp_eq_u32 s6, 0
	s_cselect_b32 s4, ttmp9, s5
	s_delay_alu instid0(SALU_CYCLE_1) | instskip(NEXT) | instid1(VALU_DEP_1)
	v_lshl_or_b32 v1, s4, 8, v0
	v_lshrrev_b32_e32 v6, 4, v1
	s_wait_kmcnt 0x0
	s_delay_alu instid0(VALU_DEP_1)
	v_cmp_gt_i32_e32 vcc_lo, s3, v6
	s_and_b32 exec_lo, exec_lo, vcc_lo
	s_cbranch_execz .LBB69_12
; %bb.2:
	v_mbcnt_lo_u32_b32 v1, -1, 0
	s_clause 0x2
	s_load_b32 s17, s[0:1], 0x50
	s_load_b64 s[12:13], s[0:1], 0x40
	s_load_b256 s[4:11], s[0:1], 0x18
	s_wait_xcnt 0x0
	v_cmp_neq_f32_e64 s0, 0, v4
	v_cmp_neq_f32_e64 s1, 0, v5
	v_xor_b32_e32 v11, 1, v1
	v_xor_b32_e32 v10, 2, v1
	;; [unrolled: 1-line block ×3, first 2 shown]
	s_delay_alu instid0(VALU_DEP_1) | instskip(SKIP_1) | instid1(VALU_DEP_1)
	v_cmp_gt_i32_e32 vcc_lo, 32, v8
	v_dual_cndmask_b32 v8, v1, v8, vcc_lo :: v_dual_bitop2_b32 v9, 4, v1 bitop3:0x14
	v_cmp_gt_i32_e32 vcc_lo, 32, v9
	v_and_b32_e32 v7, 15, v0
	v_xor_b32_e32 v0, 0x80000000, v3
	s_wait_kmcnt 0x0
	s_lshl_b32 s18, s17, 4
	v_dual_lshlrev_b32 v15, 2, v8 :: v_dual_cndmask_b32 v9, v1, v9, vcc_lo
	v_cmp_gt_i32_e32 vcc_lo, 32, v10
	s_bitcmp1_b32 s2, 0
	v_subrev_nc_u32_e32 v14, s16, v7
	s_cselect_b32 s2, -1, 0
	s_ashr_i32 s17, s16, 31
	v_cndmask_b32_e32 v10, v1, v10, vcc_lo
	v_cmp_gt_i32_e32 vcc_lo, 32, v11
	v_lshlrev_b32_e32 v16, 2, v9
	v_xor_b32_e32 v8, 0x80000000, v5
	s_lshl_b64 s[20:21], s[16:17], 3
	v_dual_lshlrev_b32 v17, 2, v10 :: v_dual_cndmask_b32 v1, v1, v11, vcc_lo
	v_mov_b32_e32 v9, v4
	s_sub_nc_u64 s[10:11], s[10:11], s[20:21]
	s_mov_b32 s17, 0
	s_or_b32 s1, s0, s1
	v_dual_mov_b32 v1, v2 :: v_dual_lshlrev_b32 v18, 2, v1
	v_cmp_eq_u32_e32 vcc_lo, 15, v7
	s_branch .LBB69_5
.LBB69_3:                               ;   in Loop: Header=BB69_5 Depth=1
	s_wait_xcnt 0x0
	s_or_b32 exec_lo, exec_lo, s19
	global_store_b64 v[10:11], v[12:13], off
.LBB69_4:                               ;   in Loop: Header=BB69_5 Depth=1
	s_wait_xcnt 0x0
	s_or_b32 exec_lo, exec_lo, s0
	v_add_nc_u32_e32 v6, s18, v6
	s_delay_alu instid0(VALU_DEP_1) | instskip(SKIP_1) | instid1(SALU_CYCLE_1)
	v_cmp_le_i32_e64 s0, s3, v6
	s_or_b32 s17, s0, s17
	s_and_not1_b32 exec_lo, exec_lo, s17
	s_cbranch_execz .LBB69_12
.LBB69_5:                               ; =>This Loop Header: Depth=1
                                        ;     Child Loop BB69_7 Depth 2
	s_clause 0x1
	global_load_b32 v7, v6, s[4:5] scale_offset
	global_load_b32 v10, v6, s[14:15] scale_offset
	s_mov_b32 s19, exec_lo
	v_mov_b32_e32 v11, 0
	s_wait_loadcnt 0x1
	v_subrev_nc_u32_e32 v7, s16, v7
	s_wait_loadcnt_dscnt 0x1
	s_delay_alu instid0(VALU_DEP_2) | instskip(SKIP_1) | instid1(VALU_DEP_1)
	v_dual_add_nc_u32 v12, v10, v14 :: v_dual_mov_b32 v10, v11
	s_wait_xcnt 0x0
	v_cmpx_lt_i32_e64 v12, v7
	s_cbranch_execz .LBB69_9
; %bb.6:                                ;   in Loop: Header=BB69_5 Depth=1
	v_mov_b32_e32 v10, 0
	s_mov_b32 s20, 0
	s_delay_alu instid0(VALU_DEP_1)
	v_mov_b32_e32 v11, v10
.LBB69_7:                               ;   Parent Loop BB69_5 Depth=1
                                        ; =>  This Inner Loop Header: Depth=2
	s_wait_dscnt 0x0
	s_clause 0x1
	global_load_b32 v13, v12, s[6:7] scale_offset
	global_load_b64 v[20:21], v12, s[8:9] scale_offset
	s_wait_xcnt 0x0
	v_add_nc_u32_e32 v12, 16, v12
	s_delay_alu instid0(VALU_DEP_1)
	v_cmp_ge_i32_e64 s0, v12, v7
	s_or_b32 s20, s0, s20
	s_wait_loadcnt 0x1
	global_load_b64 v[22:23], v13, s[10:11] scale_offset
	s_wait_loadcnt 0x1
	v_cndmask_b32_e64 v24, v21, -v21, s2
	s_delay_alu instid0(VALU_DEP_1) | instskip(NEXT) | instid1(VALU_DEP_1)
	v_pk_mul_f32 v[24:25], v[24:25], v[0:1] op_sel_hi:[0,1]
	v_pk_fma_f32 v[20:21], v[2:3], v[20:21], v[24:25] op_sel_hi:[1,0,1]
	s_wait_loadcnt 0x0
	s_delay_alu instid0(VALU_DEP_1) | instskip(NEXT) | instid1(VALU_DEP_1)
	v_pk_fma_f32 v[10:11], v[20:21], v[22:23], v[10:11] op_sel_hi:[1,0,1]
	v_pk_fma_f32 v[10:11], v[20:21], v[22:23], v[10:11] op_sel:[1,1,0] op_sel_hi:[0,1,1] neg_lo:[1,0,0]
	s_wait_xcnt 0x0
	s_and_not1_b32 exec_lo, exec_lo, s20
	s_cbranch_execnz .LBB69_7
; %bb.8:                                ;   in Loop: Header=BB69_5 Depth=1
	s_or_b32 exec_lo, exec_lo, s20
.LBB69_9:                               ;   in Loop: Header=BB69_5 Depth=1
	s_delay_alu instid0(SALU_CYCLE_1)
	s_or_b32 exec_lo, exec_lo, s19
	ds_bpermute_b32 v12, v15, v10
	s_wait_dscnt 0x1
	ds_bpermute_b32 v13, v15, v11
	v_ashrrev_i32_e32 v7, 31, v6
	s_wait_dscnt 0x0
	v_pk_add_f32 v[10:11], v[10:11], v[12:13]
	ds_bpermute_b32 v12, v16, v10
	ds_bpermute_b32 v13, v16, v11
	s_wait_dscnt 0x0
	v_pk_add_f32 v[10:11], v[10:11], v[12:13]
	ds_bpermute_b32 v12, v17, v10
	ds_bpermute_b32 v13, v17, v11
	;; [unrolled: 4-line block ×3, first 2 shown]
	s_and_saveexec_b32 s0, vcc_lo
	s_cbranch_execz .LBB69_4
; %bb.10:                               ;   in Loop: Header=BB69_5 Depth=1
	s_wait_dscnt 0x0
	v_pk_add_f32 v[12:13], v[10:11], v[12:13]
	v_lshl_add_u64 v[10:11], v[6:7], 3, s[12:13]
	s_and_saveexec_b32 s19, s1
	s_cbranch_execz .LBB69_3
; %bb.11:                               ;   in Loop: Header=BB69_5 Depth=1
	global_load_b64 v[20:21], v[10:11], off
	s_wait_loadcnt 0x0
	v_pk_fma_f32 v[12:13], v[4:5], v[20:21], v[12:13] op_sel_hi:[1,0,1]
	s_delay_alu instid0(VALU_DEP_1)
	v_pk_fma_f32 v[12:13], v[8:9], v[20:21], v[12:13] op_sel:[0,1,0]
	s_branch .LBB69_3
.LBB69_12:
	s_endpgm
	.section	.rodata,"a",@progbits
	.p2align	6, 0x0
	.amdhsa_kernel _ZN9rocsparseL21csrmvn_general_kernelILj256ELj16Eii21rocsparse_complex_numIfES2_S2_S2_EEvbT2_NS_24const_host_device_scalarIT6_EEPKT1_S9_PKS3_PKT3_PKT4_S6_PT5_21rocsparse_index_base_b
		.amdhsa_group_segment_fixed_size 0
		.amdhsa_private_segment_fixed_size 0
		.amdhsa_kernarg_size 336
		.amdhsa_user_sgpr_count 2
		.amdhsa_user_sgpr_dispatch_ptr 0
		.amdhsa_user_sgpr_queue_ptr 0
		.amdhsa_user_sgpr_kernarg_segment_ptr 1
		.amdhsa_user_sgpr_dispatch_id 0
		.amdhsa_user_sgpr_kernarg_preload_length 0
		.amdhsa_user_sgpr_kernarg_preload_offset 0
		.amdhsa_user_sgpr_private_segment_size 0
		.amdhsa_wavefront_size32 1
		.amdhsa_uses_dynamic_stack 0
		.amdhsa_enable_private_segment 0
		.amdhsa_system_sgpr_workgroup_id_x 1
		.amdhsa_system_sgpr_workgroup_id_y 0
		.amdhsa_system_sgpr_workgroup_id_z 0
		.amdhsa_system_sgpr_workgroup_info 0
		.amdhsa_system_vgpr_workitem_id 0
		.amdhsa_next_free_vgpr 26
		.amdhsa_next_free_sgpr 22
		.amdhsa_named_barrier_count 0
		.amdhsa_reserve_vcc 1
		.amdhsa_float_round_mode_32 0
		.amdhsa_float_round_mode_16_64 0
		.amdhsa_float_denorm_mode_32 3
		.amdhsa_float_denorm_mode_16_64 3
		.amdhsa_fp16_overflow 0
		.amdhsa_memory_ordered 1
		.amdhsa_forward_progress 1
		.amdhsa_inst_pref_size 8
		.amdhsa_round_robin_scheduling 0
		.amdhsa_exception_fp_ieee_invalid_op 0
		.amdhsa_exception_fp_denorm_src 0
		.amdhsa_exception_fp_ieee_div_zero 0
		.amdhsa_exception_fp_ieee_overflow 0
		.amdhsa_exception_fp_ieee_underflow 0
		.amdhsa_exception_fp_ieee_inexact 0
		.amdhsa_exception_int_div_zero 0
	.end_amdhsa_kernel
	.section	.text._ZN9rocsparseL21csrmvn_general_kernelILj256ELj16Eii21rocsparse_complex_numIfES2_S2_S2_EEvbT2_NS_24const_host_device_scalarIT6_EEPKT1_S9_PKS3_PKT3_PKT4_S6_PT5_21rocsparse_index_base_b,"axG",@progbits,_ZN9rocsparseL21csrmvn_general_kernelILj256ELj16Eii21rocsparse_complex_numIfES2_S2_S2_EEvbT2_NS_24const_host_device_scalarIT6_EEPKT1_S9_PKS3_PKT3_PKT4_S6_PT5_21rocsparse_index_base_b,comdat
.Lfunc_end69:
	.size	_ZN9rocsparseL21csrmvn_general_kernelILj256ELj16Eii21rocsparse_complex_numIfES2_S2_S2_EEvbT2_NS_24const_host_device_scalarIT6_EEPKT1_S9_PKS3_PKT3_PKT4_S6_PT5_21rocsparse_index_base_b, .Lfunc_end69-_ZN9rocsparseL21csrmvn_general_kernelILj256ELj16Eii21rocsparse_complex_numIfES2_S2_S2_EEvbT2_NS_24const_host_device_scalarIT6_EEPKT1_S9_PKS3_PKT3_PKT4_S6_PT5_21rocsparse_index_base_b
                                        ; -- End function
	.set _ZN9rocsparseL21csrmvn_general_kernelILj256ELj16Eii21rocsparse_complex_numIfES2_S2_S2_EEvbT2_NS_24const_host_device_scalarIT6_EEPKT1_S9_PKS3_PKT3_PKT4_S6_PT5_21rocsparse_index_base_b.num_vgpr, 26
	.set _ZN9rocsparseL21csrmvn_general_kernelILj256ELj16Eii21rocsparse_complex_numIfES2_S2_S2_EEvbT2_NS_24const_host_device_scalarIT6_EEPKT1_S9_PKS3_PKT3_PKT4_S6_PT5_21rocsparse_index_base_b.num_agpr, 0
	.set _ZN9rocsparseL21csrmvn_general_kernelILj256ELj16Eii21rocsparse_complex_numIfES2_S2_S2_EEvbT2_NS_24const_host_device_scalarIT6_EEPKT1_S9_PKS3_PKT3_PKT4_S6_PT5_21rocsparse_index_base_b.numbered_sgpr, 22
	.set _ZN9rocsparseL21csrmvn_general_kernelILj256ELj16Eii21rocsparse_complex_numIfES2_S2_S2_EEvbT2_NS_24const_host_device_scalarIT6_EEPKT1_S9_PKS3_PKT3_PKT4_S6_PT5_21rocsparse_index_base_b.num_named_barrier, 0
	.set _ZN9rocsparseL21csrmvn_general_kernelILj256ELj16Eii21rocsparse_complex_numIfES2_S2_S2_EEvbT2_NS_24const_host_device_scalarIT6_EEPKT1_S9_PKS3_PKT3_PKT4_S6_PT5_21rocsparse_index_base_b.private_seg_size, 0
	.set _ZN9rocsparseL21csrmvn_general_kernelILj256ELj16Eii21rocsparse_complex_numIfES2_S2_S2_EEvbT2_NS_24const_host_device_scalarIT6_EEPKT1_S9_PKS3_PKT3_PKT4_S6_PT5_21rocsparse_index_base_b.uses_vcc, 1
	.set _ZN9rocsparseL21csrmvn_general_kernelILj256ELj16Eii21rocsparse_complex_numIfES2_S2_S2_EEvbT2_NS_24const_host_device_scalarIT6_EEPKT1_S9_PKS3_PKT3_PKT4_S6_PT5_21rocsparse_index_base_b.uses_flat_scratch, 1
	.set _ZN9rocsparseL21csrmvn_general_kernelILj256ELj16Eii21rocsparse_complex_numIfES2_S2_S2_EEvbT2_NS_24const_host_device_scalarIT6_EEPKT1_S9_PKS3_PKT3_PKT4_S6_PT5_21rocsparse_index_base_b.has_dyn_sized_stack, 0
	.set _ZN9rocsparseL21csrmvn_general_kernelILj256ELj16Eii21rocsparse_complex_numIfES2_S2_S2_EEvbT2_NS_24const_host_device_scalarIT6_EEPKT1_S9_PKS3_PKT3_PKT4_S6_PT5_21rocsparse_index_base_b.has_recursion, 0
	.set _ZN9rocsparseL21csrmvn_general_kernelILj256ELj16Eii21rocsparse_complex_numIfES2_S2_S2_EEvbT2_NS_24const_host_device_scalarIT6_EEPKT1_S9_PKS3_PKT3_PKT4_S6_PT5_21rocsparse_index_base_b.has_indirect_call, 0
	.section	.AMDGPU.csdata,"",@progbits
; Kernel info:
; codeLenInByte = 940
; TotalNumSgprs: 24
; NumVgprs: 26
; ScratchSize: 0
; MemoryBound: 0
; FloatMode: 240
; IeeeMode: 1
; LDSByteSize: 0 bytes/workgroup (compile time only)
; SGPRBlocks: 0
; VGPRBlocks: 1
; NumSGPRsForWavesPerEU: 24
; NumVGPRsForWavesPerEU: 26
; NamedBarCnt: 0
; Occupancy: 16
; WaveLimiterHint : 1
; COMPUTE_PGM_RSRC2:SCRATCH_EN: 0
; COMPUTE_PGM_RSRC2:USER_SGPR: 2
; COMPUTE_PGM_RSRC2:TRAP_HANDLER: 0
; COMPUTE_PGM_RSRC2:TGID_X_EN: 1
; COMPUTE_PGM_RSRC2:TGID_Y_EN: 0
; COMPUTE_PGM_RSRC2:TGID_Z_EN: 0
; COMPUTE_PGM_RSRC2:TIDIG_COMP_CNT: 0
	.section	.text._ZN9rocsparseL21csrmvn_general_kernelILj256ELj32Eii21rocsparse_complex_numIfES2_S2_S2_EEvbT2_NS_24const_host_device_scalarIT6_EEPKT1_S9_PKS3_PKT3_PKT4_S6_PT5_21rocsparse_index_base_b,"axG",@progbits,_ZN9rocsparseL21csrmvn_general_kernelILj256ELj32Eii21rocsparse_complex_numIfES2_S2_S2_EEvbT2_NS_24const_host_device_scalarIT6_EEPKT1_S9_PKS3_PKT3_PKT4_S6_PT5_21rocsparse_index_base_b,comdat
	.globl	_ZN9rocsparseL21csrmvn_general_kernelILj256ELj32Eii21rocsparse_complex_numIfES2_S2_S2_EEvbT2_NS_24const_host_device_scalarIT6_EEPKT1_S9_PKS3_PKT3_PKT4_S6_PT5_21rocsparse_index_base_b ; -- Begin function _ZN9rocsparseL21csrmvn_general_kernelILj256ELj32Eii21rocsparse_complex_numIfES2_S2_S2_EEvbT2_NS_24const_host_device_scalarIT6_EEPKT1_S9_PKS3_PKT3_PKT4_S6_PT5_21rocsparse_index_base_b
	.p2align	8
	.type	_ZN9rocsparseL21csrmvn_general_kernelILj256ELj32Eii21rocsparse_complex_numIfES2_S2_S2_EEvbT2_NS_24const_host_device_scalarIT6_EEPKT1_S9_PKS3_PKT3_PKT4_S6_PT5_21rocsparse_index_base_b,@function
_ZN9rocsparseL21csrmvn_general_kernelILj256ELj32Eii21rocsparse_complex_numIfES2_S2_S2_EEvbT2_NS_24const_host_device_scalarIT6_EEPKT1_S9_PKS3_PKT3_PKT4_S6_PT5_21rocsparse_index_base_b: ; @_ZN9rocsparseL21csrmvn_general_kernelILj256ELj32Eii21rocsparse_complex_numIfES2_S2_S2_EEvbT2_NS_24const_host_device_scalarIT6_EEPKT1_S9_PKS3_PKT3_PKT4_S6_PT5_21rocsparse_index_base_b
; %bb.0:
	s_clause 0x2
	s_load_b64 s[16:17], s[0:1], 0x48
	s_load_b128 s[12:15], s[0:1], 0x8
	s_load_b64 s[2:3], s[0:1], 0x38
	v_mov_b32_e32 v1, 0
	s_add_nc_u64 s[4:5], s[0:1], 8
	s_add_nc_u64 s[6:7], s[0:1], 56
	s_wait_kmcnt 0x0
	s_bitcmp1_b32 s17, 0
	s_cselect_b32 s5, s5, s13
	s_cselect_b32 s4, s4, s12
	;; [unrolled: 1-line block ×4, first 2 shown]
	s_clause 0x1
	flat_load_b64 v[2:3], v1, s[4:5]
	flat_load_b64 v[4:5], v1, s[2:3]
	s_wait_loadcnt_dscnt 0x101
	v_cmp_neq_f32_e32 vcc_lo, 0, v2
	s_wait_xcnt 0x0
	v_cmp_neq_f32_e64 s2, 0, v3
	s_wait_loadcnt_dscnt 0x0
	v_cmp_neq_f32_e64 s3, 1.0, v4
	v_cmp_neq_f32_e64 s4, 0, v5
	s_or_b32 s2, vcc_lo, s2
	s_or_b32 s3, s3, s4
	s_delay_alu instid0(SALU_CYCLE_1) | instskip(NEXT) | instid1(SALU_CYCLE_1)
	s_or_b32 s2, s2, s3
	s_and_saveexec_b32 s3, s2
	s_cbranch_execz .LBB70_12
; %bb.1:
	s_bfe_u32 s4, ttmp6, 0x4000c
	s_load_b64 s[2:3], s[0:1], 0x0
	s_add_co_i32 s4, s4, 1
	s_and_b32 s5, ttmp6, 15
	s_mul_i32 s4, ttmp9, s4
	s_getreg_b32 s6, hwreg(HW_REG_IB_STS2, 6, 4)
	s_add_co_i32 s5, s5, s4
	s_cmp_eq_u32 s6, 0
	s_cselect_b32 s4, ttmp9, s5
	s_delay_alu instid0(SALU_CYCLE_1) | instskip(NEXT) | instid1(VALU_DEP_1)
	v_lshl_or_b32 v1, s4, 8, v0
	v_lshrrev_b32_e32 v6, 5, v1
	s_wait_kmcnt 0x0
	s_delay_alu instid0(VALU_DEP_1)
	v_cmp_gt_i32_e32 vcc_lo, s3, v6
	s_and_b32 exec_lo, exec_lo, vcc_lo
	s_cbranch_execz .LBB70_12
; %bb.2:
	v_mbcnt_lo_u32_b32 v7, -1, 0
	s_clause 0x2
	s_load_b32 s17, s[0:1], 0x50
	s_load_b64 s[12:13], s[0:1], 0x40
	s_load_b256 s[4:11], s[0:1], 0x18
	s_wait_xcnt 0x0
	v_cmp_neq_f32_e64 s0, 0, v4
	v_cmp_neq_f32_e64 s1, 0, v5
	v_xor_b32_e32 v12, 1, v7
	v_xor_b32_e32 v10, 4, v7
	v_xor_b32_e32 v8, 16, v7
	s_delay_alu instid0(VALU_DEP_1) | instskip(SKIP_1) | instid1(VALU_DEP_1)
	v_cmp_gt_i32_e32 vcc_lo, 32, v8
	v_dual_cndmask_b32 v8, v7, v8, vcc_lo :: v_dual_bitop2_b32 v9, 8, v7 bitop3:0x14
	v_cmp_gt_i32_e32 vcc_lo, 32, v9
	v_and_b32_e32 v1, 31, v0
	v_xor_b32_e32 v11, 2, v7
	s_wait_kmcnt 0x0
	s_lshl_b32 s18, s17, 3
	v_dual_lshlrev_b32 v15, 2, v8 :: v_dual_cndmask_b32 v9, v7, v9, vcc_lo
	v_cmp_gt_i32_e32 vcc_lo, 32, v10
	s_bitcmp1_b32 s2, 0
	v_xor_b32_e32 v0, 0x80000000, v3
	s_cselect_b32 s2, -1, 0
	v_dual_lshlrev_b32 v16, 2, v9 :: v_dual_cndmask_b32 v10, v7, v10, vcc_lo
	v_cmp_gt_i32_e32 vcc_lo, 32, v11
	s_ashr_i32 s17, s16, 31
	v_subrev_nc_u32_e32 v14, s16, v1
	v_xor_b32_e32 v8, 0x80000000, v5
	v_dual_lshlrev_b32 v17, 2, v10 :: v_dual_cndmask_b32 v11, v7, v11, vcc_lo
	v_cmp_gt_i32_e32 vcc_lo, 32, v12
	v_mov_b32_e32 v9, v4
	s_lshl_b64 s[20:21], s[16:17], 3
	s_mov_b32 s17, 0
	v_dual_cndmask_b32 v7, v7, v12 :: v_dual_lshlrev_b32 v18, 2, v11
	v_cmp_eq_u32_e32 vcc_lo, 31, v1
	v_mov_b32_e32 v1, v2
	s_sub_nc_u64 s[10:11], s[10:11], s[20:21]
	s_or_b32 s1, s0, s1
	v_lshlrev_b32_e32 v19, 2, v7
	s_branch .LBB70_5
.LBB70_3:                               ;   in Loop: Header=BB70_5 Depth=1
	s_wait_xcnt 0x0
	s_or_b32 exec_lo, exec_lo, s19
	global_store_b64 v[10:11], v[12:13], off
.LBB70_4:                               ;   in Loop: Header=BB70_5 Depth=1
	s_wait_xcnt 0x0
	s_or_b32 exec_lo, exec_lo, s0
	v_add_nc_u32_e32 v6, s18, v6
	s_delay_alu instid0(VALU_DEP_1) | instskip(SKIP_1) | instid1(SALU_CYCLE_1)
	v_cmp_le_i32_e64 s0, s3, v6
	s_or_b32 s17, s0, s17
	s_and_not1_b32 exec_lo, exec_lo, s17
	s_cbranch_execz .LBB70_12
.LBB70_5:                               ; =>This Loop Header: Depth=1
                                        ;     Child Loop BB70_7 Depth 2
	s_clause 0x1
	global_load_b32 v7, v6, s[4:5] scale_offset
	global_load_b32 v10, v6, s[14:15] scale_offset
	s_mov_b32 s19, exec_lo
	v_mov_b32_e32 v11, 0
	s_wait_loadcnt 0x1
	v_subrev_nc_u32_e32 v7, s16, v7
	s_wait_loadcnt_dscnt 0x1
	s_delay_alu instid0(VALU_DEP_2) | instskip(SKIP_1) | instid1(VALU_DEP_1)
	v_dual_add_nc_u32 v12, v10, v14 :: v_dual_mov_b32 v10, v11
	s_wait_xcnt 0x0
	v_cmpx_lt_i32_e64 v12, v7
	s_cbranch_execz .LBB70_9
; %bb.6:                                ;   in Loop: Header=BB70_5 Depth=1
	v_mov_b32_e32 v11, 0
	s_mov_b32 s20, 0
	s_delay_alu instid0(VALU_DEP_1)
	v_mov_b32_e32 v10, v11
.LBB70_7:                               ;   Parent Loop BB70_5 Depth=1
                                        ; =>  This Inner Loop Header: Depth=2
	s_wait_dscnt 0x0
	s_clause 0x1
	global_load_b32 v13, v12, s[6:7] scale_offset
	global_load_b64 v[20:21], v12, s[8:9] scale_offset
	s_wait_xcnt 0x0
	v_add_nc_u32_e32 v12, 32, v12
	s_delay_alu instid0(VALU_DEP_1)
	v_cmp_ge_i32_e64 s0, v12, v7
	s_or_b32 s20, s0, s20
	s_wait_loadcnt 0x1
	global_load_b64 v[22:23], v13, s[10:11] scale_offset
	s_wait_loadcnt 0x1
	v_cndmask_b32_e64 v24, v21, -v21, s2
	s_delay_alu instid0(VALU_DEP_1) | instskip(NEXT) | instid1(VALU_DEP_1)
	v_pk_mul_f32 v[24:25], v[24:25], v[0:1] op_sel_hi:[0,1]
	v_pk_fma_f32 v[20:21], v[2:3], v[20:21], v[24:25] op_sel_hi:[1,0,1]
	s_wait_loadcnt 0x0
	s_delay_alu instid0(VALU_DEP_1) | instskip(NEXT) | instid1(VALU_DEP_1)
	v_pk_fma_f32 v[10:11], v[20:21], v[22:23], v[10:11] op_sel_hi:[1,0,1]
	v_pk_fma_f32 v[10:11], v[20:21], v[22:23], v[10:11] op_sel:[1,1,0] op_sel_hi:[0,1,1] neg_lo:[1,0,0]
	s_wait_xcnt 0x0
	s_and_not1_b32 exec_lo, exec_lo, s20
	s_cbranch_execnz .LBB70_7
; %bb.8:                                ;   in Loop: Header=BB70_5 Depth=1
	s_or_b32 exec_lo, exec_lo, s20
.LBB70_9:                               ;   in Loop: Header=BB70_5 Depth=1
	s_delay_alu instid0(SALU_CYCLE_1)
	s_or_b32 exec_lo, exec_lo, s19
	ds_bpermute_b32 v12, v15, v10
	s_wait_dscnt 0x1
	ds_bpermute_b32 v13, v15, v11
	v_ashrrev_i32_e32 v7, 31, v6
	s_wait_dscnt 0x0
	v_pk_add_f32 v[10:11], v[10:11], v[12:13]
	ds_bpermute_b32 v12, v16, v10
	ds_bpermute_b32 v13, v16, v11
	s_wait_dscnt 0x0
	v_pk_add_f32 v[10:11], v[10:11], v[12:13]
	ds_bpermute_b32 v12, v17, v10
	ds_bpermute_b32 v13, v17, v11
	;; [unrolled: 4-line block ×4, first 2 shown]
	s_and_saveexec_b32 s0, vcc_lo
	s_cbranch_execz .LBB70_4
; %bb.10:                               ;   in Loop: Header=BB70_5 Depth=1
	s_wait_dscnt 0x0
	v_pk_add_f32 v[12:13], v[10:11], v[12:13]
	v_lshl_add_u64 v[10:11], v[6:7], 3, s[12:13]
	s_and_saveexec_b32 s19, s1
	s_cbranch_execz .LBB70_3
; %bb.11:                               ;   in Loop: Header=BB70_5 Depth=1
	global_load_b64 v[20:21], v[10:11], off
	s_wait_loadcnt 0x0
	v_pk_fma_f32 v[12:13], v[4:5], v[20:21], v[12:13] op_sel_hi:[1,0,1]
	s_delay_alu instid0(VALU_DEP_1)
	v_pk_fma_f32 v[12:13], v[8:9], v[20:21], v[12:13] op_sel:[0,1,0]
	s_branch .LBB70_3
.LBB70_12:
	s_endpgm
	.section	.rodata,"a",@progbits
	.p2align	6, 0x0
	.amdhsa_kernel _ZN9rocsparseL21csrmvn_general_kernelILj256ELj32Eii21rocsparse_complex_numIfES2_S2_S2_EEvbT2_NS_24const_host_device_scalarIT6_EEPKT1_S9_PKS3_PKT3_PKT4_S6_PT5_21rocsparse_index_base_b
		.amdhsa_group_segment_fixed_size 0
		.amdhsa_private_segment_fixed_size 0
		.amdhsa_kernarg_size 336
		.amdhsa_user_sgpr_count 2
		.amdhsa_user_sgpr_dispatch_ptr 0
		.amdhsa_user_sgpr_queue_ptr 0
		.amdhsa_user_sgpr_kernarg_segment_ptr 1
		.amdhsa_user_sgpr_dispatch_id 0
		.amdhsa_user_sgpr_kernarg_preload_length 0
		.amdhsa_user_sgpr_kernarg_preload_offset 0
		.amdhsa_user_sgpr_private_segment_size 0
		.amdhsa_wavefront_size32 1
		.amdhsa_uses_dynamic_stack 0
		.amdhsa_enable_private_segment 0
		.amdhsa_system_sgpr_workgroup_id_x 1
		.amdhsa_system_sgpr_workgroup_id_y 0
		.amdhsa_system_sgpr_workgroup_id_z 0
		.amdhsa_system_sgpr_workgroup_info 0
		.amdhsa_system_vgpr_workitem_id 0
		.amdhsa_next_free_vgpr 26
		.amdhsa_next_free_sgpr 22
		.amdhsa_named_barrier_count 0
		.amdhsa_reserve_vcc 1
		.amdhsa_float_round_mode_32 0
		.amdhsa_float_round_mode_16_64 0
		.amdhsa_float_denorm_mode_32 3
		.amdhsa_float_denorm_mode_16_64 3
		.amdhsa_fp16_overflow 0
		.amdhsa_memory_ordered 1
		.amdhsa_forward_progress 1
		.amdhsa_inst_pref_size 8
		.amdhsa_round_robin_scheduling 0
		.amdhsa_exception_fp_ieee_invalid_op 0
		.amdhsa_exception_fp_denorm_src 0
		.amdhsa_exception_fp_ieee_div_zero 0
		.amdhsa_exception_fp_ieee_overflow 0
		.amdhsa_exception_fp_ieee_underflow 0
		.amdhsa_exception_fp_ieee_inexact 0
		.amdhsa_exception_int_div_zero 0
	.end_amdhsa_kernel
	.section	.text._ZN9rocsparseL21csrmvn_general_kernelILj256ELj32Eii21rocsparse_complex_numIfES2_S2_S2_EEvbT2_NS_24const_host_device_scalarIT6_EEPKT1_S9_PKS3_PKT3_PKT4_S6_PT5_21rocsparse_index_base_b,"axG",@progbits,_ZN9rocsparseL21csrmvn_general_kernelILj256ELj32Eii21rocsparse_complex_numIfES2_S2_S2_EEvbT2_NS_24const_host_device_scalarIT6_EEPKT1_S9_PKS3_PKT3_PKT4_S6_PT5_21rocsparse_index_base_b,comdat
.Lfunc_end70:
	.size	_ZN9rocsparseL21csrmvn_general_kernelILj256ELj32Eii21rocsparse_complex_numIfES2_S2_S2_EEvbT2_NS_24const_host_device_scalarIT6_EEPKT1_S9_PKS3_PKT3_PKT4_S6_PT5_21rocsparse_index_base_b, .Lfunc_end70-_ZN9rocsparseL21csrmvn_general_kernelILj256ELj32Eii21rocsparse_complex_numIfES2_S2_S2_EEvbT2_NS_24const_host_device_scalarIT6_EEPKT1_S9_PKS3_PKT3_PKT4_S6_PT5_21rocsparse_index_base_b
                                        ; -- End function
	.set _ZN9rocsparseL21csrmvn_general_kernelILj256ELj32Eii21rocsparse_complex_numIfES2_S2_S2_EEvbT2_NS_24const_host_device_scalarIT6_EEPKT1_S9_PKS3_PKT3_PKT4_S6_PT5_21rocsparse_index_base_b.num_vgpr, 26
	.set _ZN9rocsparseL21csrmvn_general_kernelILj256ELj32Eii21rocsparse_complex_numIfES2_S2_S2_EEvbT2_NS_24const_host_device_scalarIT6_EEPKT1_S9_PKS3_PKT3_PKT4_S6_PT5_21rocsparse_index_base_b.num_agpr, 0
	.set _ZN9rocsparseL21csrmvn_general_kernelILj256ELj32Eii21rocsparse_complex_numIfES2_S2_S2_EEvbT2_NS_24const_host_device_scalarIT6_EEPKT1_S9_PKS3_PKT3_PKT4_S6_PT5_21rocsparse_index_base_b.numbered_sgpr, 22
	.set _ZN9rocsparseL21csrmvn_general_kernelILj256ELj32Eii21rocsparse_complex_numIfES2_S2_S2_EEvbT2_NS_24const_host_device_scalarIT6_EEPKT1_S9_PKS3_PKT3_PKT4_S6_PT5_21rocsparse_index_base_b.num_named_barrier, 0
	.set _ZN9rocsparseL21csrmvn_general_kernelILj256ELj32Eii21rocsparse_complex_numIfES2_S2_S2_EEvbT2_NS_24const_host_device_scalarIT6_EEPKT1_S9_PKS3_PKT3_PKT4_S6_PT5_21rocsparse_index_base_b.private_seg_size, 0
	.set _ZN9rocsparseL21csrmvn_general_kernelILj256ELj32Eii21rocsparse_complex_numIfES2_S2_S2_EEvbT2_NS_24const_host_device_scalarIT6_EEPKT1_S9_PKS3_PKT3_PKT4_S6_PT5_21rocsparse_index_base_b.uses_vcc, 1
	.set _ZN9rocsparseL21csrmvn_general_kernelILj256ELj32Eii21rocsparse_complex_numIfES2_S2_S2_EEvbT2_NS_24const_host_device_scalarIT6_EEPKT1_S9_PKS3_PKT3_PKT4_S6_PT5_21rocsparse_index_base_b.uses_flat_scratch, 1
	.set _ZN9rocsparseL21csrmvn_general_kernelILj256ELj32Eii21rocsparse_complex_numIfES2_S2_S2_EEvbT2_NS_24const_host_device_scalarIT6_EEPKT1_S9_PKS3_PKT3_PKT4_S6_PT5_21rocsparse_index_base_b.has_dyn_sized_stack, 0
	.set _ZN9rocsparseL21csrmvn_general_kernelILj256ELj32Eii21rocsparse_complex_numIfES2_S2_S2_EEvbT2_NS_24const_host_device_scalarIT6_EEPKT1_S9_PKS3_PKT3_PKT4_S6_PT5_21rocsparse_index_base_b.has_recursion, 0
	.set _ZN9rocsparseL21csrmvn_general_kernelILj256ELj32Eii21rocsparse_complex_numIfES2_S2_S2_EEvbT2_NS_24const_host_device_scalarIT6_EEPKT1_S9_PKS3_PKT3_PKT4_S6_PT5_21rocsparse_index_base_b.has_indirect_call, 0
	.section	.AMDGPU.csdata,"",@progbits
; Kernel info:
; codeLenInByte = 988
; TotalNumSgprs: 24
; NumVgprs: 26
; ScratchSize: 0
; MemoryBound: 0
; FloatMode: 240
; IeeeMode: 1
; LDSByteSize: 0 bytes/workgroup (compile time only)
; SGPRBlocks: 0
; VGPRBlocks: 1
; NumSGPRsForWavesPerEU: 24
; NumVGPRsForWavesPerEU: 26
; NamedBarCnt: 0
; Occupancy: 16
; WaveLimiterHint : 1
; COMPUTE_PGM_RSRC2:SCRATCH_EN: 0
; COMPUTE_PGM_RSRC2:USER_SGPR: 2
; COMPUTE_PGM_RSRC2:TRAP_HANDLER: 0
; COMPUTE_PGM_RSRC2:TGID_X_EN: 1
; COMPUTE_PGM_RSRC2:TGID_Y_EN: 0
; COMPUTE_PGM_RSRC2:TGID_Z_EN: 0
; COMPUTE_PGM_RSRC2:TIDIG_COMP_CNT: 0
	.section	.text._ZN9rocsparseL21csrmvn_general_kernelILj256ELj64Eii21rocsparse_complex_numIfES2_S2_S2_EEvbT2_NS_24const_host_device_scalarIT6_EEPKT1_S9_PKS3_PKT3_PKT4_S6_PT5_21rocsparse_index_base_b,"axG",@progbits,_ZN9rocsparseL21csrmvn_general_kernelILj256ELj64Eii21rocsparse_complex_numIfES2_S2_S2_EEvbT2_NS_24const_host_device_scalarIT6_EEPKT1_S9_PKS3_PKT3_PKT4_S6_PT5_21rocsparse_index_base_b,comdat
	.globl	_ZN9rocsparseL21csrmvn_general_kernelILj256ELj64Eii21rocsparse_complex_numIfES2_S2_S2_EEvbT2_NS_24const_host_device_scalarIT6_EEPKT1_S9_PKS3_PKT3_PKT4_S6_PT5_21rocsparse_index_base_b ; -- Begin function _ZN9rocsparseL21csrmvn_general_kernelILj256ELj64Eii21rocsparse_complex_numIfES2_S2_S2_EEvbT2_NS_24const_host_device_scalarIT6_EEPKT1_S9_PKS3_PKT3_PKT4_S6_PT5_21rocsparse_index_base_b
	.p2align	8
	.type	_ZN9rocsparseL21csrmvn_general_kernelILj256ELj64Eii21rocsparse_complex_numIfES2_S2_S2_EEvbT2_NS_24const_host_device_scalarIT6_EEPKT1_S9_PKS3_PKT3_PKT4_S6_PT5_21rocsparse_index_base_b,@function
_ZN9rocsparseL21csrmvn_general_kernelILj256ELj64Eii21rocsparse_complex_numIfES2_S2_S2_EEvbT2_NS_24const_host_device_scalarIT6_EEPKT1_S9_PKS3_PKT3_PKT4_S6_PT5_21rocsparse_index_base_b: ; @_ZN9rocsparseL21csrmvn_general_kernelILj256ELj64Eii21rocsparse_complex_numIfES2_S2_S2_EEvbT2_NS_24const_host_device_scalarIT6_EEPKT1_S9_PKS3_PKT3_PKT4_S6_PT5_21rocsparse_index_base_b
; %bb.0:
	s_clause 0x2
	s_load_b64 s[16:17], s[0:1], 0x48
	s_load_b128 s[12:15], s[0:1], 0x8
	s_load_b64 s[2:3], s[0:1], 0x38
	v_mov_b32_e32 v1, 0
	s_add_nc_u64 s[4:5], s[0:1], 8
	s_add_nc_u64 s[6:7], s[0:1], 56
	s_wait_kmcnt 0x0
	s_bitcmp1_b32 s17, 0
	s_cselect_b32 s5, s5, s13
	s_cselect_b32 s4, s4, s12
	;; [unrolled: 1-line block ×4, first 2 shown]
	s_clause 0x1
	flat_load_b64 v[2:3], v1, s[4:5]
	flat_load_b64 v[4:5], v1, s[2:3]
	s_wait_loadcnt_dscnt 0x101
	v_cmp_neq_f32_e32 vcc_lo, 0, v2
	s_wait_xcnt 0x0
	v_cmp_neq_f32_e64 s2, 0, v3
	s_wait_loadcnt_dscnt 0x0
	v_cmp_neq_f32_e64 s3, 1.0, v4
	v_cmp_neq_f32_e64 s4, 0, v5
	s_or_b32 s2, vcc_lo, s2
	s_or_b32 s3, s3, s4
	s_delay_alu instid0(SALU_CYCLE_1) | instskip(NEXT) | instid1(SALU_CYCLE_1)
	s_or_b32 s2, s2, s3
	s_and_saveexec_b32 s3, s2
	s_cbranch_execz .LBB71_12
; %bb.1:
	s_bfe_u32 s4, ttmp6, 0x4000c
	s_load_b64 s[2:3], s[0:1], 0x0
	s_add_co_i32 s4, s4, 1
	s_and_b32 s5, ttmp6, 15
	s_mul_i32 s4, ttmp9, s4
	s_getreg_b32 s6, hwreg(HW_REG_IB_STS2, 6, 4)
	s_add_co_i32 s5, s5, s4
	s_cmp_eq_u32 s6, 0
	s_cselect_b32 s4, ttmp9, s5
	s_delay_alu instid0(SALU_CYCLE_1) | instskip(NEXT) | instid1(VALU_DEP_1)
	v_lshl_or_b32 v1, s4, 8, v0
	v_lshrrev_b32_e32 v6, 6, v1
	s_wait_kmcnt 0x0
	s_delay_alu instid0(VALU_DEP_1)
	v_cmp_gt_i32_e32 vcc_lo, s3, v6
	s_and_b32 exec_lo, exec_lo, vcc_lo
	s_cbranch_execz .LBB71_12
; %bb.2:
	v_mbcnt_lo_u32_b32 v7, -1, 0
	s_clause 0x2
	s_load_b32 s17, s[0:1], 0x50
	s_load_b64 s[12:13], s[0:1], 0x40
	s_load_b256 s[4:11], s[0:1], 0x18
	s_wait_xcnt 0x0
	v_cmp_neq_f32_e64 s0, 0, v4
	v_cmp_neq_f32_e64 s1, 0, v5
	v_xor_b32_e32 v10, 8, v7
	v_or_b32_e32 v8, 32, v7
	s_delay_alu instid0(VALU_DEP_1) | instskip(SKIP_1) | instid1(VALU_DEP_1)
	v_cmp_gt_i32_e32 vcc_lo, 32, v8
	v_dual_cndmask_b32 v8, v7, v8, vcc_lo :: v_dual_bitop2_b32 v9, 16, v7 bitop3:0x14
	v_cmp_gt_i32_e32 vcc_lo, 32, v9
	v_and_b32_e32 v1, 63, v0
	v_xor_b32_e32 v0, 0x80000000, v3
	s_delay_alu instid0(VALU_DEP_4)
	v_dual_lshlrev_b32 v15, 2, v8 :: v_dual_cndmask_b32 v9, v7, v9, vcc_lo
	v_xor_b32_e32 v12, 2, v7
	v_cmp_gt_i32_e32 vcc_lo, 32, v10
	s_wait_kmcnt 0x0
	s_lshl_b32 s18, s17, 2
	s_bitcmp1_b32 s2, 0
	v_dual_lshlrev_b32 v16, 2, v9 :: v_dual_bitop2_b32 v13, 1, v7 bitop3:0x14
	v_dual_cndmask_b32 v10, v7, v10, vcc_lo :: v_dual_bitop2_b32 v11, 4, v7 bitop3:0x14
	s_cselect_b32 s2, -1, 0
	s_ashr_i32 s17, s16, 31
	v_subrev_nc_u32_e32 v14, s16, v1
	s_delay_alu instid0(VALU_DEP_2)
	v_cmp_gt_i32_e32 vcc_lo, 32, v11
	v_lshlrev_b32_e32 v17, 2, v10
	s_lshl_b64 s[20:21], s[16:17], 3
	s_mov_b32 s17, 0
	s_sub_nc_u64 s[10:11], s[10:11], s[20:21]
	v_cndmask_b32_e32 v8, v7, v11, vcc_lo
	v_cmp_gt_i32_e32 vcc_lo, 32, v12
	s_or_b32 s1, s0, s1
	v_dual_mov_b32 v9, v4 :: v_dual_cndmask_b32 v11, v7, v12, vcc_lo
	v_cmp_gt_i32_e32 vcc_lo, 32, v13
	v_lshlrev_b32_e32 v18, 2, v8
	v_xor_b32_e32 v8, 0x80000000, v5
	s_delay_alu instid0(VALU_DEP_4) | instskip(SKIP_1) | instid1(VALU_DEP_2)
	v_dual_lshlrev_b32 v19, 2, v11 :: v_dual_cndmask_b32 v7, v7, v13, vcc_lo
	v_cmp_eq_u32_e32 vcc_lo, 63, v1
	v_dual_mov_b32 v1, v2 :: v_dual_lshlrev_b32 v20, 2, v7
	s_branch .LBB71_5
.LBB71_3:                               ;   in Loop: Header=BB71_5 Depth=1
	s_wait_xcnt 0x0
	s_or_b32 exec_lo, exec_lo, s19
	global_store_b64 v[10:11], v[12:13], off
.LBB71_4:                               ;   in Loop: Header=BB71_5 Depth=1
	s_wait_xcnt 0x0
	s_or_b32 exec_lo, exec_lo, s0
	v_add_nc_u32_e32 v6, s18, v6
	s_delay_alu instid0(VALU_DEP_1) | instskip(SKIP_1) | instid1(SALU_CYCLE_1)
	v_cmp_le_i32_e64 s0, s3, v6
	s_or_b32 s17, s0, s17
	s_and_not1_b32 exec_lo, exec_lo, s17
	s_cbranch_execz .LBB71_12
.LBB71_5:                               ; =>This Loop Header: Depth=1
                                        ;     Child Loop BB71_7 Depth 2
	s_clause 0x1
	global_load_b32 v7, v6, s[4:5] scale_offset
	global_load_b32 v10, v6, s[14:15] scale_offset
	s_mov_b32 s19, exec_lo
	v_mov_b32_e32 v11, 0
	s_wait_loadcnt 0x1
	v_subrev_nc_u32_e32 v7, s16, v7
	s_wait_loadcnt_dscnt 0x1
	s_delay_alu instid0(VALU_DEP_2) | instskip(SKIP_1) | instid1(VALU_DEP_1)
	v_dual_add_nc_u32 v12, v10, v14 :: v_dual_mov_b32 v10, v11
	s_wait_xcnt 0x0
	v_cmpx_lt_i32_e64 v12, v7
	s_cbranch_execz .LBB71_9
; %bb.6:                                ;   in Loop: Header=BB71_5 Depth=1
	v_mov_b32_e32 v10, 0
	s_mov_b32 s20, 0
	s_delay_alu instid0(VALU_DEP_1)
	v_mov_b32_e32 v11, v10
.LBB71_7:                               ;   Parent Loop BB71_5 Depth=1
                                        ; =>  This Inner Loop Header: Depth=2
	s_wait_dscnt 0x0
	s_clause 0x1
	global_load_b32 v13, v12, s[6:7] scale_offset
	global_load_b64 v[22:23], v12, s[8:9] scale_offset
	s_wait_xcnt 0x0
	v_add_nc_u32_e32 v12, 64, v12
	s_delay_alu instid0(VALU_DEP_1)
	v_cmp_ge_i32_e64 s0, v12, v7
	s_or_b32 s20, s0, s20
	s_wait_loadcnt 0x1
	global_load_b64 v[24:25], v13, s[10:11] scale_offset
	s_wait_loadcnt 0x1
	v_cndmask_b32_e64 v26, v23, -v23, s2
	s_delay_alu instid0(VALU_DEP_1) | instskip(NEXT) | instid1(VALU_DEP_1)
	v_pk_mul_f32 v[26:27], v[26:27], v[0:1] op_sel_hi:[0,1]
	v_pk_fma_f32 v[22:23], v[2:3], v[22:23], v[26:27] op_sel_hi:[1,0,1]
	s_wait_loadcnt 0x0
	s_delay_alu instid0(VALU_DEP_1) | instskip(NEXT) | instid1(VALU_DEP_1)
	v_pk_fma_f32 v[10:11], v[22:23], v[24:25], v[10:11] op_sel_hi:[1,0,1]
	v_pk_fma_f32 v[10:11], v[22:23], v[24:25], v[10:11] op_sel:[1,1,0] op_sel_hi:[0,1,1] neg_lo:[1,0,0]
	s_wait_xcnt 0x0
	s_and_not1_b32 exec_lo, exec_lo, s20
	s_cbranch_execnz .LBB71_7
; %bb.8:                                ;   in Loop: Header=BB71_5 Depth=1
	s_or_b32 exec_lo, exec_lo, s20
.LBB71_9:                               ;   in Loop: Header=BB71_5 Depth=1
	s_delay_alu instid0(SALU_CYCLE_1)
	s_or_b32 exec_lo, exec_lo, s19
	ds_bpermute_b32 v12, v15, v10
	s_wait_dscnt 0x1
	ds_bpermute_b32 v13, v15, v11
	v_ashrrev_i32_e32 v7, 31, v6
	s_wait_dscnt 0x0
	v_pk_add_f32 v[10:11], v[10:11], v[12:13]
	ds_bpermute_b32 v12, v16, v10
	ds_bpermute_b32 v13, v16, v11
	s_wait_dscnt 0x0
	v_pk_add_f32 v[10:11], v[10:11], v[12:13]
	ds_bpermute_b32 v12, v17, v10
	ds_bpermute_b32 v13, v17, v11
	;; [unrolled: 4-line block ×5, first 2 shown]
	s_and_saveexec_b32 s0, vcc_lo
	s_cbranch_execz .LBB71_4
; %bb.10:                               ;   in Loop: Header=BB71_5 Depth=1
	s_wait_dscnt 0x0
	v_pk_add_f32 v[12:13], v[10:11], v[12:13]
	v_lshl_add_u64 v[10:11], v[6:7], 3, s[12:13]
	s_and_saveexec_b32 s19, s1
	s_cbranch_execz .LBB71_3
; %bb.11:                               ;   in Loop: Header=BB71_5 Depth=1
	global_load_b64 v[22:23], v[10:11], off
	s_wait_loadcnt 0x0
	v_pk_fma_f32 v[12:13], v[4:5], v[22:23], v[12:13] op_sel_hi:[1,0,1]
	s_delay_alu instid0(VALU_DEP_1)
	v_pk_fma_f32 v[12:13], v[8:9], v[22:23], v[12:13] op_sel:[0,1,0]
	s_branch .LBB71_3
.LBB71_12:
	s_endpgm
	.section	.rodata,"a",@progbits
	.p2align	6, 0x0
	.amdhsa_kernel _ZN9rocsparseL21csrmvn_general_kernelILj256ELj64Eii21rocsparse_complex_numIfES2_S2_S2_EEvbT2_NS_24const_host_device_scalarIT6_EEPKT1_S9_PKS3_PKT3_PKT4_S6_PT5_21rocsparse_index_base_b
		.amdhsa_group_segment_fixed_size 0
		.amdhsa_private_segment_fixed_size 0
		.amdhsa_kernarg_size 336
		.amdhsa_user_sgpr_count 2
		.amdhsa_user_sgpr_dispatch_ptr 0
		.amdhsa_user_sgpr_queue_ptr 0
		.amdhsa_user_sgpr_kernarg_segment_ptr 1
		.amdhsa_user_sgpr_dispatch_id 0
		.amdhsa_user_sgpr_kernarg_preload_length 0
		.amdhsa_user_sgpr_kernarg_preload_offset 0
		.amdhsa_user_sgpr_private_segment_size 0
		.amdhsa_wavefront_size32 1
		.amdhsa_uses_dynamic_stack 0
		.amdhsa_enable_private_segment 0
		.amdhsa_system_sgpr_workgroup_id_x 1
		.amdhsa_system_sgpr_workgroup_id_y 0
		.amdhsa_system_sgpr_workgroup_id_z 0
		.amdhsa_system_sgpr_workgroup_info 0
		.amdhsa_system_vgpr_workitem_id 0
		.amdhsa_next_free_vgpr 28
		.amdhsa_next_free_sgpr 22
		.amdhsa_named_barrier_count 0
		.amdhsa_reserve_vcc 1
		.amdhsa_float_round_mode_32 0
		.amdhsa_float_round_mode_16_64 0
		.amdhsa_float_denorm_mode_32 3
		.amdhsa_float_denorm_mode_16_64 3
		.amdhsa_fp16_overflow 0
		.amdhsa_memory_ordered 1
		.amdhsa_forward_progress 1
		.amdhsa_inst_pref_size 9
		.amdhsa_round_robin_scheduling 0
		.amdhsa_exception_fp_ieee_invalid_op 0
		.amdhsa_exception_fp_denorm_src 0
		.amdhsa_exception_fp_ieee_div_zero 0
		.amdhsa_exception_fp_ieee_overflow 0
		.amdhsa_exception_fp_ieee_underflow 0
		.amdhsa_exception_fp_ieee_inexact 0
		.amdhsa_exception_int_div_zero 0
	.end_amdhsa_kernel
	.section	.text._ZN9rocsparseL21csrmvn_general_kernelILj256ELj64Eii21rocsparse_complex_numIfES2_S2_S2_EEvbT2_NS_24const_host_device_scalarIT6_EEPKT1_S9_PKS3_PKT3_PKT4_S6_PT5_21rocsparse_index_base_b,"axG",@progbits,_ZN9rocsparseL21csrmvn_general_kernelILj256ELj64Eii21rocsparse_complex_numIfES2_S2_S2_EEvbT2_NS_24const_host_device_scalarIT6_EEPKT1_S9_PKS3_PKT3_PKT4_S6_PT5_21rocsparse_index_base_b,comdat
.Lfunc_end71:
	.size	_ZN9rocsparseL21csrmvn_general_kernelILj256ELj64Eii21rocsparse_complex_numIfES2_S2_S2_EEvbT2_NS_24const_host_device_scalarIT6_EEPKT1_S9_PKS3_PKT3_PKT4_S6_PT5_21rocsparse_index_base_b, .Lfunc_end71-_ZN9rocsparseL21csrmvn_general_kernelILj256ELj64Eii21rocsparse_complex_numIfES2_S2_S2_EEvbT2_NS_24const_host_device_scalarIT6_EEPKT1_S9_PKS3_PKT3_PKT4_S6_PT5_21rocsparse_index_base_b
                                        ; -- End function
	.set _ZN9rocsparseL21csrmvn_general_kernelILj256ELj64Eii21rocsparse_complex_numIfES2_S2_S2_EEvbT2_NS_24const_host_device_scalarIT6_EEPKT1_S9_PKS3_PKT3_PKT4_S6_PT5_21rocsparse_index_base_b.num_vgpr, 28
	.set _ZN9rocsparseL21csrmvn_general_kernelILj256ELj64Eii21rocsparse_complex_numIfES2_S2_S2_EEvbT2_NS_24const_host_device_scalarIT6_EEPKT1_S9_PKS3_PKT3_PKT4_S6_PT5_21rocsparse_index_base_b.num_agpr, 0
	.set _ZN9rocsparseL21csrmvn_general_kernelILj256ELj64Eii21rocsparse_complex_numIfES2_S2_S2_EEvbT2_NS_24const_host_device_scalarIT6_EEPKT1_S9_PKS3_PKT3_PKT4_S6_PT5_21rocsparse_index_base_b.numbered_sgpr, 22
	.set _ZN9rocsparseL21csrmvn_general_kernelILj256ELj64Eii21rocsparse_complex_numIfES2_S2_S2_EEvbT2_NS_24const_host_device_scalarIT6_EEPKT1_S9_PKS3_PKT3_PKT4_S6_PT5_21rocsparse_index_base_b.num_named_barrier, 0
	.set _ZN9rocsparseL21csrmvn_general_kernelILj256ELj64Eii21rocsparse_complex_numIfES2_S2_S2_EEvbT2_NS_24const_host_device_scalarIT6_EEPKT1_S9_PKS3_PKT3_PKT4_S6_PT5_21rocsparse_index_base_b.private_seg_size, 0
	.set _ZN9rocsparseL21csrmvn_general_kernelILj256ELj64Eii21rocsparse_complex_numIfES2_S2_S2_EEvbT2_NS_24const_host_device_scalarIT6_EEPKT1_S9_PKS3_PKT3_PKT4_S6_PT5_21rocsparse_index_base_b.uses_vcc, 1
	.set _ZN9rocsparseL21csrmvn_general_kernelILj256ELj64Eii21rocsparse_complex_numIfES2_S2_S2_EEvbT2_NS_24const_host_device_scalarIT6_EEPKT1_S9_PKS3_PKT3_PKT4_S6_PT5_21rocsparse_index_base_b.uses_flat_scratch, 1
	.set _ZN9rocsparseL21csrmvn_general_kernelILj256ELj64Eii21rocsparse_complex_numIfES2_S2_S2_EEvbT2_NS_24const_host_device_scalarIT6_EEPKT1_S9_PKS3_PKT3_PKT4_S6_PT5_21rocsparse_index_base_b.has_dyn_sized_stack, 0
	.set _ZN9rocsparseL21csrmvn_general_kernelILj256ELj64Eii21rocsparse_complex_numIfES2_S2_S2_EEvbT2_NS_24const_host_device_scalarIT6_EEPKT1_S9_PKS3_PKT3_PKT4_S6_PT5_21rocsparse_index_base_b.has_recursion, 0
	.set _ZN9rocsparseL21csrmvn_general_kernelILj256ELj64Eii21rocsparse_complex_numIfES2_S2_S2_EEvbT2_NS_24const_host_device_scalarIT6_EEPKT1_S9_PKS3_PKT3_PKT4_S6_PT5_21rocsparse_index_base_b.has_indirect_call, 0
	.section	.AMDGPU.csdata,"",@progbits
; Kernel info:
; codeLenInByte = 1052
; TotalNumSgprs: 24
; NumVgprs: 28
; ScratchSize: 0
; MemoryBound: 0
; FloatMode: 240
; IeeeMode: 1
; LDSByteSize: 0 bytes/workgroup (compile time only)
; SGPRBlocks: 0
; VGPRBlocks: 1
; NumSGPRsForWavesPerEU: 24
; NumVGPRsForWavesPerEU: 28
; NamedBarCnt: 0
; Occupancy: 16
; WaveLimiterHint : 1
; COMPUTE_PGM_RSRC2:SCRATCH_EN: 0
; COMPUTE_PGM_RSRC2:USER_SGPR: 2
; COMPUTE_PGM_RSRC2:TRAP_HANDLER: 0
; COMPUTE_PGM_RSRC2:TGID_X_EN: 1
; COMPUTE_PGM_RSRC2:TGID_Y_EN: 0
; COMPUTE_PGM_RSRC2:TGID_Z_EN: 0
; COMPUTE_PGM_RSRC2:TIDIG_COMP_CNT: 0
	.section	.text._ZN9rocsparseL21csrmvt_general_kernelILj256ELj4Eii21rocsparse_complex_numIfES2_S2_S2_EEvbbT2_NS_24const_host_device_scalarIT6_EEPKT1_S9_PKS3_PKT3_PKT4_PT5_21rocsparse_index_base_b,"axG",@progbits,_ZN9rocsparseL21csrmvt_general_kernelILj256ELj4Eii21rocsparse_complex_numIfES2_S2_S2_EEvbbT2_NS_24const_host_device_scalarIT6_EEPKT1_S9_PKS3_PKT3_PKT4_PT5_21rocsparse_index_base_b,comdat
	.globl	_ZN9rocsparseL21csrmvt_general_kernelILj256ELj4Eii21rocsparse_complex_numIfES2_S2_S2_EEvbbT2_NS_24const_host_device_scalarIT6_EEPKT1_S9_PKS3_PKT3_PKT4_PT5_21rocsparse_index_base_b ; -- Begin function _ZN9rocsparseL21csrmvt_general_kernelILj256ELj4Eii21rocsparse_complex_numIfES2_S2_S2_EEvbbT2_NS_24const_host_device_scalarIT6_EEPKT1_S9_PKS3_PKT3_PKT4_PT5_21rocsparse_index_base_b
	.p2align	8
	.type	_ZN9rocsparseL21csrmvt_general_kernelILj256ELj4Eii21rocsparse_complex_numIfES2_S2_S2_EEvbbT2_NS_24const_host_device_scalarIT6_EEPKT1_S9_PKS3_PKT3_PKT4_PT5_21rocsparse_index_base_b,@function
_ZN9rocsparseL21csrmvt_general_kernelILj256ELj4Eii21rocsparse_complex_numIfES2_S2_S2_EEvbbT2_NS_24const_host_device_scalarIT6_EEPKT1_S9_PKS3_PKT3_PKT4_PT5_21rocsparse_index_base_b: ; @_ZN9rocsparseL21csrmvt_general_kernelILj256ELj4Eii21rocsparse_complex_numIfES2_S2_S2_EEvbbT2_NS_24const_host_device_scalarIT6_EEPKT1_S9_PKS3_PKT3_PKT4_PT5_21rocsparse_index_base_b
; %bb.0:
	s_clause 0x1
	s_load_b64 s[16:17], s[0:1], 0x40
	s_load_b128 s[12:15], s[0:1], 0x8
	v_mov_b32_e32 v1, 0
	s_add_nc_u64 s[2:3], s[0:1], 8
	s_wait_kmcnt 0x0
	s_bitcmp1_b32 s17, 0
	s_cselect_b32 s3, s3, s13
	s_cselect_b32 s2, s2, s12
	flat_load_b64 v[2:3], v1, s[2:3]
	s_wait_loadcnt_dscnt 0x0
	v_cmp_neq_f32_e32 vcc_lo, 0, v2
	v_cmp_neq_f32_e64 s2, 0, v3
	s_or_b32 s2, vcc_lo, s2
	s_delay_alu instid0(SALU_CYCLE_1)
	s_and_saveexec_b32 s3, s2
	s_cbranch_execz .LBB72_18
; %bb.1:
	s_clause 0x3
	s_load_b32 s4, s[0:1], 0x0
	s_load_b64 s[2:3], s[0:1], 0x0
	s_load_b32 s17, s[0:1], 0x48
	s_load_b64 s[12:13], s[0:1], 0x38
	s_getreg_b32 s19, hwreg(HW_REG_IB_STS2, 6, 4)
	v_and_b32_e32 v5, 3, v0
	s_wait_kmcnt 0x0
	s_and_b32 s18, s4, 1
	s_bitcmp1_b32 s2, 8
	s_load_b256 s[4:11], s[0:1], 0x18
	s_wait_xcnt 0x0
	s_cselect_b32 s1, -1, 0
	s_bfe_u32 s0, ttmp6, 0x4000c
	s_lshl_b32 s2, s17, 6
	s_add_co_i32 s0, s0, 1
	s_and_b32 s17, ttmp6, 15
	s_mul_i32 s0, ttmp9, s0
	s_delay_alu instid0(SALU_CYCLE_1)
	s_add_co_i32 s17, s17, s0
	s_cmp_eq_u32 s19, 0
	s_cselect_b32 s0, ttmp9, s17
	s_cmp_eq_u32 s18, 0
	v_lshl_or_b32 v1, s0, 8, v0
	s_mov_b32 s17, -1
	s_delay_alu instid0(VALU_DEP_1) | instskip(NEXT) | instid1(VALU_DEP_1)
	v_lshrrev_b32_e32 v4, 2, v1
	v_cmp_gt_i32_e64 s0, s3, v4
	s_cbranch_scc0 .LBB72_9
; %bb.2:
	s_and_saveexec_b32 s17, s0
	s_cbranch_execz .LBB72_8
; %bb.3:
	v_subrev_nc_u32_e32 v6, s16, v5
	v_mov_b32_e32 v0, v4
	s_mov_b32 s18, 0
	s_branch .LBB72_5
.LBB72_4:                               ;   in Loop: Header=BB72_5 Depth=1
	s_or_b32 exec_lo, exec_lo, s19
	v_add_nc_u32_e32 v0, s2, v0
	s_delay_alu instid0(VALU_DEP_1) | instskip(SKIP_1) | instid1(SALU_CYCLE_1)
	v_cmp_le_i32_e32 vcc_lo, s3, v0
	s_or_b32 s18, vcc_lo, s18
	s_and_not1_b32 exec_lo, exec_lo, s18
	s_cbranch_execz .LBB72_8
.LBB72_5:                               ; =>This Loop Header: Depth=1
                                        ;     Child Loop BB72_7 Depth 2
	s_wait_kmcnt 0x0
	s_clause 0x1
	global_load_b32 v1, v0, s[4:5] scale_offset
	global_load_b32 v8, v0, s[14:15] scale_offset
	s_mov_b32 s19, exec_lo
	s_wait_loadcnt 0x1
	v_subrev_nc_u32_e32 v7, s16, v1
	s_wait_loadcnt 0x0
	v_add_nc_u32_e32 v8, v8, v6
	s_wait_xcnt 0x0
	s_delay_alu instid0(VALU_DEP_1)
	v_cmpx_lt_i32_e64 v8, v7
	s_cbranch_execz .LBB72_4
; %bb.6:                                ;   in Loop: Header=BB72_5 Depth=1
	v_ashrrev_i32_e32 v1, 31, v0
	s_mov_b32 s20, 0
	s_delay_alu instid0(VALU_DEP_1) | instskip(SKIP_3) | instid1(VALU_DEP_1)
	v_lshl_add_u64 v[10:11], v[0:1], 3, s[10:11]
	global_load_b64 v[10:11], v[10:11], off
	s_wait_loadcnt 0x0
	v_mul_f32_e64 v1, v11, -v3
	v_dual_mul_f32 v9, v2, v11 :: v_dual_fmac_f32 v1, v2, v10
	s_delay_alu instid0(VALU_DEP_1)
	v_fmac_f32_e32 v9, v3, v10
.LBB72_7:                               ;   Parent Loop BB72_5 Depth=1
                                        ; =>  This Inner Loop Header: Depth=2
	s_clause 0x1
	global_load_b32 v12, v8, s[6:7] scale_offset
	global_load_b64 v[10:11], v8, s[8:9] scale_offset
	s_wait_xcnt 0x0
	v_add_nc_u32_e32 v8, 4, v8
	s_delay_alu instid0(VALU_DEP_1) | instskip(SKIP_4) | instid1(VALU_DEP_1)
	v_cmp_ge_i32_e32 vcc_lo, v8, v7
	s_or_b32 s20, vcc_lo, s20
	s_wait_loadcnt 0x1
	v_subrev_nc_u32_e32 v12, s16, v12
	s_wait_loadcnt 0x0
	v_dual_cndmask_b32 v11, v11, -v11, s1 :: v_dual_ashrrev_i32 v13, 31, v12
	s_delay_alu instid0(VALU_DEP_1) | instskip(NEXT) | instid1(VALU_DEP_2)
	v_dual_mul_f32 v14, v11, -v9 :: v_dual_mul_f32 v11, v1, v11
	v_lshl_add_u64 v[12:13], v[12:13], 3, s[12:13]
	s_delay_alu instid0(VALU_DEP_2) | instskip(NEXT) | instid1(VALU_DEP_3)
	v_fmac_f32_e32 v14, v1, v10
	v_fmac_f32_e32 v11, v9, v10
	global_atomic_add_f32 v[12:13], v14, off scope:SCOPE_DEV
	s_wait_xcnt 0x0
	global_atomic_add_f32 v[12:13], v11, off offset:4 scope:SCOPE_DEV
	s_wait_xcnt 0x0
	s_and_not1_b32 exec_lo, exec_lo, s20
	s_cbranch_execnz .LBB72_7
	s_branch .LBB72_4
.LBB72_8:
	s_or_b32 exec_lo, exec_lo, s17
	s_mov_b32 s17, 0
.LBB72_9:
	s_delay_alu instid0(SALU_CYCLE_1)
	s_and_not1_b32 vcc_lo, exec_lo, s17
	s_cbranch_vccnz .LBB72_18
; %bb.10:
	s_and_b32 exec_lo, exec_lo, s0
	s_cbranch_execz .LBB72_18
; %bb.11:
	v_subrev_nc_u32_e32 v8, s16, v5
	s_mov_b32 s0, 0
	s_branch .LBB72_13
.LBB72_12:                              ;   in Loop: Header=BB72_13 Depth=1
	s_or_b32 exec_lo, exec_lo, s17
	v_add_nc_u32_e32 v4, s2, v4
	s_delay_alu instid0(VALU_DEP_1) | instskip(SKIP_1) | instid1(SALU_CYCLE_1)
	v_cmp_le_i32_e32 vcc_lo, s3, v4
	s_or_b32 s0, vcc_lo, s0
	s_and_not1_b32 exec_lo, exec_lo, s0
	s_cbranch_execz .LBB72_18
.LBB72_13:                              ; =>This Loop Header: Depth=1
                                        ;     Child Loop BB72_16 Depth 2
	s_wait_kmcnt 0x0
	s_clause 0x1
	global_load_b32 v0, v4, s[4:5] scale_offset
	global_load_b32 v1, v4, s[14:15] scale_offset
	s_mov_b32 s17, exec_lo
	s_wait_loadcnt 0x1
	v_subrev_nc_u32_e32 v9, s16, v0
	s_wait_loadcnt 0x0
	v_add_nc_u32_e32 v0, v1, v8
	s_wait_xcnt 0x0
	s_delay_alu instid0(VALU_DEP_1)
	v_cmpx_lt_i32_e64 v0, v9
	s_cbranch_execz .LBB72_12
; %bb.14:                               ;   in Loop: Header=BB72_13 Depth=1
	v_ashrrev_i32_e32 v5, 31, v4
	s_mov_b32 s18, 0
	s_delay_alu instid0(VALU_DEP_1) | instskip(SKIP_3) | instid1(VALU_DEP_1)
	v_lshl_add_u64 v[6:7], v[4:5], 3, s[10:11]
	global_load_b64 v[6:7], v[6:7], off
	s_wait_loadcnt 0x0
	v_mul_f32_e64 v5, v7, -v3
	v_dual_mul_f32 v10, v2, v7 :: v_dual_fmac_f32 v5, v2, v6
	s_delay_alu instid0(VALU_DEP_1)
	v_fmac_f32_e32 v10, v3, v6
	s_branch .LBB72_16
.LBB72_15:                              ;   in Loop: Header=BB72_16 Depth=2
	s_wait_xcnt 0x0
	s_or_b32 exec_lo, exec_lo, s19
	v_add_nc_u32_e32 v0, 4, v0
	s_delay_alu instid0(VALU_DEP_1) | instskip(SKIP_1) | instid1(SALU_CYCLE_1)
	v_cmp_ge_i32_e32 vcc_lo, v0, v9
	s_or_b32 s18, vcc_lo, s18
	s_and_not1_b32 exec_lo, exec_lo, s18
	s_cbranch_execz .LBB72_12
.LBB72_16:                              ;   Parent Loop BB72_13 Depth=1
                                        ; =>  This Inner Loop Header: Depth=2
	global_load_b32 v1, v0, s[6:7] scale_offset
	s_mov_b32 s19, exec_lo
	s_wait_loadcnt 0x0
	s_wait_xcnt 0x1
	v_subrev_nc_u32_e32 v6, s16, v1
	v_ashrrev_i32_e32 v1, 31, v0
	s_wait_xcnt 0x0
	s_delay_alu instid0(VALU_DEP_2)
	v_cmpx_ne_u32_e64 v6, v4
	s_cbranch_execz .LBB72_15
; %bb.17:                               ;   in Loop: Header=BB72_16 Depth=2
	s_delay_alu instid0(VALU_DEP_2)
	v_lshl_add_u64 v[12:13], v[0:1], 3, s[8:9]
	v_ashrrev_i32_e32 v7, 31, v6
	global_load_b64 v[12:13], v[12:13], off
	v_lshl_add_u64 v[6:7], v[6:7], 3, s[12:13]
	s_wait_loadcnt 0x0
	v_cndmask_b32_e64 v1, v13, -v13, s1
	s_delay_alu instid0(VALU_DEP_1) | instskip(SKIP_1) | instid1(VALU_DEP_1)
	v_mul_f32_e64 v11, v1, -v10
	v_mul_f32_e32 v1, v5, v1
	v_dual_fmac_f32 v1, v10, v12 :: v_dual_fmac_f32 v11, v5, v12
	s_wait_xcnt 0x0
	global_atomic_add_f32 v[6:7], v11, off scope:SCOPE_DEV
	s_wait_xcnt 0x0
	global_atomic_add_f32 v[6:7], v1, off offset:4 scope:SCOPE_DEV
	s_branch .LBB72_15
.LBB72_18:
	s_endpgm
	.section	.rodata,"a",@progbits
	.p2align	6, 0x0
	.amdhsa_kernel _ZN9rocsparseL21csrmvt_general_kernelILj256ELj4Eii21rocsparse_complex_numIfES2_S2_S2_EEvbbT2_NS_24const_host_device_scalarIT6_EEPKT1_S9_PKS3_PKT3_PKT4_PT5_21rocsparse_index_base_b
		.amdhsa_group_segment_fixed_size 0
		.amdhsa_private_segment_fixed_size 0
		.amdhsa_kernarg_size 328
		.amdhsa_user_sgpr_count 2
		.amdhsa_user_sgpr_dispatch_ptr 0
		.amdhsa_user_sgpr_queue_ptr 0
		.amdhsa_user_sgpr_kernarg_segment_ptr 1
		.amdhsa_user_sgpr_dispatch_id 0
		.amdhsa_user_sgpr_kernarg_preload_length 0
		.amdhsa_user_sgpr_kernarg_preload_offset 0
		.amdhsa_user_sgpr_private_segment_size 0
		.amdhsa_wavefront_size32 1
		.amdhsa_uses_dynamic_stack 0
		.amdhsa_enable_private_segment 0
		.amdhsa_system_sgpr_workgroup_id_x 1
		.amdhsa_system_sgpr_workgroup_id_y 0
		.amdhsa_system_sgpr_workgroup_id_z 0
		.amdhsa_system_sgpr_workgroup_info 0
		.amdhsa_system_vgpr_workitem_id 0
		.amdhsa_next_free_vgpr 15
		.amdhsa_next_free_sgpr 21
		.amdhsa_named_barrier_count 0
		.amdhsa_reserve_vcc 1
		.amdhsa_float_round_mode_32 0
		.amdhsa_float_round_mode_16_64 0
		.amdhsa_float_denorm_mode_32 3
		.amdhsa_float_denorm_mode_16_64 3
		.amdhsa_fp16_overflow 0
		.amdhsa_memory_ordered 1
		.amdhsa_forward_progress 1
		.amdhsa_inst_pref_size 8
		.amdhsa_round_robin_scheduling 0
		.amdhsa_exception_fp_ieee_invalid_op 0
		.amdhsa_exception_fp_denorm_src 0
		.amdhsa_exception_fp_ieee_div_zero 0
		.amdhsa_exception_fp_ieee_overflow 0
		.amdhsa_exception_fp_ieee_underflow 0
		.amdhsa_exception_fp_ieee_inexact 0
		.amdhsa_exception_int_div_zero 0
	.end_amdhsa_kernel
	.section	.text._ZN9rocsparseL21csrmvt_general_kernelILj256ELj4Eii21rocsparse_complex_numIfES2_S2_S2_EEvbbT2_NS_24const_host_device_scalarIT6_EEPKT1_S9_PKS3_PKT3_PKT4_PT5_21rocsparse_index_base_b,"axG",@progbits,_ZN9rocsparseL21csrmvt_general_kernelILj256ELj4Eii21rocsparse_complex_numIfES2_S2_S2_EEvbbT2_NS_24const_host_device_scalarIT6_EEPKT1_S9_PKS3_PKT3_PKT4_PT5_21rocsparse_index_base_b,comdat
.Lfunc_end72:
	.size	_ZN9rocsparseL21csrmvt_general_kernelILj256ELj4Eii21rocsparse_complex_numIfES2_S2_S2_EEvbbT2_NS_24const_host_device_scalarIT6_EEPKT1_S9_PKS3_PKT3_PKT4_PT5_21rocsparse_index_base_b, .Lfunc_end72-_ZN9rocsparseL21csrmvt_general_kernelILj256ELj4Eii21rocsparse_complex_numIfES2_S2_S2_EEvbbT2_NS_24const_host_device_scalarIT6_EEPKT1_S9_PKS3_PKT3_PKT4_PT5_21rocsparse_index_base_b
                                        ; -- End function
	.set _ZN9rocsparseL21csrmvt_general_kernelILj256ELj4Eii21rocsparse_complex_numIfES2_S2_S2_EEvbbT2_NS_24const_host_device_scalarIT6_EEPKT1_S9_PKS3_PKT3_PKT4_PT5_21rocsparse_index_base_b.num_vgpr, 15
	.set _ZN9rocsparseL21csrmvt_general_kernelILj256ELj4Eii21rocsparse_complex_numIfES2_S2_S2_EEvbbT2_NS_24const_host_device_scalarIT6_EEPKT1_S9_PKS3_PKT3_PKT4_PT5_21rocsparse_index_base_b.num_agpr, 0
	.set _ZN9rocsparseL21csrmvt_general_kernelILj256ELj4Eii21rocsparse_complex_numIfES2_S2_S2_EEvbbT2_NS_24const_host_device_scalarIT6_EEPKT1_S9_PKS3_PKT3_PKT4_PT5_21rocsparse_index_base_b.numbered_sgpr, 21
	.set _ZN9rocsparseL21csrmvt_general_kernelILj256ELj4Eii21rocsparse_complex_numIfES2_S2_S2_EEvbbT2_NS_24const_host_device_scalarIT6_EEPKT1_S9_PKS3_PKT3_PKT4_PT5_21rocsparse_index_base_b.num_named_barrier, 0
	.set _ZN9rocsparseL21csrmvt_general_kernelILj256ELj4Eii21rocsparse_complex_numIfES2_S2_S2_EEvbbT2_NS_24const_host_device_scalarIT6_EEPKT1_S9_PKS3_PKT3_PKT4_PT5_21rocsparse_index_base_b.private_seg_size, 0
	.set _ZN9rocsparseL21csrmvt_general_kernelILj256ELj4Eii21rocsparse_complex_numIfES2_S2_S2_EEvbbT2_NS_24const_host_device_scalarIT6_EEPKT1_S9_PKS3_PKT3_PKT4_PT5_21rocsparse_index_base_b.uses_vcc, 1
	.set _ZN9rocsparseL21csrmvt_general_kernelILj256ELj4Eii21rocsparse_complex_numIfES2_S2_S2_EEvbbT2_NS_24const_host_device_scalarIT6_EEPKT1_S9_PKS3_PKT3_PKT4_PT5_21rocsparse_index_base_b.uses_flat_scratch, 0
	.set _ZN9rocsparseL21csrmvt_general_kernelILj256ELj4Eii21rocsparse_complex_numIfES2_S2_S2_EEvbbT2_NS_24const_host_device_scalarIT6_EEPKT1_S9_PKS3_PKT3_PKT4_PT5_21rocsparse_index_base_b.has_dyn_sized_stack, 0
	.set _ZN9rocsparseL21csrmvt_general_kernelILj256ELj4Eii21rocsparse_complex_numIfES2_S2_S2_EEvbbT2_NS_24const_host_device_scalarIT6_EEPKT1_S9_PKS3_PKT3_PKT4_PT5_21rocsparse_index_base_b.has_recursion, 0
	.set _ZN9rocsparseL21csrmvt_general_kernelILj256ELj4Eii21rocsparse_complex_numIfES2_S2_S2_EEvbbT2_NS_24const_host_device_scalarIT6_EEPKT1_S9_PKS3_PKT3_PKT4_PT5_21rocsparse_index_base_b.has_indirect_call, 0
	.section	.AMDGPU.csdata,"",@progbits
; Kernel info:
; codeLenInByte = 980
; TotalNumSgprs: 23
; NumVgprs: 15
; ScratchSize: 0
; MemoryBound: 0
; FloatMode: 240
; IeeeMode: 1
; LDSByteSize: 0 bytes/workgroup (compile time only)
; SGPRBlocks: 0
; VGPRBlocks: 0
; NumSGPRsForWavesPerEU: 23
; NumVGPRsForWavesPerEU: 15
; NamedBarCnt: 0
; Occupancy: 16
; WaveLimiterHint : 1
; COMPUTE_PGM_RSRC2:SCRATCH_EN: 0
; COMPUTE_PGM_RSRC2:USER_SGPR: 2
; COMPUTE_PGM_RSRC2:TRAP_HANDLER: 0
; COMPUTE_PGM_RSRC2:TGID_X_EN: 1
; COMPUTE_PGM_RSRC2:TGID_Y_EN: 0
; COMPUTE_PGM_RSRC2:TGID_Z_EN: 0
; COMPUTE_PGM_RSRC2:TIDIG_COMP_CNT: 0
	.section	.text._ZN9rocsparseL21csrmvt_general_kernelILj256ELj8Eii21rocsparse_complex_numIfES2_S2_S2_EEvbbT2_NS_24const_host_device_scalarIT6_EEPKT1_S9_PKS3_PKT3_PKT4_PT5_21rocsparse_index_base_b,"axG",@progbits,_ZN9rocsparseL21csrmvt_general_kernelILj256ELj8Eii21rocsparse_complex_numIfES2_S2_S2_EEvbbT2_NS_24const_host_device_scalarIT6_EEPKT1_S9_PKS3_PKT3_PKT4_PT5_21rocsparse_index_base_b,comdat
	.globl	_ZN9rocsparseL21csrmvt_general_kernelILj256ELj8Eii21rocsparse_complex_numIfES2_S2_S2_EEvbbT2_NS_24const_host_device_scalarIT6_EEPKT1_S9_PKS3_PKT3_PKT4_PT5_21rocsparse_index_base_b ; -- Begin function _ZN9rocsparseL21csrmvt_general_kernelILj256ELj8Eii21rocsparse_complex_numIfES2_S2_S2_EEvbbT2_NS_24const_host_device_scalarIT6_EEPKT1_S9_PKS3_PKT3_PKT4_PT5_21rocsparse_index_base_b
	.p2align	8
	.type	_ZN9rocsparseL21csrmvt_general_kernelILj256ELj8Eii21rocsparse_complex_numIfES2_S2_S2_EEvbbT2_NS_24const_host_device_scalarIT6_EEPKT1_S9_PKS3_PKT3_PKT4_PT5_21rocsparse_index_base_b,@function
_ZN9rocsparseL21csrmvt_general_kernelILj256ELj8Eii21rocsparse_complex_numIfES2_S2_S2_EEvbbT2_NS_24const_host_device_scalarIT6_EEPKT1_S9_PKS3_PKT3_PKT4_PT5_21rocsparse_index_base_b: ; @_ZN9rocsparseL21csrmvt_general_kernelILj256ELj8Eii21rocsparse_complex_numIfES2_S2_S2_EEvbbT2_NS_24const_host_device_scalarIT6_EEPKT1_S9_PKS3_PKT3_PKT4_PT5_21rocsparse_index_base_b
; %bb.0:
	s_clause 0x1
	s_load_b64 s[16:17], s[0:1], 0x40
	s_load_b128 s[12:15], s[0:1], 0x8
	v_mov_b32_e32 v1, 0
	s_add_nc_u64 s[2:3], s[0:1], 8
	s_wait_kmcnt 0x0
	s_bitcmp1_b32 s17, 0
	s_cselect_b32 s3, s3, s13
	s_cselect_b32 s2, s2, s12
	flat_load_b64 v[2:3], v1, s[2:3]
	s_wait_loadcnt_dscnt 0x0
	v_cmp_neq_f32_e32 vcc_lo, 0, v2
	v_cmp_neq_f32_e64 s2, 0, v3
	s_or_b32 s2, vcc_lo, s2
	s_delay_alu instid0(SALU_CYCLE_1)
	s_and_saveexec_b32 s3, s2
	s_cbranch_execz .LBB73_18
; %bb.1:
	s_clause 0x3
	s_load_b32 s4, s[0:1], 0x0
	s_load_b64 s[2:3], s[0:1], 0x0
	s_load_b32 s17, s[0:1], 0x48
	s_load_b64 s[12:13], s[0:1], 0x38
	s_getreg_b32 s19, hwreg(HW_REG_IB_STS2, 6, 4)
	v_and_b32_e32 v5, 7, v0
	s_wait_kmcnt 0x0
	s_and_b32 s18, s4, 1
	s_bitcmp1_b32 s2, 8
	s_load_b256 s[4:11], s[0:1], 0x18
	s_wait_xcnt 0x0
	s_cselect_b32 s1, -1, 0
	s_bfe_u32 s0, ttmp6, 0x4000c
	s_lshl_b32 s2, s17, 5
	s_add_co_i32 s0, s0, 1
	s_and_b32 s17, ttmp6, 15
	s_mul_i32 s0, ttmp9, s0
	s_delay_alu instid0(SALU_CYCLE_1)
	s_add_co_i32 s17, s17, s0
	s_cmp_eq_u32 s19, 0
	s_cselect_b32 s0, ttmp9, s17
	s_cmp_eq_u32 s18, 0
	v_lshl_or_b32 v1, s0, 8, v0
	s_mov_b32 s17, -1
	s_delay_alu instid0(VALU_DEP_1) | instskip(NEXT) | instid1(VALU_DEP_1)
	v_lshrrev_b32_e32 v4, 3, v1
	v_cmp_gt_i32_e64 s0, s3, v4
	s_cbranch_scc0 .LBB73_9
; %bb.2:
	s_and_saveexec_b32 s17, s0
	s_cbranch_execz .LBB73_8
; %bb.3:
	v_subrev_nc_u32_e32 v6, s16, v5
	v_mov_b32_e32 v0, v4
	s_mov_b32 s18, 0
	s_branch .LBB73_5
.LBB73_4:                               ;   in Loop: Header=BB73_5 Depth=1
	s_or_b32 exec_lo, exec_lo, s19
	v_add_nc_u32_e32 v0, s2, v0
	s_delay_alu instid0(VALU_DEP_1) | instskip(SKIP_1) | instid1(SALU_CYCLE_1)
	v_cmp_le_i32_e32 vcc_lo, s3, v0
	s_or_b32 s18, vcc_lo, s18
	s_and_not1_b32 exec_lo, exec_lo, s18
	s_cbranch_execz .LBB73_8
.LBB73_5:                               ; =>This Loop Header: Depth=1
                                        ;     Child Loop BB73_7 Depth 2
	s_wait_kmcnt 0x0
	s_clause 0x1
	global_load_b32 v1, v0, s[4:5] scale_offset
	global_load_b32 v8, v0, s[14:15] scale_offset
	s_mov_b32 s19, exec_lo
	s_wait_loadcnt 0x1
	v_subrev_nc_u32_e32 v7, s16, v1
	s_wait_loadcnt 0x0
	v_add_nc_u32_e32 v8, v8, v6
	s_wait_xcnt 0x0
	s_delay_alu instid0(VALU_DEP_1)
	v_cmpx_lt_i32_e64 v8, v7
	s_cbranch_execz .LBB73_4
; %bb.6:                                ;   in Loop: Header=BB73_5 Depth=1
	v_ashrrev_i32_e32 v1, 31, v0
	s_mov_b32 s20, 0
	s_delay_alu instid0(VALU_DEP_1) | instskip(SKIP_3) | instid1(VALU_DEP_1)
	v_lshl_add_u64 v[10:11], v[0:1], 3, s[10:11]
	global_load_b64 v[10:11], v[10:11], off
	s_wait_loadcnt 0x0
	v_mul_f32_e64 v1, v11, -v3
	v_dual_mul_f32 v9, v2, v11 :: v_dual_fmac_f32 v1, v2, v10
	s_delay_alu instid0(VALU_DEP_1)
	v_fmac_f32_e32 v9, v3, v10
.LBB73_7:                               ;   Parent Loop BB73_5 Depth=1
                                        ; =>  This Inner Loop Header: Depth=2
	s_clause 0x1
	global_load_b32 v12, v8, s[6:7] scale_offset
	global_load_b64 v[10:11], v8, s[8:9] scale_offset
	s_wait_xcnt 0x0
	v_add_nc_u32_e32 v8, 8, v8
	s_delay_alu instid0(VALU_DEP_1) | instskip(SKIP_4) | instid1(VALU_DEP_1)
	v_cmp_ge_i32_e32 vcc_lo, v8, v7
	s_or_b32 s20, vcc_lo, s20
	s_wait_loadcnt 0x1
	v_subrev_nc_u32_e32 v12, s16, v12
	s_wait_loadcnt 0x0
	v_dual_cndmask_b32 v11, v11, -v11, s1 :: v_dual_ashrrev_i32 v13, 31, v12
	s_delay_alu instid0(VALU_DEP_1) | instskip(NEXT) | instid1(VALU_DEP_2)
	v_dual_mul_f32 v14, v11, -v9 :: v_dual_mul_f32 v11, v1, v11
	v_lshl_add_u64 v[12:13], v[12:13], 3, s[12:13]
	s_delay_alu instid0(VALU_DEP_2) | instskip(NEXT) | instid1(VALU_DEP_3)
	v_fmac_f32_e32 v14, v1, v10
	v_fmac_f32_e32 v11, v9, v10
	global_atomic_add_f32 v[12:13], v14, off scope:SCOPE_DEV
	s_wait_xcnt 0x0
	global_atomic_add_f32 v[12:13], v11, off offset:4 scope:SCOPE_DEV
	s_wait_xcnt 0x0
	s_and_not1_b32 exec_lo, exec_lo, s20
	s_cbranch_execnz .LBB73_7
	s_branch .LBB73_4
.LBB73_8:
	s_or_b32 exec_lo, exec_lo, s17
	s_mov_b32 s17, 0
.LBB73_9:
	s_delay_alu instid0(SALU_CYCLE_1)
	s_and_not1_b32 vcc_lo, exec_lo, s17
	s_cbranch_vccnz .LBB73_18
; %bb.10:
	s_and_b32 exec_lo, exec_lo, s0
	s_cbranch_execz .LBB73_18
; %bb.11:
	v_subrev_nc_u32_e32 v8, s16, v5
	s_mov_b32 s0, 0
	s_branch .LBB73_13
.LBB73_12:                              ;   in Loop: Header=BB73_13 Depth=1
	s_or_b32 exec_lo, exec_lo, s17
	v_add_nc_u32_e32 v4, s2, v4
	s_delay_alu instid0(VALU_DEP_1) | instskip(SKIP_1) | instid1(SALU_CYCLE_1)
	v_cmp_le_i32_e32 vcc_lo, s3, v4
	s_or_b32 s0, vcc_lo, s0
	s_and_not1_b32 exec_lo, exec_lo, s0
	s_cbranch_execz .LBB73_18
.LBB73_13:                              ; =>This Loop Header: Depth=1
                                        ;     Child Loop BB73_16 Depth 2
	s_wait_kmcnt 0x0
	s_clause 0x1
	global_load_b32 v0, v4, s[4:5] scale_offset
	global_load_b32 v1, v4, s[14:15] scale_offset
	s_mov_b32 s17, exec_lo
	s_wait_loadcnt 0x1
	v_subrev_nc_u32_e32 v9, s16, v0
	s_wait_loadcnt 0x0
	v_add_nc_u32_e32 v0, v1, v8
	s_wait_xcnt 0x0
	s_delay_alu instid0(VALU_DEP_1)
	v_cmpx_lt_i32_e64 v0, v9
	s_cbranch_execz .LBB73_12
; %bb.14:                               ;   in Loop: Header=BB73_13 Depth=1
	v_ashrrev_i32_e32 v5, 31, v4
	s_mov_b32 s18, 0
	s_delay_alu instid0(VALU_DEP_1) | instskip(SKIP_3) | instid1(VALU_DEP_1)
	v_lshl_add_u64 v[6:7], v[4:5], 3, s[10:11]
	global_load_b64 v[6:7], v[6:7], off
	s_wait_loadcnt 0x0
	v_mul_f32_e64 v5, v7, -v3
	v_dual_mul_f32 v10, v2, v7 :: v_dual_fmac_f32 v5, v2, v6
	s_delay_alu instid0(VALU_DEP_1)
	v_fmac_f32_e32 v10, v3, v6
	s_branch .LBB73_16
.LBB73_15:                              ;   in Loop: Header=BB73_16 Depth=2
	s_wait_xcnt 0x0
	s_or_b32 exec_lo, exec_lo, s19
	v_add_nc_u32_e32 v0, 8, v0
	s_delay_alu instid0(VALU_DEP_1) | instskip(SKIP_1) | instid1(SALU_CYCLE_1)
	v_cmp_ge_i32_e32 vcc_lo, v0, v9
	s_or_b32 s18, vcc_lo, s18
	s_and_not1_b32 exec_lo, exec_lo, s18
	s_cbranch_execz .LBB73_12
.LBB73_16:                              ;   Parent Loop BB73_13 Depth=1
                                        ; =>  This Inner Loop Header: Depth=2
	global_load_b32 v1, v0, s[6:7] scale_offset
	s_mov_b32 s19, exec_lo
	s_wait_loadcnt 0x0
	s_wait_xcnt 0x1
	v_subrev_nc_u32_e32 v6, s16, v1
	v_ashrrev_i32_e32 v1, 31, v0
	s_wait_xcnt 0x0
	s_delay_alu instid0(VALU_DEP_2)
	v_cmpx_ne_u32_e64 v6, v4
	s_cbranch_execz .LBB73_15
; %bb.17:                               ;   in Loop: Header=BB73_16 Depth=2
	s_delay_alu instid0(VALU_DEP_2)
	v_lshl_add_u64 v[12:13], v[0:1], 3, s[8:9]
	v_ashrrev_i32_e32 v7, 31, v6
	global_load_b64 v[12:13], v[12:13], off
	v_lshl_add_u64 v[6:7], v[6:7], 3, s[12:13]
	s_wait_loadcnt 0x0
	v_cndmask_b32_e64 v1, v13, -v13, s1
	s_delay_alu instid0(VALU_DEP_1) | instskip(SKIP_1) | instid1(VALU_DEP_1)
	v_mul_f32_e64 v11, v1, -v10
	v_mul_f32_e32 v1, v5, v1
	v_dual_fmac_f32 v1, v10, v12 :: v_dual_fmac_f32 v11, v5, v12
	s_wait_xcnt 0x0
	global_atomic_add_f32 v[6:7], v11, off scope:SCOPE_DEV
	s_wait_xcnt 0x0
	global_atomic_add_f32 v[6:7], v1, off offset:4 scope:SCOPE_DEV
	s_branch .LBB73_15
.LBB73_18:
	s_endpgm
	.section	.rodata,"a",@progbits
	.p2align	6, 0x0
	.amdhsa_kernel _ZN9rocsparseL21csrmvt_general_kernelILj256ELj8Eii21rocsparse_complex_numIfES2_S2_S2_EEvbbT2_NS_24const_host_device_scalarIT6_EEPKT1_S9_PKS3_PKT3_PKT4_PT5_21rocsparse_index_base_b
		.amdhsa_group_segment_fixed_size 0
		.amdhsa_private_segment_fixed_size 0
		.amdhsa_kernarg_size 328
		.amdhsa_user_sgpr_count 2
		.amdhsa_user_sgpr_dispatch_ptr 0
		.amdhsa_user_sgpr_queue_ptr 0
		.amdhsa_user_sgpr_kernarg_segment_ptr 1
		.amdhsa_user_sgpr_dispatch_id 0
		.amdhsa_user_sgpr_kernarg_preload_length 0
		.amdhsa_user_sgpr_kernarg_preload_offset 0
		.amdhsa_user_sgpr_private_segment_size 0
		.amdhsa_wavefront_size32 1
		.amdhsa_uses_dynamic_stack 0
		.amdhsa_enable_private_segment 0
		.amdhsa_system_sgpr_workgroup_id_x 1
		.amdhsa_system_sgpr_workgroup_id_y 0
		.amdhsa_system_sgpr_workgroup_id_z 0
		.amdhsa_system_sgpr_workgroup_info 0
		.amdhsa_system_vgpr_workitem_id 0
		.amdhsa_next_free_vgpr 15
		.amdhsa_next_free_sgpr 21
		.amdhsa_named_barrier_count 0
		.amdhsa_reserve_vcc 1
		.amdhsa_float_round_mode_32 0
		.amdhsa_float_round_mode_16_64 0
		.amdhsa_float_denorm_mode_32 3
		.amdhsa_float_denorm_mode_16_64 3
		.amdhsa_fp16_overflow 0
		.amdhsa_memory_ordered 1
		.amdhsa_forward_progress 1
		.amdhsa_inst_pref_size 8
		.amdhsa_round_robin_scheduling 0
		.amdhsa_exception_fp_ieee_invalid_op 0
		.amdhsa_exception_fp_denorm_src 0
		.amdhsa_exception_fp_ieee_div_zero 0
		.amdhsa_exception_fp_ieee_overflow 0
		.amdhsa_exception_fp_ieee_underflow 0
		.amdhsa_exception_fp_ieee_inexact 0
		.amdhsa_exception_int_div_zero 0
	.end_amdhsa_kernel
	.section	.text._ZN9rocsparseL21csrmvt_general_kernelILj256ELj8Eii21rocsparse_complex_numIfES2_S2_S2_EEvbbT2_NS_24const_host_device_scalarIT6_EEPKT1_S9_PKS3_PKT3_PKT4_PT5_21rocsparse_index_base_b,"axG",@progbits,_ZN9rocsparseL21csrmvt_general_kernelILj256ELj8Eii21rocsparse_complex_numIfES2_S2_S2_EEvbbT2_NS_24const_host_device_scalarIT6_EEPKT1_S9_PKS3_PKT3_PKT4_PT5_21rocsparse_index_base_b,comdat
.Lfunc_end73:
	.size	_ZN9rocsparseL21csrmvt_general_kernelILj256ELj8Eii21rocsparse_complex_numIfES2_S2_S2_EEvbbT2_NS_24const_host_device_scalarIT6_EEPKT1_S9_PKS3_PKT3_PKT4_PT5_21rocsparse_index_base_b, .Lfunc_end73-_ZN9rocsparseL21csrmvt_general_kernelILj256ELj8Eii21rocsparse_complex_numIfES2_S2_S2_EEvbbT2_NS_24const_host_device_scalarIT6_EEPKT1_S9_PKS3_PKT3_PKT4_PT5_21rocsparse_index_base_b
                                        ; -- End function
	.set _ZN9rocsparseL21csrmvt_general_kernelILj256ELj8Eii21rocsparse_complex_numIfES2_S2_S2_EEvbbT2_NS_24const_host_device_scalarIT6_EEPKT1_S9_PKS3_PKT3_PKT4_PT5_21rocsparse_index_base_b.num_vgpr, 15
	.set _ZN9rocsparseL21csrmvt_general_kernelILj256ELj8Eii21rocsparse_complex_numIfES2_S2_S2_EEvbbT2_NS_24const_host_device_scalarIT6_EEPKT1_S9_PKS3_PKT3_PKT4_PT5_21rocsparse_index_base_b.num_agpr, 0
	.set _ZN9rocsparseL21csrmvt_general_kernelILj256ELj8Eii21rocsparse_complex_numIfES2_S2_S2_EEvbbT2_NS_24const_host_device_scalarIT6_EEPKT1_S9_PKS3_PKT3_PKT4_PT5_21rocsparse_index_base_b.numbered_sgpr, 21
	.set _ZN9rocsparseL21csrmvt_general_kernelILj256ELj8Eii21rocsparse_complex_numIfES2_S2_S2_EEvbbT2_NS_24const_host_device_scalarIT6_EEPKT1_S9_PKS3_PKT3_PKT4_PT5_21rocsparse_index_base_b.num_named_barrier, 0
	.set _ZN9rocsparseL21csrmvt_general_kernelILj256ELj8Eii21rocsparse_complex_numIfES2_S2_S2_EEvbbT2_NS_24const_host_device_scalarIT6_EEPKT1_S9_PKS3_PKT3_PKT4_PT5_21rocsparse_index_base_b.private_seg_size, 0
	.set _ZN9rocsparseL21csrmvt_general_kernelILj256ELj8Eii21rocsparse_complex_numIfES2_S2_S2_EEvbbT2_NS_24const_host_device_scalarIT6_EEPKT1_S9_PKS3_PKT3_PKT4_PT5_21rocsparse_index_base_b.uses_vcc, 1
	.set _ZN9rocsparseL21csrmvt_general_kernelILj256ELj8Eii21rocsparse_complex_numIfES2_S2_S2_EEvbbT2_NS_24const_host_device_scalarIT6_EEPKT1_S9_PKS3_PKT3_PKT4_PT5_21rocsparse_index_base_b.uses_flat_scratch, 0
	.set _ZN9rocsparseL21csrmvt_general_kernelILj256ELj8Eii21rocsparse_complex_numIfES2_S2_S2_EEvbbT2_NS_24const_host_device_scalarIT6_EEPKT1_S9_PKS3_PKT3_PKT4_PT5_21rocsparse_index_base_b.has_dyn_sized_stack, 0
	.set _ZN9rocsparseL21csrmvt_general_kernelILj256ELj8Eii21rocsparse_complex_numIfES2_S2_S2_EEvbbT2_NS_24const_host_device_scalarIT6_EEPKT1_S9_PKS3_PKT3_PKT4_PT5_21rocsparse_index_base_b.has_recursion, 0
	.set _ZN9rocsparseL21csrmvt_general_kernelILj256ELj8Eii21rocsparse_complex_numIfES2_S2_S2_EEvbbT2_NS_24const_host_device_scalarIT6_EEPKT1_S9_PKS3_PKT3_PKT4_PT5_21rocsparse_index_base_b.has_indirect_call, 0
	.section	.AMDGPU.csdata,"",@progbits
; Kernel info:
; codeLenInByte = 980
; TotalNumSgprs: 23
; NumVgprs: 15
; ScratchSize: 0
; MemoryBound: 0
; FloatMode: 240
; IeeeMode: 1
; LDSByteSize: 0 bytes/workgroup (compile time only)
; SGPRBlocks: 0
; VGPRBlocks: 0
; NumSGPRsForWavesPerEU: 23
; NumVGPRsForWavesPerEU: 15
; NamedBarCnt: 0
; Occupancy: 16
; WaveLimiterHint : 1
; COMPUTE_PGM_RSRC2:SCRATCH_EN: 0
; COMPUTE_PGM_RSRC2:USER_SGPR: 2
; COMPUTE_PGM_RSRC2:TRAP_HANDLER: 0
; COMPUTE_PGM_RSRC2:TGID_X_EN: 1
; COMPUTE_PGM_RSRC2:TGID_Y_EN: 0
; COMPUTE_PGM_RSRC2:TGID_Z_EN: 0
; COMPUTE_PGM_RSRC2:TIDIG_COMP_CNT: 0
	.section	.text._ZN9rocsparseL21csrmvt_general_kernelILj256ELj16Eii21rocsparse_complex_numIfES2_S2_S2_EEvbbT2_NS_24const_host_device_scalarIT6_EEPKT1_S9_PKS3_PKT3_PKT4_PT5_21rocsparse_index_base_b,"axG",@progbits,_ZN9rocsparseL21csrmvt_general_kernelILj256ELj16Eii21rocsparse_complex_numIfES2_S2_S2_EEvbbT2_NS_24const_host_device_scalarIT6_EEPKT1_S9_PKS3_PKT3_PKT4_PT5_21rocsparse_index_base_b,comdat
	.globl	_ZN9rocsparseL21csrmvt_general_kernelILj256ELj16Eii21rocsparse_complex_numIfES2_S2_S2_EEvbbT2_NS_24const_host_device_scalarIT6_EEPKT1_S9_PKS3_PKT3_PKT4_PT5_21rocsparse_index_base_b ; -- Begin function _ZN9rocsparseL21csrmvt_general_kernelILj256ELj16Eii21rocsparse_complex_numIfES2_S2_S2_EEvbbT2_NS_24const_host_device_scalarIT6_EEPKT1_S9_PKS3_PKT3_PKT4_PT5_21rocsparse_index_base_b
	.p2align	8
	.type	_ZN9rocsparseL21csrmvt_general_kernelILj256ELj16Eii21rocsparse_complex_numIfES2_S2_S2_EEvbbT2_NS_24const_host_device_scalarIT6_EEPKT1_S9_PKS3_PKT3_PKT4_PT5_21rocsparse_index_base_b,@function
_ZN9rocsparseL21csrmvt_general_kernelILj256ELj16Eii21rocsparse_complex_numIfES2_S2_S2_EEvbbT2_NS_24const_host_device_scalarIT6_EEPKT1_S9_PKS3_PKT3_PKT4_PT5_21rocsparse_index_base_b: ; @_ZN9rocsparseL21csrmvt_general_kernelILj256ELj16Eii21rocsparse_complex_numIfES2_S2_S2_EEvbbT2_NS_24const_host_device_scalarIT6_EEPKT1_S9_PKS3_PKT3_PKT4_PT5_21rocsparse_index_base_b
; %bb.0:
	s_clause 0x1
	s_load_b64 s[16:17], s[0:1], 0x40
	s_load_b128 s[12:15], s[0:1], 0x8
	v_mov_b32_e32 v1, 0
	s_add_nc_u64 s[2:3], s[0:1], 8
	s_wait_kmcnt 0x0
	s_bitcmp1_b32 s17, 0
	s_cselect_b32 s3, s3, s13
	s_cselect_b32 s2, s2, s12
	flat_load_b64 v[2:3], v1, s[2:3]
	s_wait_loadcnt_dscnt 0x0
	v_cmp_neq_f32_e32 vcc_lo, 0, v2
	v_cmp_neq_f32_e64 s2, 0, v3
	s_or_b32 s2, vcc_lo, s2
	s_delay_alu instid0(SALU_CYCLE_1)
	s_and_saveexec_b32 s3, s2
	s_cbranch_execz .LBB74_18
; %bb.1:
	s_clause 0x3
	s_load_b32 s4, s[0:1], 0x0
	s_load_b64 s[2:3], s[0:1], 0x0
	s_load_b32 s17, s[0:1], 0x48
	s_load_b64 s[12:13], s[0:1], 0x38
	s_getreg_b32 s19, hwreg(HW_REG_IB_STS2, 6, 4)
	v_and_b32_e32 v5, 15, v0
	s_wait_kmcnt 0x0
	s_and_b32 s18, s4, 1
	s_bitcmp1_b32 s2, 8
	s_load_b256 s[4:11], s[0:1], 0x18
	s_wait_xcnt 0x0
	s_cselect_b32 s1, -1, 0
	s_bfe_u32 s0, ttmp6, 0x4000c
	s_lshl_b32 s2, s17, 4
	s_add_co_i32 s0, s0, 1
	s_and_b32 s17, ttmp6, 15
	s_mul_i32 s0, ttmp9, s0
	s_delay_alu instid0(SALU_CYCLE_1)
	s_add_co_i32 s17, s17, s0
	s_cmp_eq_u32 s19, 0
	s_cselect_b32 s0, ttmp9, s17
	s_cmp_eq_u32 s18, 0
	v_lshl_or_b32 v1, s0, 8, v0
	s_mov_b32 s17, -1
	s_delay_alu instid0(VALU_DEP_1) | instskip(NEXT) | instid1(VALU_DEP_1)
	v_lshrrev_b32_e32 v4, 4, v1
	v_cmp_gt_i32_e64 s0, s3, v4
	s_cbranch_scc0 .LBB74_9
; %bb.2:
	s_and_saveexec_b32 s17, s0
	s_cbranch_execz .LBB74_8
; %bb.3:
	v_subrev_nc_u32_e32 v6, s16, v5
	v_mov_b32_e32 v0, v4
	s_mov_b32 s18, 0
	s_branch .LBB74_5
.LBB74_4:                               ;   in Loop: Header=BB74_5 Depth=1
	s_or_b32 exec_lo, exec_lo, s19
	v_add_nc_u32_e32 v0, s2, v0
	s_delay_alu instid0(VALU_DEP_1) | instskip(SKIP_1) | instid1(SALU_CYCLE_1)
	v_cmp_le_i32_e32 vcc_lo, s3, v0
	s_or_b32 s18, vcc_lo, s18
	s_and_not1_b32 exec_lo, exec_lo, s18
	s_cbranch_execz .LBB74_8
.LBB74_5:                               ; =>This Loop Header: Depth=1
                                        ;     Child Loop BB74_7 Depth 2
	s_wait_kmcnt 0x0
	s_clause 0x1
	global_load_b32 v1, v0, s[4:5] scale_offset
	global_load_b32 v8, v0, s[14:15] scale_offset
	s_mov_b32 s19, exec_lo
	s_wait_loadcnt 0x1
	v_subrev_nc_u32_e32 v7, s16, v1
	s_wait_loadcnt 0x0
	v_add_nc_u32_e32 v8, v8, v6
	s_wait_xcnt 0x0
	s_delay_alu instid0(VALU_DEP_1)
	v_cmpx_lt_i32_e64 v8, v7
	s_cbranch_execz .LBB74_4
; %bb.6:                                ;   in Loop: Header=BB74_5 Depth=1
	v_ashrrev_i32_e32 v1, 31, v0
	s_mov_b32 s20, 0
	s_delay_alu instid0(VALU_DEP_1) | instskip(SKIP_3) | instid1(VALU_DEP_1)
	v_lshl_add_u64 v[10:11], v[0:1], 3, s[10:11]
	global_load_b64 v[10:11], v[10:11], off
	s_wait_loadcnt 0x0
	v_mul_f32_e64 v1, v11, -v3
	v_dual_mul_f32 v9, v2, v11 :: v_dual_fmac_f32 v1, v2, v10
	s_delay_alu instid0(VALU_DEP_1)
	v_fmac_f32_e32 v9, v3, v10
.LBB74_7:                               ;   Parent Loop BB74_5 Depth=1
                                        ; =>  This Inner Loop Header: Depth=2
	s_clause 0x1
	global_load_b32 v12, v8, s[6:7] scale_offset
	global_load_b64 v[10:11], v8, s[8:9] scale_offset
	s_wait_xcnt 0x0
	v_add_nc_u32_e32 v8, 16, v8
	s_delay_alu instid0(VALU_DEP_1) | instskip(SKIP_4) | instid1(VALU_DEP_1)
	v_cmp_ge_i32_e32 vcc_lo, v8, v7
	s_or_b32 s20, vcc_lo, s20
	s_wait_loadcnt 0x1
	v_subrev_nc_u32_e32 v12, s16, v12
	s_wait_loadcnt 0x0
	v_dual_cndmask_b32 v11, v11, -v11, s1 :: v_dual_ashrrev_i32 v13, 31, v12
	s_delay_alu instid0(VALU_DEP_1) | instskip(NEXT) | instid1(VALU_DEP_2)
	v_dual_mul_f32 v14, v11, -v9 :: v_dual_mul_f32 v11, v1, v11
	v_lshl_add_u64 v[12:13], v[12:13], 3, s[12:13]
	s_delay_alu instid0(VALU_DEP_2) | instskip(NEXT) | instid1(VALU_DEP_3)
	v_fmac_f32_e32 v14, v1, v10
	v_fmac_f32_e32 v11, v9, v10
	global_atomic_add_f32 v[12:13], v14, off scope:SCOPE_DEV
	s_wait_xcnt 0x0
	global_atomic_add_f32 v[12:13], v11, off offset:4 scope:SCOPE_DEV
	s_wait_xcnt 0x0
	s_and_not1_b32 exec_lo, exec_lo, s20
	s_cbranch_execnz .LBB74_7
	s_branch .LBB74_4
.LBB74_8:
	s_or_b32 exec_lo, exec_lo, s17
	s_mov_b32 s17, 0
.LBB74_9:
	s_delay_alu instid0(SALU_CYCLE_1)
	s_and_not1_b32 vcc_lo, exec_lo, s17
	s_cbranch_vccnz .LBB74_18
; %bb.10:
	s_and_b32 exec_lo, exec_lo, s0
	s_cbranch_execz .LBB74_18
; %bb.11:
	v_subrev_nc_u32_e32 v8, s16, v5
	s_mov_b32 s0, 0
	s_branch .LBB74_13
.LBB74_12:                              ;   in Loop: Header=BB74_13 Depth=1
	s_or_b32 exec_lo, exec_lo, s17
	v_add_nc_u32_e32 v4, s2, v4
	s_delay_alu instid0(VALU_DEP_1) | instskip(SKIP_1) | instid1(SALU_CYCLE_1)
	v_cmp_le_i32_e32 vcc_lo, s3, v4
	s_or_b32 s0, vcc_lo, s0
	s_and_not1_b32 exec_lo, exec_lo, s0
	s_cbranch_execz .LBB74_18
.LBB74_13:                              ; =>This Loop Header: Depth=1
                                        ;     Child Loop BB74_16 Depth 2
	s_wait_kmcnt 0x0
	s_clause 0x1
	global_load_b32 v0, v4, s[4:5] scale_offset
	global_load_b32 v1, v4, s[14:15] scale_offset
	s_mov_b32 s17, exec_lo
	s_wait_loadcnt 0x1
	v_subrev_nc_u32_e32 v9, s16, v0
	s_wait_loadcnt 0x0
	v_add_nc_u32_e32 v0, v1, v8
	s_wait_xcnt 0x0
	s_delay_alu instid0(VALU_DEP_1)
	v_cmpx_lt_i32_e64 v0, v9
	s_cbranch_execz .LBB74_12
; %bb.14:                               ;   in Loop: Header=BB74_13 Depth=1
	v_ashrrev_i32_e32 v5, 31, v4
	s_mov_b32 s18, 0
	s_delay_alu instid0(VALU_DEP_1) | instskip(SKIP_3) | instid1(VALU_DEP_1)
	v_lshl_add_u64 v[6:7], v[4:5], 3, s[10:11]
	global_load_b64 v[6:7], v[6:7], off
	s_wait_loadcnt 0x0
	v_mul_f32_e64 v5, v7, -v3
	v_dual_mul_f32 v10, v2, v7 :: v_dual_fmac_f32 v5, v2, v6
	s_delay_alu instid0(VALU_DEP_1)
	v_fmac_f32_e32 v10, v3, v6
	s_branch .LBB74_16
.LBB74_15:                              ;   in Loop: Header=BB74_16 Depth=2
	s_wait_xcnt 0x0
	s_or_b32 exec_lo, exec_lo, s19
	v_add_nc_u32_e32 v0, 16, v0
	s_delay_alu instid0(VALU_DEP_1) | instskip(SKIP_1) | instid1(SALU_CYCLE_1)
	v_cmp_ge_i32_e32 vcc_lo, v0, v9
	s_or_b32 s18, vcc_lo, s18
	s_and_not1_b32 exec_lo, exec_lo, s18
	s_cbranch_execz .LBB74_12
.LBB74_16:                              ;   Parent Loop BB74_13 Depth=1
                                        ; =>  This Inner Loop Header: Depth=2
	global_load_b32 v1, v0, s[6:7] scale_offset
	s_mov_b32 s19, exec_lo
	s_wait_loadcnt 0x0
	s_wait_xcnt 0x1
	v_subrev_nc_u32_e32 v6, s16, v1
	v_ashrrev_i32_e32 v1, 31, v0
	s_wait_xcnt 0x0
	s_delay_alu instid0(VALU_DEP_2)
	v_cmpx_ne_u32_e64 v6, v4
	s_cbranch_execz .LBB74_15
; %bb.17:                               ;   in Loop: Header=BB74_16 Depth=2
	s_delay_alu instid0(VALU_DEP_2)
	v_lshl_add_u64 v[12:13], v[0:1], 3, s[8:9]
	v_ashrrev_i32_e32 v7, 31, v6
	global_load_b64 v[12:13], v[12:13], off
	v_lshl_add_u64 v[6:7], v[6:7], 3, s[12:13]
	s_wait_loadcnt 0x0
	v_cndmask_b32_e64 v1, v13, -v13, s1
	s_delay_alu instid0(VALU_DEP_1) | instskip(SKIP_1) | instid1(VALU_DEP_1)
	v_mul_f32_e64 v11, v1, -v10
	v_mul_f32_e32 v1, v5, v1
	v_dual_fmac_f32 v1, v10, v12 :: v_dual_fmac_f32 v11, v5, v12
	s_wait_xcnt 0x0
	global_atomic_add_f32 v[6:7], v11, off scope:SCOPE_DEV
	s_wait_xcnt 0x0
	global_atomic_add_f32 v[6:7], v1, off offset:4 scope:SCOPE_DEV
	s_branch .LBB74_15
.LBB74_18:
	s_endpgm
	.section	.rodata,"a",@progbits
	.p2align	6, 0x0
	.amdhsa_kernel _ZN9rocsparseL21csrmvt_general_kernelILj256ELj16Eii21rocsparse_complex_numIfES2_S2_S2_EEvbbT2_NS_24const_host_device_scalarIT6_EEPKT1_S9_PKS3_PKT3_PKT4_PT5_21rocsparse_index_base_b
		.amdhsa_group_segment_fixed_size 0
		.amdhsa_private_segment_fixed_size 0
		.amdhsa_kernarg_size 328
		.amdhsa_user_sgpr_count 2
		.amdhsa_user_sgpr_dispatch_ptr 0
		.amdhsa_user_sgpr_queue_ptr 0
		.amdhsa_user_sgpr_kernarg_segment_ptr 1
		.amdhsa_user_sgpr_dispatch_id 0
		.amdhsa_user_sgpr_kernarg_preload_length 0
		.amdhsa_user_sgpr_kernarg_preload_offset 0
		.amdhsa_user_sgpr_private_segment_size 0
		.amdhsa_wavefront_size32 1
		.amdhsa_uses_dynamic_stack 0
		.amdhsa_enable_private_segment 0
		.amdhsa_system_sgpr_workgroup_id_x 1
		.amdhsa_system_sgpr_workgroup_id_y 0
		.amdhsa_system_sgpr_workgroup_id_z 0
		.amdhsa_system_sgpr_workgroup_info 0
		.amdhsa_system_vgpr_workitem_id 0
		.amdhsa_next_free_vgpr 15
		.amdhsa_next_free_sgpr 21
		.amdhsa_named_barrier_count 0
		.amdhsa_reserve_vcc 1
		.amdhsa_float_round_mode_32 0
		.amdhsa_float_round_mode_16_64 0
		.amdhsa_float_denorm_mode_32 3
		.amdhsa_float_denorm_mode_16_64 3
		.amdhsa_fp16_overflow 0
		.amdhsa_memory_ordered 1
		.amdhsa_forward_progress 1
		.amdhsa_inst_pref_size 8
		.amdhsa_round_robin_scheduling 0
		.amdhsa_exception_fp_ieee_invalid_op 0
		.amdhsa_exception_fp_denorm_src 0
		.amdhsa_exception_fp_ieee_div_zero 0
		.amdhsa_exception_fp_ieee_overflow 0
		.amdhsa_exception_fp_ieee_underflow 0
		.amdhsa_exception_fp_ieee_inexact 0
		.amdhsa_exception_int_div_zero 0
	.end_amdhsa_kernel
	.section	.text._ZN9rocsparseL21csrmvt_general_kernelILj256ELj16Eii21rocsparse_complex_numIfES2_S2_S2_EEvbbT2_NS_24const_host_device_scalarIT6_EEPKT1_S9_PKS3_PKT3_PKT4_PT5_21rocsparse_index_base_b,"axG",@progbits,_ZN9rocsparseL21csrmvt_general_kernelILj256ELj16Eii21rocsparse_complex_numIfES2_S2_S2_EEvbbT2_NS_24const_host_device_scalarIT6_EEPKT1_S9_PKS3_PKT3_PKT4_PT5_21rocsparse_index_base_b,comdat
.Lfunc_end74:
	.size	_ZN9rocsparseL21csrmvt_general_kernelILj256ELj16Eii21rocsparse_complex_numIfES2_S2_S2_EEvbbT2_NS_24const_host_device_scalarIT6_EEPKT1_S9_PKS3_PKT3_PKT4_PT5_21rocsparse_index_base_b, .Lfunc_end74-_ZN9rocsparseL21csrmvt_general_kernelILj256ELj16Eii21rocsparse_complex_numIfES2_S2_S2_EEvbbT2_NS_24const_host_device_scalarIT6_EEPKT1_S9_PKS3_PKT3_PKT4_PT5_21rocsparse_index_base_b
                                        ; -- End function
	.set _ZN9rocsparseL21csrmvt_general_kernelILj256ELj16Eii21rocsparse_complex_numIfES2_S2_S2_EEvbbT2_NS_24const_host_device_scalarIT6_EEPKT1_S9_PKS3_PKT3_PKT4_PT5_21rocsparse_index_base_b.num_vgpr, 15
	.set _ZN9rocsparseL21csrmvt_general_kernelILj256ELj16Eii21rocsparse_complex_numIfES2_S2_S2_EEvbbT2_NS_24const_host_device_scalarIT6_EEPKT1_S9_PKS3_PKT3_PKT4_PT5_21rocsparse_index_base_b.num_agpr, 0
	.set _ZN9rocsparseL21csrmvt_general_kernelILj256ELj16Eii21rocsparse_complex_numIfES2_S2_S2_EEvbbT2_NS_24const_host_device_scalarIT6_EEPKT1_S9_PKS3_PKT3_PKT4_PT5_21rocsparse_index_base_b.numbered_sgpr, 21
	.set _ZN9rocsparseL21csrmvt_general_kernelILj256ELj16Eii21rocsparse_complex_numIfES2_S2_S2_EEvbbT2_NS_24const_host_device_scalarIT6_EEPKT1_S9_PKS3_PKT3_PKT4_PT5_21rocsparse_index_base_b.num_named_barrier, 0
	.set _ZN9rocsparseL21csrmvt_general_kernelILj256ELj16Eii21rocsparse_complex_numIfES2_S2_S2_EEvbbT2_NS_24const_host_device_scalarIT6_EEPKT1_S9_PKS3_PKT3_PKT4_PT5_21rocsparse_index_base_b.private_seg_size, 0
	.set _ZN9rocsparseL21csrmvt_general_kernelILj256ELj16Eii21rocsparse_complex_numIfES2_S2_S2_EEvbbT2_NS_24const_host_device_scalarIT6_EEPKT1_S9_PKS3_PKT3_PKT4_PT5_21rocsparse_index_base_b.uses_vcc, 1
	.set _ZN9rocsparseL21csrmvt_general_kernelILj256ELj16Eii21rocsparse_complex_numIfES2_S2_S2_EEvbbT2_NS_24const_host_device_scalarIT6_EEPKT1_S9_PKS3_PKT3_PKT4_PT5_21rocsparse_index_base_b.uses_flat_scratch, 0
	.set _ZN9rocsparseL21csrmvt_general_kernelILj256ELj16Eii21rocsparse_complex_numIfES2_S2_S2_EEvbbT2_NS_24const_host_device_scalarIT6_EEPKT1_S9_PKS3_PKT3_PKT4_PT5_21rocsparse_index_base_b.has_dyn_sized_stack, 0
	.set _ZN9rocsparseL21csrmvt_general_kernelILj256ELj16Eii21rocsparse_complex_numIfES2_S2_S2_EEvbbT2_NS_24const_host_device_scalarIT6_EEPKT1_S9_PKS3_PKT3_PKT4_PT5_21rocsparse_index_base_b.has_recursion, 0
	.set _ZN9rocsparseL21csrmvt_general_kernelILj256ELj16Eii21rocsparse_complex_numIfES2_S2_S2_EEvbbT2_NS_24const_host_device_scalarIT6_EEPKT1_S9_PKS3_PKT3_PKT4_PT5_21rocsparse_index_base_b.has_indirect_call, 0
	.section	.AMDGPU.csdata,"",@progbits
; Kernel info:
; codeLenInByte = 980
; TotalNumSgprs: 23
; NumVgprs: 15
; ScratchSize: 0
; MemoryBound: 0
; FloatMode: 240
; IeeeMode: 1
; LDSByteSize: 0 bytes/workgroup (compile time only)
; SGPRBlocks: 0
; VGPRBlocks: 0
; NumSGPRsForWavesPerEU: 23
; NumVGPRsForWavesPerEU: 15
; NamedBarCnt: 0
; Occupancy: 16
; WaveLimiterHint : 1
; COMPUTE_PGM_RSRC2:SCRATCH_EN: 0
; COMPUTE_PGM_RSRC2:USER_SGPR: 2
; COMPUTE_PGM_RSRC2:TRAP_HANDLER: 0
; COMPUTE_PGM_RSRC2:TGID_X_EN: 1
; COMPUTE_PGM_RSRC2:TGID_Y_EN: 0
; COMPUTE_PGM_RSRC2:TGID_Z_EN: 0
; COMPUTE_PGM_RSRC2:TIDIG_COMP_CNT: 0
	.section	.text._ZN9rocsparseL21csrmvt_general_kernelILj256ELj32Eii21rocsparse_complex_numIfES2_S2_S2_EEvbbT2_NS_24const_host_device_scalarIT6_EEPKT1_S9_PKS3_PKT3_PKT4_PT5_21rocsparse_index_base_b,"axG",@progbits,_ZN9rocsparseL21csrmvt_general_kernelILj256ELj32Eii21rocsparse_complex_numIfES2_S2_S2_EEvbbT2_NS_24const_host_device_scalarIT6_EEPKT1_S9_PKS3_PKT3_PKT4_PT5_21rocsparse_index_base_b,comdat
	.globl	_ZN9rocsparseL21csrmvt_general_kernelILj256ELj32Eii21rocsparse_complex_numIfES2_S2_S2_EEvbbT2_NS_24const_host_device_scalarIT6_EEPKT1_S9_PKS3_PKT3_PKT4_PT5_21rocsparse_index_base_b ; -- Begin function _ZN9rocsparseL21csrmvt_general_kernelILj256ELj32Eii21rocsparse_complex_numIfES2_S2_S2_EEvbbT2_NS_24const_host_device_scalarIT6_EEPKT1_S9_PKS3_PKT3_PKT4_PT5_21rocsparse_index_base_b
	.p2align	8
	.type	_ZN9rocsparseL21csrmvt_general_kernelILj256ELj32Eii21rocsparse_complex_numIfES2_S2_S2_EEvbbT2_NS_24const_host_device_scalarIT6_EEPKT1_S9_PKS3_PKT3_PKT4_PT5_21rocsparse_index_base_b,@function
_ZN9rocsparseL21csrmvt_general_kernelILj256ELj32Eii21rocsparse_complex_numIfES2_S2_S2_EEvbbT2_NS_24const_host_device_scalarIT6_EEPKT1_S9_PKS3_PKT3_PKT4_PT5_21rocsparse_index_base_b: ; @_ZN9rocsparseL21csrmvt_general_kernelILj256ELj32Eii21rocsparse_complex_numIfES2_S2_S2_EEvbbT2_NS_24const_host_device_scalarIT6_EEPKT1_S9_PKS3_PKT3_PKT4_PT5_21rocsparse_index_base_b
; %bb.0:
	s_clause 0x1
	s_load_b64 s[16:17], s[0:1], 0x40
	s_load_b128 s[12:15], s[0:1], 0x8
	v_mov_b32_e32 v1, 0
	s_add_nc_u64 s[2:3], s[0:1], 8
	s_wait_kmcnt 0x0
	s_bitcmp1_b32 s17, 0
	s_cselect_b32 s3, s3, s13
	s_cselect_b32 s2, s2, s12
	flat_load_b64 v[2:3], v1, s[2:3]
	s_wait_loadcnt_dscnt 0x0
	v_cmp_neq_f32_e32 vcc_lo, 0, v2
	v_cmp_neq_f32_e64 s2, 0, v3
	s_or_b32 s2, vcc_lo, s2
	s_delay_alu instid0(SALU_CYCLE_1)
	s_and_saveexec_b32 s3, s2
	s_cbranch_execz .LBB75_18
; %bb.1:
	s_clause 0x3
	s_load_b32 s4, s[0:1], 0x0
	s_load_b64 s[2:3], s[0:1], 0x0
	s_load_b32 s17, s[0:1], 0x48
	s_load_b64 s[12:13], s[0:1], 0x38
	s_getreg_b32 s19, hwreg(HW_REG_IB_STS2, 6, 4)
	v_and_b32_e32 v5, 31, v0
	s_wait_kmcnt 0x0
	s_and_b32 s18, s4, 1
	s_bitcmp1_b32 s2, 8
	s_load_b256 s[4:11], s[0:1], 0x18
	s_wait_xcnt 0x0
	s_cselect_b32 s1, -1, 0
	s_bfe_u32 s0, ttmp6, 0x4000c
	s_lshl_b32 s2, s17, 3
	s_add_co_i32 s0, s0, 1
	s_and_b32 s17, ttmp6, 15
	s_mul_i32 s0, ttmp9, s0
	s_delay_alu instid0(SALU_CYCLE_1)
	s_add_co_i32 s17, s17, s0
	s_cmp_eq_u32 s19, 0
	s_cselect_b32 s0, ttmp9, s17
	s_cmp_eq_u32 s18, 0
	v_lshl_or_b32 v1, s0, 8, v0
	s_mov_b32 s17, -1
	s_delay_alu instid0(VALU_DEP_1) | instskip(NEXT) | instid1(VALU_DEP_1)
	v_lshrrev_b32_e32 v4, 5, v1
	v_cmp_gt_i32_e64 s0, s3, v4
	s_cbranch_scc0 .LBB75_9
; %bb.2:
	s_and_saveexec_b32 s17, s0
	s_cbranch_execz .LBB75_8
; %bb.3:
	v_subrev_nc_u32_e32 v6, s16, v5
	v_mov_b32_e32 v0, v4
	s_mov_b32 s18, 0
	s_branch .LBB75_5
.LBB75_4:                               ;   in Loop: Header=BB75_5 Depth=1
	s_or_b32 exec_lo, exec_lo, s19
	v_add_nc_u32_e32 v0, s2, v0
	s_delay_alu instid0(VALU_DEP_1) | instskip(SKIP_1) | instid1(SALU_CYCLE_1)
	v_cmp_le_i32_e32 vcc_lo, s3, v0
	s_or_b32 s18, vcc_lo, s18
	s_and_not1_b32 exec_lo, exec_lo, s18
	s_cbranch_execz .LBB75_8
.LBB75_5:                               ; =>This Loop Header: Depth=1
                                        ;     Child Loop BB75_7 Depth 2
	s_wait_kmcnt 0x0
	s_clause 0x1
	global_load_b32 v1, v0, s[4:5] scale_offset
	global_load_b32 v8, v0, s[14:15] scale_offset
	s_mov_b32 s19, exec_lo
	s_wait_loadcnt 0x1
	v_subrev_nc_u32_e32 v7, s16, v1
	s_wait_loadcnt 0x0
	v_add_nc_u32_e32 v8, v8, v6
	s_wait_xcnt 0x0
	s_delay_alu instid0(VALU_DEP_1)
	v_cmpx_lt_i32_e64 v8, v7
	s_cbranch_execz .LBB75_4
; %bb.6:                                ;   in Loop: Header=BB75_5 Depth=1
	v_ashrrev_i32_e32 v1, 31, v0
	s_mov_b32 s20, 0
	s_delay_alu instid0(VALU_DEP_1) | instskip(SKIP_3) | instid1(VALU_DEP_1)
	v_lshl_add_u64 v[10:11], v[0:1], 3, s[10:11]
	global_load_b64 v[10:11], v[10:11], off
	s_wait_loadcnt 0x0
	v_mul_f32_e64 v1, v11, -v3
	v_dual_mul_f32 v9, v2, v11 :: v_dual_fmac_f32 v1, v2, v10
	s_delay_alu instid0(VALU_DEP_1)
	v_fmac_f32_e32 v9, v3, v10
.LBB75_7:                               ;   Parent Loop BB75_5 Depth=1
                                        ; =>  This Inner Loop Header: Depth=2
	s_clause 0x1
	global_load_b32 v12, v8, s[6:7] scale_offset
	global_load_b64 v[10:11], v8, s[8:9] scale_offset
	s_wait_xcnt 0x0
	v_add_nc_u32_e32 v8, 32, v8
	s_delay_alu instid0(VALU_DEP_1) | instskip(SKIP_4) | instid1(VALU_DEP_1)
	v_cmp_ge_i32_e32 vcc_lo, v8, v7
	s_or_b32 s20, vcc_lo, s20
	s_wait_loadcnt 0x1
	v_subrev_nc_u32_e32 v12, s16, v12
	s_wait_loadcnt 0x0
	v_dual_cndmask_b32 v11, v11, -v11, s1 :: v_dual_ashrrev_i32 v13, 31, v12
	s_delay_alu instid0(VALU_DEP_1) | instskip(NEXT) | instid1(VALU_DEP_2)
	v_dual_mul_f32 v14, v11, -v9 :: v_dual_mul_f32 v11, v1, v11
	v_lshl_add_u64 v[12:13], v[12:13], 3, s[12:13]
	s_delay_alu instid0(VALU_DEP_2) | instskip(NEXT) | instid1(VALU_DEP_3)
	v_fmac_f32_e32 v14, v1, v10
	v_fmac_f32_e32 v11, v9, v10
	global_atomic_add_f32 v[12:13], v14, off scope:SCOPE_DEV
	s_wait_xcnt 0x0
	global_atomic_add_f32 v[12:13], v11, off offset:4 scope:SCOPE_DEV
	s_wait_xcnt 0x0
	s_and_not1_b32 exec_lo, exec_lo, s20
	s_cbranch_execnz .LBB75_7
	s_branch .LBB75_4
.LBB75_8:
	s_or_b32 exec_lo, exec_lo, s17
	s_mov_b32 s17, 0
.LBB75_9:
	s_delay_alu instid0(SALU_CYCLE_1)
	s_and_not1_b32 vcc_lo, exec_lo, s17
	s_cbranch_vccnz .LBB75_18
; %bb.10:
	s_and_b32 exec_lo, exec_lo, s0
	s_cbranch_execz .LBB75_18
; %bb.11:
	v_subrev_nc_u32_e32 v8, s16, v5
	s_mov_b32 s0, 0
	s_branch .LBB75_13
.LBB75_12:                              ;   in Loop: Header=BB75_13 Depth=1
	s_or_b32 exec_lo, exec_lo, s17
	v_add_nc_u32_e32 v4, s2, v4
	s_delay_alu instid0(VALU_DEP_1) | instskip(SKIP_1) | instid1(SALU_CYCLE_1)
	v_cmp_le_i32_e32 vcc_lo, s3, v4
	s_or_b32 s0, vcc_lo, s0
	s_and_not1_b32 exec_lo, exec_lo, s0
	s_cbranch_execz .LBB75_18
.LBB75_13:                              ; =>This Loop Header: Depth=1
                                        ;     Child Loop BB75_16 Depth 2
	s_wait_kmcnt 0x0
	s_clause 0x1
	global_load_b32 v0, v4, s[4:5] scale_offset
	global_load_b32 v1, v4, s[14:15] scale_offset
	s_mov_b32 s17, exec_lo
	s_wait_loadcnt 0x1
	v_subrev_nc_u32_e32 v9, s16, v0
	s_wait_loadcnt 0x0
	v_add_nc_u32_e32 v0, v1, v8
	s_wait_xcnt 0x0
	s_delay_alu instid0(VALU_DEP_1)
	v_cmpx_lt_i32_e64 v0, v9
	s_cbranch_execz .LBB75_12
; %bb.14:                               ;   in Loop: Header=BB75_13 Depth=1
	v_ashrrev_i32_e32 v5, 31, v4
	s_mov_b32 s18, 0
	s_delay_alu instid0(VALU_DEP_1) | instskip(SKIP_3) | instid1(VALU_DEP_1)
	v_lshl_add_u64 v[6:7], v[4:5], 3, s[10:11]
	global_load_b64 v[6:7], v[6:7], off
	s_wait_loadcnt 0x0
	v_mul_f32_e64 v5, v7, -v3
	v_dual_mul_f32 v10, v2, v7 :: v_dual_fmac_f32 v5, v2, v6
	s_delay_alu instid0(VALU_DEP_1)
	v_fmac_f32_e32 v10, v3, v6
	s_branch .LBB75_16
.LBB75_15:                              ;   in Loop: Header=BB75_16 Depth=2
	s_wait_xcnt 0x0
	s_or_b32 exec_lo, exec_lo, s19
	v_add_nc_u32_e32 v0, 32, v0
	s_delay_alu instid0(VALU_DEP_1) | instskip(SKIP_1) | instid1(SALU_CYCLE_1)
	v_cmp_ge_i32_e32 vcc_lo, v0, v9
	s_or_b32 s18, vcc_lo, s18
	s_and_not1_b32 exec_lo, exec_lo, s18
	s_cbranch_execz .LBB75_12
.LBB75_16:                              ;   Parent Loop BB75_13 Depth=1
                                        ; =>  This Inner Loop Header: Depth=2
	global_load_b32 v1, v0, s[6:7] scale_offset
	s_mov_b32 s19, exec_lo
	s_wait_loadcnt 0x0
	s_wait_xcnt 0x1
	v_subrev_nc_u32_e32 v6, s16, v1
	v_ashrrev_i32_e32 v1, 31, v0
	s_wait_xcnt 0x0
	s_delay_alu instid0(VALU_DEP_2)
	v_cmpx_ne_u32_e64 v6, v4
	s_cbranch_execz .LBB75_15
; %bb.17:                               ;   in Loop: Header=BB75_16 Depth=2
	s_delay_alu instid0(VALU_DEP_2)
	v_lshl_add_u64 v[12:13], v[0:1], 3, s[8:9]
	v_ashrrev_i32_e32 v7, 31, v6
	global_load_b64 v[12:13], v[12:13], off
	v_lshl_add_u64 v[6:7], v[6:7], 3, s[12:13]
	s_wait_loadcnt 0x0
	v_cndmask_b32_e64 v1, v13, -v13, s1
	s_delay_alu instid0(VALU_DEP_1) | instskip(SKIP_1) | instid1(VALU_DEP_1)
	v_mul_f32_e64 v11, v1, -v10
	v_mul_f32_e32 v1, v5, v1
	v_dual_fmac_f32 v1, v10, v12 :: v_dual_fmac_f32 v11, v5, v12
	s_wait_xcnt 0x0
	global_atomic_add_f32 v[6:7], v11, off scope:SCOPE_DEV
	s_wait_xcnt 0x0
	global_atomic_add_f32 v[6:7], v1, off offset:4 scope:SCOPE_DEV
	s_branch .LBB75_15
.LBB75_18:
	s_endpgm
	.section	.rodata,"a",@progbits
	.p2align	6, 0x0
	.amdhsa_kernel _ZN9rocsparseL21csrmvt_general_kernelILj256ELj32Eii21rocsparse_complex_numIfES2_S2_S2_EEvbbT2_NS_24const_host_device_scalarIT6_EEPKT1_S9_PKS3_PKT3_PKT4_PT5_21rocsparse_index_base_b
		.amdhsa_group_segment_fixed_size 0
		.amdhsa_private_segment_fixed_size 0
		.amdhsa_kernarg_size 328
		.amdhsa_user_sgpr_count 2
		.amdhsa_user_sgpr_dispatch_ptr 0
		.amdhsa_user_sgpr_queue_ptr 0
		.amdhsa_user_sgpr_kernarg_segment_ptr 1
		.amdhsa_user_sgpr_dispatch_id 0
		.amdhsa_user_sgpr_kernarg_preload_length 0
		.amdhsa_user_sgpr_kernarg_preload_offset 0
		.amdhsa_user_sgpr_private_segment_size 0
		.amdhsa_wavefront_size32 1
		.amdhsa_uses_dynamic_stack 0
		.amdhsa_enable_private_segment 0
		.amdhsa_system_sgpr_workgroup_id_x 1
		.amdhsa_system_sgpr_workgroup_id_y 0
		.amdhsa_system_sgpr_workgroup_id_z 0
		.amdhsa_system_sgpr_workgroup_info 0
		.amdhsa_system_vgpr_workitem_id 0
		.amdhsa_next_free_vgpr 15
		.amdhsa_next_free_sgpr 21
		.amdhsa_named_barrier_count 0
		.amdhsa_reserve_vcc 1
		.amdhsa_float_round_mode_32 0
		.amdhsa_float_round_mode_16_64 0
		.amdhsa_float_denorm_mode_32 3
		.amdhsa_float_denorm_mode_16_64 3
		.amdhsa_fp16_overflow 0
		.amdhsa_memory_ordered 1
		.amdhsa_forward_progress 1
		.amdhsa_inst_pref_size 8
		.amdhsa_round_robin_scheduling 0
		.amdhsa_exception_fp_ieee_invalid_op 0
		.amdhsa_exception_fp_denorm_src 0
		.amdhsa_exception_fp_ieee_div_zero 0
		.amdhsa_exception_fp_ieee_overflow 0
		.amdhsa_exception_fp_ieee_underflow 0
		.amdhsa_exception_fp_ieee_inexact 0
		.amdhsa_exception_int_div_zero 0
	.end_amdhsa_kernel
	.section	.text._ZN9rocsparseL21csrmvt_general_kernelILj256ELj32Eii21rocsparse_complex_numIfES2_S2_S2_EEvbbT2_NS_24const_host_device_scalarIT6_EEPKT1_S9_PKS3_PKT3_PKT4_PT5_21rocsparse_index_base_b,"axG",@progbits,_ZN9rocsparseL21csrmvt_general_kernelILj256ELj32Eii21rocsparse_complex_numIfES2_S2_S2_EEvbbT2_NS_24const_host_device_scalarIT6_EEPKT1_S9_PKS3_PKT3_PKT4_PT5_21rocsparse_index_base_b,comdat
.Lfunc_end75:
	.size	_ZN9rocsparseL21csrmvt_general_kernelILj256ELj32Eii21rocsparse_complex_numIfES2_S2_S2_EEvbbT2_NS_24const_host_device_scalarIT6_EEPKT1_S9_PKS3_PKT3_PKT4_PT5_21rocsparse_index_base_b, .Lfunc_end75-_ZN9rocsparseL21csrmvt_general_kernelILj256ELj32Eii21rocsparse_complex_numIfES2_S2_S2_EEvbbT2_NS_24const_host_device_scalarIT6_EEPKT1_S9_PKS3_PKT3_PKT4_PT5_21rocsparse_index_base_b
                                        ; -- End function
	.set _ZN9rocsparseL21csrmvt_general_kernelILj256ELj32Eii21rocsparse_complex_numIfES2_S2_S2_EEvbbT2_NS_24const_host_device_scalarIT6_EEPKT1_S9_PKS3_PKT3_PKT4_PT5_21rocsparse_index_base_b.num_vgpr, 15
	.set _ZN9rocsparseL21csrmvt_general_kernelILj256ELj32Eii21rocsparse_complex_numIfES2_S2_S2_EEvbbT2_NS_24const_host_device_scalarIT6_EEPKT1_S9_PKS3_PKT3_PKT4_PT5_21rocsparse_index_base_b.num_agpr, 0
	.set _ZN9rocsparseL21csrmvt_general_kernelILj256ELj32Eii21rocsparse_complex_numIfES2_S2_S2_EEvbbT2_NS_24const_host_device_scalarIT6_EEPKT1_S9_PKS3_PKT3_PKT4_PT5_21rocsparse_index_base_b.numbered_sgpr, 21
	.set _ZN9rocsparseL21csrmvt_general_kernelILj256ELj32Eii21rocsparse_complex_numIfES2_S2_S2_EEvbbT2_NS_24const_host_device_scalarIT6_EEPKT1_S9_PKS3_PKT3_PKT4_PT5_21rocsparse_index_base_b.num_named_barrier, 0
	.set _ZN9rocsparseL21csrmvt_general_kernelILj256ELj32Eii21rocsparse_complex_numIfES2_S2_S2_EEvbbT2_NS_24const_host_device_scalarIT6_EEPKT1_S9_PKS3_PKT3_PKT4_PT5_21rocsparse_index_base_b.private_seg_size, 0
	.set _ZN9rocsparseL21csrmvt_general_kernelILj256ELj32Eii21rocsparse_complex_numIfES2_S2_S2_EEvbbT2_NS_24const_host_device_scalarIT6_EEPKT1_S9_PKS3_PKT3_PKT4_PT5_21rocsparse_index_base_b.uses_vcc, 1
	.set _ZN9rocsparseL21csrmvt_general_kernelILj256ELj32Eii21rocsparse_complex_numIfES2_S2_S2_EEvbbT2_NS_24const_host_device_scalarIT6_EEPKT1_S9_PKS3_PKT3_PKT4_PT5_21rocsparse_index_base_b.uses_flat_scratch, 0
	.set _ZN9rocsparseL21csrmvt_general_kernelILj256ELj32Eii21rocsparse_complex_numIfES2_S2_S2_EEvbbT2_NS_24const_host_device_scalarIT6_EEPKT1_S9_PKS3_PKT3_PKT4_PT5_21rocsparse_index_base_b.has_dyn_sized_stack, 0
	.set _ZN9rocsparseL21csrmvt_general_kernelILj256ELj32Eii21rocsparse_complex_numIfES2_S2_S2_EEvbbT2_NS_24const_host_device_scalarIT6_EEPKT1_S9_PKS3_PKT3_PKT4_PT5_21rocsparse_index_base_b.has_recursion, 0
	.set _ZN9rocsparseL21csrmvt_general_kernelILj256ELj32Eii21rocsparse_complex_numIfES2_S2_S2_EEvbbT2_NS_24const_host_device_scalarIT6_EEPKT1_S9_PKS3_PKT3_PKT4_PT5_21rocsparse_index_base_b.has_indirect_call, 0
	.section	.AMDGPU.csdata,"",@progbits
; Kernel info:
; codeLenInByte = 980
; TotalNumSgprs: 23
; NumVgprs: 15
; ScratchSize: 0
; MemoryBound: 0
; FloatMode: 240
; IeeeMode: 1
; LDSByteSize: 0 bytes/workgroup (compile time only)
; SGPRBlocks: 0
; VGPRBlocks: 0
; NumSGPRsForWavesPerEU: 23
; NumVGPRsForWavesPerEU: 15
; NamedBarCnt: 0
; Occupancy: 16
; WaveLimiterHint : 1
; COMPUTE_PGM_RSRC2:SCRATCH_EN: 0
; COMPUTE_PGM_RSRC2:USER_SGPR: 2
; COMPUTE_PGM_RSRC2:TRAP_HANDLER: 0
; COMPUTE_PGM_RSRC2:TGID_X_EN: 1
; COMPUTE_PGM_RSRC2:TGID_Y_EN: 0
; COMPUTE_PGM_RSRC2:TGID_Z_EN: 0
; COMPUTE_PGM_RSRC2:TIDIG_COMP_CNT: 0
	.section	.text._ZN9rocsparseL21csrmvt_general_kernelILj256ELj64Eii21rocsparse_complex_numIfES2_S2_S2_EEvbbT2_NS_24const_host_device_scalarIT6_EEPKT1_S9_PKS3_PKT3_PKT4_PT5_21rocsparse_index_base_b,"axG",@progbits,_ZN9rocsparseL21csrmvt_general_kernelILj256ELj64Eii21rocsparse_complex_numIfES2_S2_S2_EEvbbT2_NS_24const_host_device_scalarIT6_EEPKT1_S9_PKS3_PKT3_PKT4_PT5_21rocsparse_index_base_b,comdat
	.globl	_ZN9rocsparseL21csrmvt_general_kernelILj256ELj64Eii21rocsparse_complex_numIfES2_S2_S2_EEvbbT2_NS_24const_host_device_scalarIT6_EEPKT1_S9_PKS3_PKT3_PKT4_PT5_21rocsparse_index_base_b ; -- Begin function _ZN9rocsparseL21csrmvt_general_kernelILj256ELj64Eii21rocsparse_complex_numIfES2_S2_S2_EEvbbT2_NS_24const_host_device_scalarIT6_EEPKT1_S9_PKS3_PKT3_PKT4_PT5_21rocsparse_index_base_b
	.p2align	8
	.type	_ZN9rocsparseL21csrmvt_general_kernelILj256ELj64Eii21rocsparse_complex_numIfES2_S2_S2_EEvbbT2_NS_24const_host_device_scalarIT6_EEPKT1_S9_PKS3_PKT3_PKT4_PT5_21rocsparse_index_base_b,@function
_ZN9rocsparseL21csrmvt_general_kernelILj256ELj64Eii21rocsparse_complex_numIfES2_S2_S2_EEvbbT2_NS_24const_host_device_scalarIT6_EEPKT1_S9_PKS3_PKT3_PKT4_PT5_21rocsparse_index_base_b: ; @_ZN9rocsparseL21csrmvt_general_kernelILj256ELj64Eii21rocsparse_complex_numIfES2_S2_S2_EEvbbT2_NS_24const_host_device_scalarIT6_EEPKT1_S9_PKS3_PKT3_PKT4_PT5_21rocsparse_index_base_b
; %bb.0:
	s_clause 0x1
	s_load_b64 s[16:17], s[0:1], 0x40
	s_load_b128 s[12:15], s[0:1], 0x8
	v_mov_b32_e32 v1, 0
	s_add_nc_u64 s[2:3], s[0:1], 8
	s_wait_kmcnt 0x0
	s_bitcmp1_b32 s17, 0
	s_cselect_b32 s3, s3, s13
	s_cselect_b32 s2, s2, s12
	flat_load_b64 v[2:3], v1, s[2:3]
	s_wait_loadcnt_dscnt 0x0
	v_cmp_neq_f32_e32 vcc_lo, 0, v2
	v_cmp_neq_f32_e64 s2, 0, v3
	s_or_b32 s2, vcc_lo, s2
	s_delay_alu instid0(SALU_CYCLE_1)
	s_and_saveexec_b32 s3, s2
	s_cbranch_execz .LBB76_18
; %bb.1:
	s_clause 0x3
	s_load_b32 s4, s[0:1], 0x0
	s_load_b64 s[2:3], s[0:1], 0x0
	s_load_b32 s17, s[0:1], 0x48
	s_load_b64 s[12:13], s[0:1], 0x38
	s_getreg_b32 s19, hwreg(HW_REG_IB_STS2, 6, 4)
	v_and_b32_e32 v5, 63, v0
	s_wait_kmcnt 0x0
	s_and_b32 s18, s4, 1
	s_bitcmp1_b32 s2, 8
	s_load_b256 s[4:11], s[0:1], 0x18
	s_wait_xcnt 0x0
	s_cselect_b32 s1, -1, 0
	s_bfe_u32 s0, ttmp6, 0x4000c
	s_lshl_b32 s2, s17, 2
	s_add_co_i32 s0, s0, 1
	s_and_b32 s17, ttmp6, 15
	s_mul_i32 s0, ttmp9, s0
	s_delay_alu instid0(SALU_CYCLE_1)
	s_add_co_i32 s17, s17, s0
	s_cmp_eq_u32 s19, 0
	s_cselect_b32 s0, ttmp9, s17
	s_cmp_eq_u32 s18, 0
	v_lshl_or_b32 v1, s0, 8, v0
	s_mov_b32 s17, -1
	s_delay_alu instid0(VALU_DEP_1) | instskip(NEXT) | instid1(VALU_DEP_1)
	v_lshrrev_b32_e32 v4, 6, v1
	v_cmp_gt_i32_e64 s0, s3, v4
	s_cbranch_scc0 .LBB76_9
; %bb.2:
	s_and_saveexec_b32 s17, s0
	s_cbranch_execz .LBB76_8
; %bb.3:
	v_subrev_nc_u32_e32 v6, s16, v5
	v_mov_b32_e32 v0, v4
	s_mov_b32 s18, 0
	s_branch .LBB76_5
.LBB76_4:                               ;   in Loop: Header=BB76_5 Depth=1
	s_or_b32 exec_lo, exec_lo, s19
	v_add_nc_u32_e32 v0, s2, v0
	s_delay_alu instid0(VALU_DEP_1) | instskip(SKIP_1) | instid1(SALU_CYCLE_1)
	v_cmp_le_i32_e32 vcc_lo, s3, v0
	s_or_b32 s18, vcc_lo, s18
	s_and_not1_b32 exec_lo, exec_lo, s18
	s_cbranch_execz .LBB76_8
.LBB76_5:                               ; =>This Loop Header: Depth=1
                                        ;     Child Loop BB76_7 Depth 2
	s_wait_kmcnt 0x0
	s_clause 0x1
	global_load_b32 v1, v0, s[4:5] scale_offset
	global_load_b32 v8, v0, s[14:15] scale_offset
	s_mov_b32 s19, exec_lo
	s_wait_loadcnt 0x1
	v_subrev_nc_u32_e32 v7, s16, v1
	s_wait_loadcnt 0x0
	v_add_nc_u32_e32 v8, v8, v6
	s_wait_xcnt 0x0
	s_delay_alu instid0(VALU_DEP_1)
	v_cmpx_lt_i32_e64 v8, v7
	s_cbranch_execz .LBB76_4
; %bb.6:                                ;   in Loop: Header=BB76_5 Depth=1
	v_ashrrev_i32_e32 v1, 31, v0
	s_mov_b32 s20, 0
	s_delay_alu instid0(VALU_DEP_1) | instskip(SKIP_3) | instid1(VALU_DEP_1)
	v_lshl_add_u64 v[10:11], v[0:1], 3, s[10:11]
	global_load_b64 v[10:11], v[10:11], off
	s_wait_loadcnt 0x0
	v_mul_f32_e64 v1, v11, -v3
	v_dual_mul_f32 v9, v2, v11 :: v_dual_fmac_f32 v1, v2, v10
	s_delay_alu instid0(VALU_DEP_1)
	v_fmac_f32_e32 v9, v3, v10
.LBB76_7:                               ;   Parent Loop BB76_5 Depth=1
                                        ; =>  This Inner Loop Header: Depth=2
	s_clause 0x1
	global_load_b32 v12, v8, s[6:7] scale_offset
	global_load_b64 v[10:11], v8, s[8:9] scale_offset
	s_wait_xcnt 0x0
	v_add_nc_u32_e32 v8, 64, v8
	s_delay_alu instid0(VALU_DEP_1) | instskip(SKIP_4) | instid1(VALU_DEP_1)
	v_cmp_ge_i32_e32 vcc_lo, v8, v7
	s_or_b32 s20, vcc_lo, s20
	s_wait_loadcnt 0x1
	v_subrev_nc_u32_e32 v12, s16, v12
	s_wait_loadcnt 0x0
	v_dual_cndmask_b32 v11, v11, -v11, s1 :: v_dual_ashrrev_i32 v13, 31, v12
	s_delay_alu instid0(VALU_DEP_1) | instskip(NEXT) | instid1(VALU_DEP_2)
	v_dual_mul_f32 v14, v11, -v9 :: v_dual_mul_f32 v11, v1, v11
	v_lshl_add_u64 v[12:13], v[12:13], 3, s[12:13]
	s_delay_alu instid0(VALU_DEP_2) | instskip(NEXT) | instid1(VALU_DEP_3)
	v_fmac_f32_e32 v14, v1, v10
	v_fmac_f32_e32 v11, v9, v10
	global_atomic_add_f32 v[12:13], v14, off scope:SCOPE_DEV
	s_wait_xcnt 0x0
	global_atomic_add_f32 v[12:13], v11, off offset:4 scope:SCOPE_DEV
	s_wait_xcnt 0x0
	s_and_not1_b32 exec_lo, exec_lo, s20
	s_cbranch_execnz .LBB76_7
	s_branch .LBB76_4
.LBB76_8:
	s_or_b32 exec_lo, exec_lo, s17
	s_mov_b32 s17, 0
.LBB76_9:
	s_delay_alu instid0(SALU_CYCLE_1)
	s_and_not1_b32 vcc_lo, exec_lo, s17
	s_cbranch_vccnz .LBB76_18
; %bb.10:
	s_and_b32 exec_lo, exec_lo, s0
	s_cbranch_execz .LBB76_18
; %bb.11:
	v_subrev_nc_u32_e32 v8, s16, v5
	s_mov_b32 s0, 0
	s_branch .LBB76_13
.LBB76_12:                              ;   in Loop: Header=BB76_13 Depth=1
	s_or_b32 exec_lo, exec_lo, s17
	v_add_nc_u32_e32 v4, s2, v4
	s_delay_alu instid0(VALU_DEP_1) | instskip(SKIP_1) | instid1(SALU_CYCLE_1)
	v_cmp_le_i32_e32 vcc_lo, s3, v4
	s_or_b32 s0, vcc_lo, s0
	s_and_not1_b32 exec_lo, exec_lo, s0
	s_cbranch_execz .LBB76_18
.LBB76_13:                              ; =>This Loop Header: Depth=1
                                        ;     Child Loop BB76_16 Depth 2
	s_wait_kmcnt 0x0
	s_clause 0x1
	global_load_b32 v0, v4, s[4:5] scale_offset
	global_load_b32 v1, v4, s[14:15] scale_offset
	s_mov_b32 s17, exec_lo
	s_wait_loadcnt 0x1
	v_subrev_nc_u32_e32 v9, s16, v0
	s_wait_loadcnt 0x0
	v_add_nc_u32_e32 v0, v1, v8
	s_wait_xcnt 0x0
	s_delay_alu instid0(VALU_DEP_1)
	v_cmpx_lt_i32_e64 v0, v9
	s_cbranch_execz .LBB76_12
; %bb.14:                               ;   in Loop: Header=BB76_13 Depth=1
	v_ashrrev_i32_e32 v5, 31, v4
	s_mov_b32 s18, 0
	s_delay_alu instid0(VALU_DEP_1) | instskip(SKIP_3) | instid1(VALU_DEP_1)
	v_lshl_add_u64 v[6:7], v[4:5], 3, s[10:11]
	global_load_b64 v[6:7], v[6:7], off
	s_wait_loadcnt 0x0
	v_mul_f32_e64 v5, v7, -v3
	v_dual_mul_f32 v10, v2, v7 :: v_dual_fmac_f32 v5, v2, v6
	s_delay_alu instid0(VALU_DEP_1)
	v_fmac_f32_e32 v10, v3, v6
	s_branch .LBB76_16
.LBB76_15:                              ;   in Loop: Header=BB76_16 Depth=2
	s_wait_xcnt 0x0
	s_or_b32 exec_lo, exec_lo, s19
	v_add_nc_u32_e32 v0, 64, v0
	s_delay_alu instid0(VALU_DEP_1) | instskip(SKIP_1) | instid1(SALU_CYCLE_1)
	v_cmp_ge_i32_e32 vcc_lo, v0, v9
	s_or_b32 s18, vcc_lo, s18
	s_and_not1_b32 exec_lo, exec_lo, s18
	s_cbranch_execz .LBB76_12
.LBB76_16:                              ;   Parent Loop BB76_13 Depth=1
                                        ; =>  This Inner Loop Header: Depth=2
	global_load_b32 v1, v0, s[6:7] scale_offset
	s_mov_b32 s19, exec_lo
	s_wait_loadcnt 0x0
	s_wait_xcnt 0x1
	v_subrev_nc_u32_e32 v6, s16, v1
	v_ashrrev_i32_e32 v1, 31, v0
	s_wait_xcnt 0x0
	s_delay_alu instid0(VALU_DEP_2)
	v_cmpx_ne_u32_e64 v6, v4
	s_cbranch_execz .LBB76_15
; %bb.17:                               ;   in Loop: Header=BB76_16 Depth=2
	s_delay_alu instid0(VALU_DEP_2)
	v_lshl_add_u64 v[12:13], v[0:1], 3, s[8:9]
	v_ashrrev_i32_e32 v7, 31, v6
	global_load_b64 v[12:13], v[12:13], off
	v_lshl_add_u64 v[6:7], v[6:7], 3, s[12:13]
	s_wait_loadcnt 0x0
	v_cndmask_b32_e64 v1, v13, -v13, s1
	s_delay_alu instid0(VALU_DEP_1) | instskip(SKIP_1) | instid1(VALU_DEP_1)
	v_mul_f32_e64 v11, v1, -v10
	v_mul_f32_e32 v1, v5, v1
	v_dual_fmac_f32 v1, v10, v12 :: v_dual_fmac_f32 v11, v5, v12
	s_wait_xcnt 0x0
	global_atomic_add_f32 v[6:7], v11, off scope:SCOPE_DEV
	s_wait_xcnt 0x0
	global_atomic_add_f32 v[6:7], v1, off offset:4 scope:SCOPE_DEV
	s_branch .LBB76_15
.LBB76_18:
	s_endpgm
	.section	.rodata,"a",@progbits
	.p2align	6, 0x0
	.amdhsa_kernel _ZN9rocsparseL21csrmvt_general_kernelILj256ELj64Eii21rocsparse_complex_numIfES2_S2_S2_EEvbbT2_NS_24const_host_device_scalarIT6_EEPKT1_S9_PKS3_PKT3_PKT4_PT5_21rocsparse_index_base_b
		.amdhsa_group_segment_fixed_size 0
		.amdhsa_private_segment_fixed_size 0
		.amdhsa_kernarg_size 328
		.amdhsa_user_sgpr_count 2
		.amdhsa_user_sgpr_dispatch_ptr 0
		.amdhsa_user_sgpr_queue_ptr 0
		.amdhsa_user_sgpr_kernarg_segment_ptr 1
		.amdhsa_user_sgpr_dispatch_id 0
		.amdhsa_user_sgpr_kernarg_preload_length 0
		.amdhsa_user_sgpr_kernarg_preload_offset 0
		.amdhsa_user_sgpr_private_segment_size 0
		.amdhsa_wavefront_size32 1
		.amdhsa_uses_dynamic_stack 0
		.amdhsa_enable_private_segment 0
		.amdhsa_system_sgpr_workgroup_id_x 1
		.amdhsa_system_sgpr_workgroup_id_y 0
		.amdhsa_system_sgpr_workgroup_id_z 0
		.amdhsa_system_sgpr_workgroup_info 0
		.amdhsa_system_vgpr_workitem_id 0
		.amdhsa_next_free_vgpr 15
		.amdhsa_next_free_sgpr 21
		.amdhsa_named_barrier_count 0
		.amdhsa_reserve_vcc 1
		.amdhsa_float_round_mode_32 0
		.amdhsa_float_round_mode_16_64 0
		.amdhsa_float_denorm_mode_32 3
		.amdhsa_float_denorm_mode_16_64 3
		.amdhsa_fp16_overflow 0
		.amdhsa_memory_ordered 1
		.amdhsa_forward_progress 1
		.amdhsa_inst_pref_size 8
		.amdhsa_round_robin_scheduling 0
		.amdhsa_exception_fp_ieee_invalid_op 0
		.amdhsa_exception_fp_denorm_src 0
		.amdhsa_exception_fp_ieee_div_zero 0
		.amdhsa_exception_fp_ieee_overflow 0
		.amdhsa_exception_fp_ieee_underflow 0
		.amdhsa_exception_fp_ieee_inexact 0
		.amdhsa_exception_int_div_zero 0
	.end_amdhsa_kernel
	.section	.text._ZN9rocsparseL21csrmvt_general_kernelILj256ELj64Eii21rocsparse_complex_numIfES2_S2_S2_EEvbbT2_NS_24const_host_device_scalarIT6_EEPKT1_S9_PKS3_PKT3_PKT4_PT5_21rocsparse_index_base_b,"axG",@progbits,_ZN9rocsparseL21csrmvt_general_kernelILj256ELj64Eii21rocsparse_complex_numIfES2_S2_S2_EEvbbT2_NS_24const_host_device_scalarIT6_EEPKT1_S9_PKS3_PKT3_PKT4_PT5_21rocsparse_index_base_b,comdat
.Lfunc_end76:
	.size	_ZN9rocsparseL21csrmvt_general_kernelILj256ELj64Eii21rocsparse_complex_numIfES2_S2_S2_EEvbbT2_NS_24const_host_device_scalarIT6_EEPKT1_S9_PKS3_PKT3_PKT4_PT5_21rocsparse_index_base_b, .Lfunc_end76-_ZN9rocsparseL21csrmvt_general_kernelILj256ELj64Eii21rocsparse_complex_numIfES2_S2_S2_EEvbbT2_NS_24const_host_device_scalarIT6_EEPKT1_S9_PKS3_PKT3_PKT4_PT5_21rocsparse_index_base_b
                                        ; -- End function
	.set _ZN9rocsparseL21csrmvt_general_kernelILj256ELj64Eii21rocsparse_complex_numIfES2_S2_S2_EEvbbT2_NS_24const_host_device_scalarIT6_EEPKT1_S9_PKS3_PKT3_PKT4_PT5_21rocsparse_index_base_b.num_vgpr, 15
	.set _ZN9rocsparseL21csrmvt_general_kernelILj256ELj64Eii21rocsparse_complex_numIfES2_S2_S2_EEvbbT2_NS_24const_host_device_scalarIT6_EEPKT1_S9_PKS3_PKT3_PKT4_PT5_21rocsparse_index_base_b.num_agpr, 0
	.set _ZN9rocsparseL21csrmvt_general_kernelILj256ELj64Eii21rocsparse_complex_numIfES2_S2_S2_EEvbbT2_NS_24const_host_device_scalarIT6_EEPKT1_S9_PKS3_PKT3_PKT4_PT5_21rocsparse_index_base_b.numbered_sgpr, 21
	.set _ZN9rocsparseL21csrmvt_general_kernelILj256ELj64Eii21rocsparse_complex_numIfES2_S2_S2_EEvbbT2_NS_24const_host_device_scalarIT6_EEPKT1_S9_PKS3_PKT3_PKT4_PT5_21rocsparse_index_base_b.num_named_barrier, 0
	.set _ZN9rocsparseL21csrmvt_general_kernelILj256ELj64Eii21rocsparse_complex_numIfES2_S2_S2_EEvbbT2_NS_24const_host_device_scalarIT6_EEPKT1_S9_PKS3_PKT3_PKT4_PT5_21rocsparse_index_base_b.private_seg_size, 0
	.set _ZN9rocsparseL21csrmvt_general_kernelILj256ELj64Eii21rocsparse_complex_numIfES2_S2_S2_EEvbbT2_NS_24const_host_device_scalarIT6_EEPKT1_S9_PKS3_PKT3_PKT4_PT5_21rocsparse_index_base_b.uses_vcc, 1
	.set _ZN9rocsparseL21csrmvt_general_kernelILj256ELj64Eii21rocsparse_complex_numIfES2_S2_S2_EEvbbT2_NS_24const_host_device_scalarIT6_EEPKT1_S9_PKS3_PKT3_PKT4_PT5_21rocsparse_index_base_b.uses_flat_scratch, 0
	.set _ZN9rocsparseL21csrmvt_general_kernelILj256ELj64Eii21rocsparse_complex_numIfES2_S2_S2_EEvbbT2_NS_24const_host_device_scalarIT6_EEPKT1_S9_PKS3_PKT3_PKT4_PT5_21rocsparse_index_base_b.has_dyn_sized_stack, 0
	.set _ZN9rocsparseL21csrmvt_general_kernelILj256ELj64Eii21rocsparse_complex_numIfES2_S2_S2_EEvbbT2_NS_24const_host_device_scalarIT6_EEPKT1_S9_PKS3_PKT3_PKT4_PT5_21rocsparse_index_base_b.has_recursion, 0
	.set _ZN9rocsparseL21csrmvt_general_kernelILj256ELj64Eii21rocsparse_complex_numIfES2_S2_S2_EEvbbT2_NS_24const_host_device_scalarIT6_EEPKT1_S9_PKS3_PKT3_PKT4_PT5_21rocsparse_index_base_b.has_indirect_call, 0
	.section	.AMDGPU.csdata,"",@progbits
; Kernel info:
; codeLenInByte = 980
; TotalNumSgprs: 23
; NumVgprs: 15
; ScratchSize: 0
; MemoryBound: 0
; FloatMode: 240
; IeeeMode: 1
; LDSByteSize: 0 bytes/workgroup (compile time only)
; SGPRBlocks: 0
; VGPRBlocks: 0
; NumSGPRsForWavesPerEU: 23
; NumVGPRsForWavesPerEU: 15
; NamedBarCnt: 0
; Occupancy: 16
; WaveLimiterHint : 1
; COMPUTE_PGM_RSRC2:SCRATCH_EN: 0
; COMPUTE_PGM_RSRC2:USER_SGPR: 2
; COMPUTE_PGM_RSRC2:TRAP_HANDLER: 0
; COMPUTE_PGM_RSRC2:TGID_X_EN: 1
; COMPUTE_PGM_RSRC2:TGID_Y_EN: 0
; COMPUTE_PGM_RSRC2:TGID_Z_EN: 0
; COMPUTE_PGM_RSRC2:TIDIG_COMP_CNT: 0
	.section	.text._ZN9rocsparseL21csrmvn_general_kernelILj256ELj2Eli21rocsparse_complex_numIfES2_S2_S2_EEvbT2_NS_24const_host_device_scalarIT6_EEPKT1_S9_PKS3_PKT3_PKT4_S6_PT5_21rocsparse_index_base_b,"axG",@progbits,_ZN9rocsparseL21csrmvn_general_kernelILj256ELj2Eli21rocsparse_complex_numIfES2_S2_S2_EEvbT2_NS_24const_host_device_scalarIT6_EEPKT1_S9_PKS3_PKT3_PKT4_S6_PT5_21rocsparse_index_base_b,comdat
	.globl	_ZN9rocsparseL21csrmvn_general_kernelILj256ELj2Eli21rocsparse_complex_numIfES2_S2_S2_EEvbT2_NS_24const_host_device_scalarIT6_EEPKT1_S9_PKS3_PKT3_PKT4_S6_PT5_21rocsparse_index_base_b ; -- Begin function _ZN9rocsparseL21csrmvn_general_kernelILj256ELj2Eli21rocsparse_complex_numIfES2_S2_S2_EEvbT2_NS_24const_host_device_scalarIT6_EEPKT1_S9_PKS3_PKT3_PKT4_S6_PT5_21rocsparse_index_base_b
	.p2align	8
	.type	_ZN9rocsparseL21csrmvn_general_kernelILj256ELj2Eli21rocsparse_complex_numIfES2_S2_S2_EEvbT2_NS_24const_host_device_scalarIT6_EEPKT1_S9_PKS3_PKT3_PKT4_S6_PT5_21rocsparse_index_base_b,@function
_ZN9rocsparseL21csrmvn_general_kernelILj256ELj2Eli21rocsparse_complex_numIfES2_S2_S2_EEvbT2_NS_24const_host_device_scalarIT6_EEPKT1_S9_PKS3_PKT3_PKT4_S6_PT5_21rocsparse_index_base_b: ; @_ZN9rocsparseL21csrmvn_general_kernelILj256ELj2Eli21rocsparse_complex_numIfES2_S2_S2_EEvbT2_NS_24const_host_device_scalarIT6_EEPKT1_S9_PKS3_PKT3_PKT4_S6_PT5_21rocsparse_index_base_b
; %bb.0:
	s_clause 0x2
	s_load_b64 s[16:17], s[0:1], 0x48
	s_load_b128 s[12:15], s[0:1], 0x8
	s_load_b64 s[2:3], s[0:1], 0x38
	v_mov_b32_e32 v1, 0
	s_add_nc_u64 s[4:5], s[0:1], 8
	s_add_nc_u64 s[6:7], s[0:1], 56
	s_wait_kmcnt 0x0
	s_bitcmp1_b32 s17, 0
	s_cselect_b32 s5, s5, s13
	s_cselect_b32 s4, s4, s12
	;; [unrolled: 1-line block ×4, first 2 shown]
	s_clause 0x1
	flat_load_b64 v[2:3], v1, s[4:5]
	flat_load_b64 v[4:5], v1, s[2:3]
	s_wait_loadcnt_dscnt 0x101
	v_cmp_neq_f32_e32 vcc_lo, 0, v2
	s_wait_xcnt 0x0
	v_cmp_neq_f32_e64 s2, 0, v3
	s_wait_loadcnt_dscnt 0x0
	v_cmp_neq_f32_e64 s3, 1.0, v4
	v_cmp_neq_f32_e64 s4, 0, v5
	s_or_b32 s2, vcc_lo, s2
	s_or_b32 s3, s3, s4
	s_delay_alu instid0(SALU_CYCLE_1) | instskip(NEXT) | instid1(SALU_CYCLE_1)
	s_or_b32 s2, s2, s3
	s_and_saveexec_b32 s3, s2
	s_cbranch_execz .LBB77_12
; %bb.1:
	s_bfe_u32 s4, ttmp6, 0x4000c
	s_load_b64 s[2:3], s[0:1], 0x0
	s_add_co_i32 s4, s4, 1
	s_and_b32 s5, ttmp6, 15
	s_mul_i32 s4, ttmp9, s4
	s_getreg_b32 s6, hwreg(HW_REG_IB_STS2, 6, 4)
	s_add_co_i32 s5, s5, s4
	s_cmp_eq_u32 s6, 0
	s_cselect_b32 s4, ttmp9, s5
	s_delay_alu instid0(SALU_CYCLE_1) | instskip(NEXT) | instid1(VALU_DEP_1)
	v_lshl_or_b32 v1, s4, 8, v0
	v_lshrrev_b32_e32 v6, 1, v1
	s_wait_kmcnt 0x0
	s_delay_alu instid0(VALU_DEP_1)
	v_cmp_gt_i32_e32 vcc_lo, s3, v6
	s_and_b32 exec_lo, exec_lo, vcc_lo
	s_cbranch_execz .LBB77_12
; %bb.2:
	s_clause 0x2
	s_load_b32 s18, s[0:1], 0x50
	s_load_b64 s[12:13], s[0:1], 0x40
	s_load_b256 s[4:11], s[0:1], 0x18
	v_mbcnt_lo_u32_b32 v7, -1, 0
	v_dual_mov_b32 v13, 0 :: v_dual_bitop2_b32 v12, 1, v0 bitop3:0x40
	s_mov_b32 s17, 0
	s_delay_alu instid0(VALU_DEP_2)
	v_dual_mov_b32 v9, v4 :: v_dual_bitop2_b32 v10, 1, v7 bitop3:0x14
	s_wait_xcnt 0x0
	v_cmp_neq_f32_e64 s0, 0, v4
	v_cmp_neq_f32_e64 s1, 0, v5
	s_mov_b32 s20, s16
	v_xor_b32_e32 v0, 0x80000000, v3
	v_cmp_gt_i32_e32 vcc_lo, 32, v10
	v_mov_b32_e32 v1, v2
	v_xor_b32_e32 v8, 0x80000000, v5
	s_mov_b32 s19, s17
	v_cndmask_b32_e32 v7, v7, v10, vcc_lo
	v_sub_nc_u64_e64 v[10:11], v[12:13], s[16:17]
	s_wait_kmcnt 0x0
	s_lshl_b32 s18, s18, 7
	s_bitcmp1_b32 s2, 0
	s_add_nc_u64 s[8:9], s[8:9], 4
	s_cselect_b32 s2, -1, 0
	s_ashr_i32 s21, s16, 31
	v_lshlrev_b32_e32 v22, 2, v7
	s_lshl_b64 s[20:21], s[20:21], 3
	s_or_b32 s1, s0, s1
	s_sub_nc_u64 s[10:11], s[10:11], s[20:21]
	v_cmp_eq_u32_e32 vcc_lo, 1, v12
	s_branch .LBB77_5
.LBB77_3:                               ;   in Loop: Header=BB77_5 Depth=1
	s_wait_xcnt 0x0
	s_or_b32 exec_lo, exec_lo, s20
	global_store_b64 v[12:13], v[14:15], off
.LBB77_4:                               ;   in Loop: Header=BB77_5 Depth=1
	s_wait_xcnt 0x0
	s_or_b32 exec_lo, exec_lo, s0
	v_add_nc_u32_e32 v6, s18, v6
	s_delay_alu instid0(VALU_DEP_1) | instskip(SKIP_1) | instid1(SALU_CYCLE_1)
	v_cmp_le_i32_e64 s0, s3, v6
	s_or_b32 s19, s0, s19
	s_and_not1_b32 exec_lo, exec_lo, s19
	s_cbranch_execz .LBB77_12
.LBB77_5:                               ; =>This Loop Header: Depth=1
                                        ;     Child Loop BB77_7 Depth 2
	s_clause 0x1
	global_load_b64 v[12:13], v6, s[4:5] scale_offset
	global_load_b64 v[16:17], v6, s[14:15] scale_offset
	s_mov_b32 s20, exec_lo
	s_wait_loadcnt_dscnt 0x100
	v_sub_nc_u64_e64 v[14:15], v[12:13], s[16:17]
	s_wait_loadcnt 0x0
	v_add_nc_u64_e32 v[16:17], v[16:17], v[10:11]
	v_dual_mov_b32 v13, 0 :: v_dual_mov_b32 v12, 0
	s_wait_xcnt 0x0
	s_delay_alu instid0(VALU_DEP_2)
	v_cmpx_lt_i64_e64 v[16:17], v[14:15]
	s_cbranch_execz .LBB77_9
; %bb.6:                                ;   in Loop: Header=BB77_5 Depth=1
	v_mov_b32_e32 v12, 0
	v_lshl_add_u64 v[18:19], v[16:17], 3, s[8:9]
	v_lshl_add_u64 v[20:21], v[16:17], 2, s[6:7]
	s_mov_b32 s21, 0
	s_delay_alu instid0(VALU_DEP_3)
	v_mov_b32_e32 v13, v12
.LBB77_7:                               ;   Parent Loop BB77_5 Depth=1
                                        ; =>  This Inner Loop Header: Depth=2
	global_load_b32 v7, v[20:21], off
	global_load_b64 v[24:25], v[18:19], off offset:-4
	v_add_nc_u64_e32 v[16:17], 2, v[16:17]
	s_wait_xcnt 0x0
	v_add_nc_u64_e32 v[18:19], 16, v[18:19]
	v_add_nc_u64_e32 v[20:21], 8, v[20:21]
	s_delay_alu instid0(VALU_DEP_3)
	v_cmp_ge_i64_e64 s0, v[16:17], v[14:15]
	s_or_b32 s21, s0, s21
	s_wait_loadcnt 0x1
	global_load_b64 v[26:27], v7, s[10:11] scale_offset
	s_wait_loadcnt 0x1
	v_cndmask_b32_e64 v28, v25, -v25, s2
	s_delay_alu instid0(VALU_DEP_1) | instskip(NEXT) | instid1(VALU_DEP_1)
	v_pk_mul_f32 v[28:29], v[28:29], v[0:1] op_sel_hi:[0,1]
	v_pk_fma_f32 v[24:25], v[2:3], v[24:25], v[28:29] op_sel_hi:[1,0,1]
	s_wait_loadcnt 0x0
	s_delay_alu instid0(VALU_DEP_1) | instskip(NEXT) | instid1(VALU_DEP_1)
	v_pk_fma_f32 v[12:13], v[24:25], v[26:27], v[12:13] op_sel_hi:[1,0,1]
	v_pk_fma_f32 v[12:13], v[24:25], v[26:27], v[12:13] op_sel:[1,1,0] op_sel_hi:[0,1,1] neg_lo:[1,0,0]
	s_wait_xcnt 0x0
	s_and_not1_b32 exec_lo, exec_lo, s21
	s_cbranch_execnz .LBB77_7
; %bb.8:                                ;   in Loop: Header=BB77_5 Depth=1
	s_or_b32 exec_lo, exec_lo, s21
.LBB77_9:                               ;   in Loop: Header=BB77_5 Depth=1
	s_delay_alu instid0(SALU_CYCLE_1)
	s_or_b32 exec_lo, exec_lo, s20
	ds_bpermute_b32 v14, v22, v12
	ds_bpermute_b32 v15, v22, v13
	v_ashrrev_i32_e32 v7, 31, v6
	s_and_saveexec_b32 s0, vcc_lo
	s_cbranch_execz .LBB77_4
; %bb.10:                               ;   in Loop: Header=BB77_5 Depth=1
	s_wait_dscnt 0x0
	v_pk_add_f32 v[14:15], v[12:13], v[14:15]
	v_lshl_add_u64 v[12:13], v[6:7], 3, s[12:13]
	s_and_saveexec_b32 s20, s1
	s_cbranch_execz .LBB77_3
; %bb.11:                               ;   in Loop: Header=BB77_5 Depth=1
	global_load_b64 v[16:17], v[12:13], off
	s_wait_loadcnt 0x0
	v_pk_fma_f32 v[14:15], v[4:5], v[16:17], v[14:15] op_sel_hi:[1,0,1]
	s_delay_alu instid0(VALU_DEP_1)
	v_pk_fma_f32 v[14:15], v[8:9], v[16:17], v[14:15] op_sel:[0,1,0]
	s_branch .LBB77_3
.LBB77_12:
	s_endpgm
	.section	.rodata,"a",@progbits
	.p2align	6, 0x0
	.amdhsa_kernel _ZN9rocsparseL21csrmvn_general_kernelILj256ELj2Eli21rocsparse_complex_numIfES2_S2_S2_EEvbT2_NS_24const_host_device_scalarIT6_EEPKT1_S9_PKS3_PKT3_PKT4_S6_PT5_21rocsparse_index_base_b
		.amdhsa_group_segment_fixed_size 0
		.amdhsa_private_segment_fixed_size 0
		.amdhsa_kernarg_size 336
		.amdhsa_user_sgpr_count 2
		.amdhsa_user_sgpr_dispatch_ptr 0
		.amdhsa_user_sgpr_queue_ptr 0
		.amdhsa_user_sgpr_kernarg_segment_ptr 1
		.amdhsa_user_sgpr_dispatch_id 0
		.amdhsa_user_sgpr_kernarg_preload_length 0
		.amdhsa_user_sgpr_kernarg_preload_offset 0
		.amdhsa_user_sgpr_private_segment_size 0
		.amdhsa_wavefront_size32 1
		.amdhsa_uses_dynamic_stack 0
		.amdhsa_enable_private_segment 0
		.amdhsa_system_sgpr_workgroup_id_x 1
		.amdhsa_system_sgpr_workgroup_id_y 0
		.amdhsa_system_sgpr_workgroup_id_z 0
		.amdhsa_system_sgpr_workgroup_info 0
		.amdhsa_system_vgpr_workitem_id 0
		.amdhsa_next_free_vgpr 30
		.amdhsa_next_free_sgpr 22
		.amdhsa_named_barrier_count 0
		.amdhsa_reserve_vcc 1
		.amdhsa_float_round_mode_32 0
		.amdhsa_float_round_mode_16_64 0
		.amdhsa_float_denorm_mode_32 3
		.amdhsa_float_denorm_mode_16_64 3
		.amdhsa_fp16_overflow 0
		.amdhsa_memory_ordered 1
		.amdhsa_forward_progress 1
		.amdhsa_inst_pref_size 7
		.amdhsa_round_robin_scheduling 0
		.amdhsa_exception_fp_ieee_invalid_op 0
		.amdhsa_exception_fp_denorm_src 0
		.amdhsa_exception_fp_ieee_div_zero 0
		.amdhsa_exception_fp_ieee_overflow 0
		.amdhsa_exception_fp_ieee_underflow 0
		.amdhsa_exception_fp_ieee_inexact 0
		.amdhsa_exception_int_div_zero 0
	.end_amdhsa_kernel
	.section	.text._ZN9rocsparseL21csrmvn_general_kernelILj256ELj2Eli21rocsparse_complex_numIfES2_S2_S2_EEvbT2_NS_24const_host_device_scalarIT6_EEPKT1_S9_PKS3_PKT3_PKT4_S6_PT5_21rocsparse_index_base_b,"axG",@progbits,_ZN9rocsparseL21csrmvn_general_kernelILj256ELj2Eli21rocsparse_complex_numIfES2_S2_S2_EEvbT2_NS_24const_host_device_scalarIT6_EEPKT1_S9_PKS3_PKT3_PKT4_S6_PT5_21rocsparse_index_base_b,comdat
.Lfunc_end77:
	.size	_ZN9rocsparseL21csrmvn_general_kernelILj256ELj2Eli21rocsparse_complex_numIfES2_S2_S2_EEvbT2_NS_24const_host_device_scalarIT6_EEPKT1_S9_PKS3_PKT3_PKT4_S6_PT5_21rocsparse_index_base_b, .Lfunc_end77-_ZN9rocsparseL21csrmvn_general_kernelILj256ELj2Eli21rocsparse_complex_numIfES2_S2_S2_EEvbT2_NS_24const_host_device_scalarIT6_EEPKT1_S9_PKS3_PKT3_PKT4_S6_PT5_21rocsparse_index_base_b
                                        ; -- End function
	.set _ZN9rocsparseL21csrmvn_general_kernelILj256ELj2Eli21rocsparse_complex_numIfES2_S2_S2_EEvbT2_NS_24const_host_device_scalarIT6_EEPKT1_S9_PKS3_PKT3_PKT4_S6_PT5_21rocsparse_index_base_b.num_vgpr, 30
	.set _ZN9rocsparseL21csrmvn_general_kernelILj256ELj2Eli21rocsparse_complex_numIfES2_S2_S2_EEvbT2_NS_24const_host_device_scalarIT6_EEPKT1_S9_PKS3_PKT3_PKT4_S6_PT5_21rocsparse_index_base_b.num_agpr, 0
	.set _ZN9rocsparseL21csrmvn_general_kernelILj256ELj2Eli21rocsparse_complex_numIfES2_S2_S2_EEvbT2_NS_24const_host_device_scalarIT6_EEPKT1_S9_PKS3_PKT3_PKT4_S6_PT5_21rocsparse_index_base_b.numbered_sgpr, 22
	.set _ZN9rocsparseL21csrmvn_general_kernelILj256ELj2Eli21rocsparse_complex_numIfES2_S2_S2_EEvbT2_NS_24const_host_device_scalarIT6_EEPKT1_S9_PKS3_PKT3_PKT4_S6_PT5_21rocsparse_index_base_b.num_named_barrier, 0
	.set _ZN9rocsparseL21csrmvn_general_kernelILj256ELj2Eli21rocsparse_complex_numIfES2_S2_S2_EEvbT2_NS_24const_host_device_scalarIT6_EEPKT1_S9_PKS3_PKT3_PKT4_S6_PT5_21rocsparse_index_base_b.private_seg_size, 0
	.set _ZN9rocsparseL21csrmvn_general_kernelILj256ELj2Eli21rocsparse_complex_numIfES2_S2_S2_EEvbT2_NS_24const_host_device_scalarIT6_EEPKT1_S9_PKS3_PKT3_PKT4_S6_PT5_21rocsparse_index_base_b.uses_vcc, 1
	.set _ZN9rocsparseL21csrmvn_general_kernelILj256ELj2Eli21rocsparse_complex_numIfES2_S2_S2_EEvbT2_NS_24const_host_device_scalarIT6_EEPKT1_S9_PKS3_PKT3_PKT4_S6_PT5_21rocsparse_index_base_b.uses_flat_scratch, 1
	.set _ZN9rocsparseL21csrmvn_general_kernelILj256ELj2Eli21rocsparse_complex_numIfES2_S2_S2_EEvbT2_NS_24const_host_device_scalarIT6_EEPKT1_S9_PKS3_PKT3_PKT4_S6_PT5_21rocsparse_index_base_b.has_dyn_sized_stack, 0
	.set _ZN9rocsparseL21csrmvn_general_kernelILj256ELj2Eli21rocsparse_complex_numIfES2_S2_S2_EEvbT2_NS_24const_host_device_scalarIT6_EEPKT1_S9_PKS3_PKT3_PKT4_S6_PT5_21rocsparse_index_base_b.has_recursion, 0
	.set _ZN9rocsparseL21csrmvn_general_kernelILj256ELj2Eli21rocsparse_complex_numIfES2_S2_S2_EEvbT2_NS_24const_host_device_scalarIT6_EEPKT1_S9_PKS3_PKT3_PKT4_S6_PT5_21rocsparse_index_base_b.has_indirect_call, 0
	.section	.AMDGPU.csdata,"",@progbits
; Kernel info:
; codeLenInByte = 836
; TotalNumSgprs: 24
; NumVgprs: 30
; ScratchSize: 0
; MemoryBound: 0
; FloatMode: 240
; IeeeMode: 1
; LDSByteSize: 0 bytes/workgroup (compile time only)
; SGPRBlocks: 0
; VGPRBlocks: 1
; NumSGPRsForWavesPerEU: 24
; NumVGPRsForWavesPerEU: 30
; NamedBarCnt: 0
; Occupancy: 16
; WaveLimiterHint : 1
; COMPUTE_PGM_RSRC2:SCRATCH_EN: 0
; COMPUTE_PGM_RSRC2:USER_SGPR: 2
; COMPUTE_PGM_RSRC2:TRAP_HANDLER: 0
; COMPUTE_PGM_RSRC2:TGID_X_EN: 1
; COMPUTE_PGM_RSRC2:TGID_Y_EN: 0
; COMPUTE_PGM_RSRC2:TGID_Z_EN: 0
; COMPUTE_PGM_RSRC2:TIDIG_COMP_CNT: 0
	.section	.text._ZN9rocsparseL21csrmvn_general_kernelILj256ELj4Eli21rocsparse_complex_numIfES2_S2_S2_EEvbT2_NS_24const_host_device_scalarIT6_EEPKT1_S9_PKS3_PKT3_PKT4_S6_PT5_21rocsparse_index_base_b,"axG",@progbits,_ZN9rocsparseL21csrmvn_general_kernelILj256ELj4Eli21rocsparse_complex_numIfES2_S2_S2_EEvbT2_NS_24const_host_device_scalarIT6_EEPKT1_S9_PKS3_PKT3_PKT4_S6_PT5_21rocsparse_index_base_b,comdat
	.globl	_ZN9rocsparseL21csrmvn_general_kernelILj256ELj4Eli21rocsparse_complex_numIfES2_S2_S2_EEvbT2_NS_24const_host_device_scalarIT6_EEPKT1_S9_PKS3_PKT3_PKT4_S6_PT5_21rocsparse_index_base_b ; -- Begin function _ZN9rocsparseL21csrmvn_general_kernelILj256ELj4Eli21rocsparse_complex_numIfES2_S2_S2_EEvbT2_NS_24const_host_device_scalarIT6_EEPKT1_S9_PKS3_PKT3_PKT4_S6_PT5_21rocsparse_index_base_b
	.p2align	8
	.type	_ZN9rocsparseL21csrmvn_general_kernelILj256ELj4Eli21rocsparse_complex_numIfES2_S2_S2_EEvbT2_NS_24const_host_device_scalarIT6_EEPKT1_S9_PKS3_PKT3_PKT4_S6_PT5_21rocsparse_index_base_b,@function
_ZN9rocsparseL21csrmvn_general_kernelILj256ELj4Eli21rocsparse_complex_numIfES2_S2_S2_EEvbT2_NS_24const_host_device_scalarIT6_EEPKT1_S9_PKS3_PKT3_PKT4_S6_PT5_21rocsparse_index_base_b: ; @_ZN9rocsparseL21csrmvn_general_kernelILj256ELj4Eli21rocsparse_complex_numIfES2_S2_S2_EEvbT2_NS_24const_host_device_scalarIT6_EEPKT1_S9_PKS3_PKT3_PKT4_S6_PT5_21rocsparse_index_base_b
; %bb.0:
	s_clause 0x2
	s_load_b64 s[16:17], s[0:1], 0x48
	s_load_b128 s[12:15], s[0:1], 0x8
	s_load_b64 s[2:3], s[0:1], 0x38
	v_mov_b32_e32 v1, 0
	s_add_nc_u64 s[4:5], s[0:1], 8
	s_add_nc_u64 s[6:7], s[0:1], 56
	s_wait_kmcnt 0x0
	s_bitcmp1_b32 s17, 0
	s_cselect_b32 s5, s5, s13
	s_cselect_b32 s4, s4, s12
	s_cselect_b32 s3, s7, s3
	s_cselect_b32 s2, s6, s2
	s_clause 0x1
	flat_load_b64 v[2:3], v1, s[4:5]
	flat_load_b64 v[4:5], v1, s[2:3]
	s_wait_loadcnt_dscnt 0x101
	v_cmp_neq_f32_e32 vcc_lo, 0, v2
	s_wait_xcnt 0x0
	v_cmp_neq_f32_e64 s2, 0, v3
	s_wait_loadcnt_dscnt 0x0
	v_cmp_neq_f32_e64 s3, 1.0, v4
	v_cmp_neq_f32_e64 s4, 0, v5
	s_or_b32 s2, vcc_lo, s2
	s_or_b32 s3, s3, s4
	s_delay_alu instid0(SALU_CYCLE_1) | instskip(NEXT) | instid1(SALU_CYCLE_1)
	s_or_b32 s2, s2, s3
	s_and_saveexec_b32 s3, s2
	s_cbranch_execz .LBB78_12
; %bb.1:
	s_bfe_u32 s2, ttmp6, 0x4000c
	s_load_b64 s[12:13], s[0:1], 0x0
	s_add_co_i32 s2, s2, 1
	s_and_b32 s3, ttmp6, 15
	s_mul_i32 s2, ttmp9, s2
	s_getreg_b32 s4, hwreg(HW_REG_IB_STS2, 6, 4)
	s_add_co_i32 s3, s3, s2
	s_cmp_eq_u32 s4, 0
	s_cselect_b32 s2, ttmp9, s3
	s_delay_alu instid0(SALU_CYCLE_1) | instskip(NEXT) | instid1(VALU_DEP_1)
	v_lshl_or_b32 v1, s2, 8, v0
	v_lshrrev_b32_e32 v6, 2, v1
	s_wait_kmcnt 0x0
	s_delay_alu instid0(VALU_DEP_1)
	v_cmp_gt_i32_e32 vcc_lo, s13, v6
	s_and_b32 exec_lo, exec_lo, vcc_lo
	s_cbranch_execz .LBB78_12
; %bb.2:
	v_mbcnt_lo_u32_b32 v1, -1, 0
	s_clause 0x2
	s_load_b32 s3, s[0:1], 0x50
	s_load_b64 s[18:19], s[0:1], 0x40
	s_load_b256 s[4:11], s[0:1], 0x18
	v_dual_mov_b32 v13, 0 :: v_dual_bitop2_b32 v12, 3, v0 bitop3:0x40
	s_mov_b32 s17, 0
	v_xor_b32_e32 v7, 2, v1
	s_wait_xcnt 0x0
	v_cmp_neq_f32_e64 s0, 0, v4
	v_cmp_neq_f32_e64 s1, 0, v5
	v_sub_nc_u64_e64 v[10:11], v[12:13], s[16:17]
	s_mov_b32 s22, s16
	v_cmp_gt_i32_e64 s2, 32, v7
	v_xor_b32_e32 v9, 1, v1
	v_xor_b32_e32 v0, 0x80000000, v3
	;; [unrolled: 1-line block ×3, first 2 shown]
	v_cmp_eq_u32_e32 vcc_lo, 3, v12
	v_cndmask_b32_e64 v7, v1, v7, s2
	v_cmp_gt_i32_e64 s2, 32, v9
	s_wait_kmcnt 0x0
	s_lshl_b32 s20, s3, 6
	s_bitcmp1_b32 s12, 0
	v_dual_cndmask_b32 v1, v1, v9, s2 :: v_dual_lshlrev_b32 v22, 2, v7
	s_cselect_b32 s12, -1, 0
	s_ashr_i32 s23, s16, 31
	s_delay_alu instid0(VALU_DEP_1)
	v_dual_mov_b32 v9, v4 :: v_dual_lshlrev_b32 v23, 2, v1
	v_mov_b32_e32 v1, v2
	s_lshl_b64 s[2:3], s[22:23], 3
	s_or_b32 s1, s0, s1
	s_sub_nc_u64 s[2:3], s[10:11], s[2:3]
	s_add_nc_u64 s[8:9], s[8:9], 4
	s_mov_b32 s10, s17
	s_branch .LBB78_5
.LBB78_3:                               ;   in Loop: Header=BB78_5 Depth=1
	s_wait_xcnt 0x0
	s_or_b32 exec_lo, exec_lo, s11
	global_store_b64 v[12:13], v[14:15], off
.LBB78_4:                               ;   in Loop: Header=BB78_5 Depth=1
	s_wait_xcnt 0x0
	s_or_b32 exec_lo, exec_lo, s0
	v_add_nc_u32_e32 v6, s20, v6
	s_delay_alu instid0(VALU_DEP_1) | instskip(SKIP_1) | instid1(SALU_CYCLE_1)
	v_cmp_le_i32_e64 s0, s13, v6
	s_or_b32 s10, s0, s10
	s_and_not1_b32 exec_lo, exec_lo, s10
	s_cbranch_execz .LBB78_12
.LBB78_5:                               ; =>This Loop Header: Depth=1
                                        ;     Child Loop BB78_7 Depth 2
	s_clause 0x1
	global_load_b64 v[12:13], v6, s[4:5] scale_offset
	global_load_b64 v[16:17], v6, s[14:15] scale_offset
	s_mov_b32 s11, exec_lo
	s_wait_loadcnt_dscnt 0x100
	v_sub_nc_u64_e64 v[14:15], v[12:13], s[16:17]
	s_wait_loadcnt 0x0
	v_add_nc_u64_e32 v[16:17], v[16:17], v[10:11]
	v_dual_mov_b32 v13, 0 :: v_dual_mov_b32 v12, 0
	s_wait_xcnt 0x0
	s_delay_alu instid0(VALU_DEP_2)
	v_cmpx_lt_i64_e64 v[16:17], v[14:15]
	s_cbranch_execz .LBB78_9
; %bb.6:                                ;   in Loop: Header=BB78_5 Depth=1
	v_mov_b32_e32 v12, 0
	v_lshl_add_u64 v[18:19], v[16:17], 3, s[8:9]
	v_lshl_add_u64 v[20:21], v[16:17], 2, s[6:7]
	s_mov_b32 s21, 0
	s_delay_alu instid0(VALU_DEP_3)
	v_mov_b32_e32 v13, v12
.LBB78_7:                               ;   Parent Loop BB78_5 Depth=1
                                        ; =>  This Inner Loop Header: Depth=2
	global_load_b32 v7, v[20:21], off
	global_load_b64 v[24:25], v[18:19], off offset:-4
	v_add_nc_u64_e32 v[16:17], 4, v[16:17]
	s_wait_xcnt 0x0
	v_add_nc_u64_e32 v[18:19], 32, v[18:19]
	v_add_nc_u64_e32 v[20:21], 16, v[20:21]
	s_delay_alu instid0(VALU_DEP_3)
	v_cmp_ge_i64_e64 s0, v[16:17], v[14:15]
	s_or_b32 s21, s0, s21
	s_wait_loadcnt 0x1
	global_load_b64 v[26:27], v7, s[2:3] scale_offset
	s_wait_loadcnt 0x1
	v_cndmask_b32_e64 v28, v25, -v25, s12
	s_delay_alu instid0(VALU_DEP_1) | instskip(NEXT) | instid1(VALU_DEP_1)
	v_pk_mul_f32 v[28:29], v[28:29], v[0:1] op_sel_hi:[0,1]
	v_pk_fma_f32 v[24:25], v[2:3], v[24:25], v[28:29] op_sel_hi:[1,0,1]
	s_wait_loadcnt 0x0
	s_delay_alu instid0(VALU_DEP_1) | instskip(NEXT) | instid1(VALU_DEP_1)
	v_pk_fma_f32 v[12:13], v[24:25], v[26:27], v[12:13] op_sel_hi:[1,0,1]
	v_pk_fma_f32 v[12:13], v[24:25], v[26:27], v[12:13] op_sel:[1,1,0] op_sel_hi:[0,1,1] neg_lo:[1,0,0]
	s_wait_xcnt 0x0
	s_and_not1_b32 exec_lo, exec_lo, s21
	s_cbranch_execnz .LBB78_7
; %bb.8:                                ;   in Loop: Header=BB78_5 Depth=1
	s_or_b32 exec_lo, exec_lo, s21
.LBB78_9:                               ;   in Loop: Header=BB78_5 Depth=1
	s_delay_alu instid0(SALU_CYCLE_1)
	s_or_b32 exec_lo, exec_lo, s11
	ds_bpermute_b32 v14, v22, v12
	ds_bpermute_b32 v15, v22, v13
	v_ashrrev_i32_e32 v7, 31, v6
	s_wait_dscnt 0x0
	v_pk_add_f32 v[12:13], v[12:13], v[14:15]
	ds_bpermute_b32 v14, v23, v12
	ds_bpermute_b32 v15, v23, v13
	s_and_saveexec_b32 s0, vcc_lo
	s_cbranch_execz .LBB78_4
; %bb.10:                               ;   in Loop: Header=BB78_5 Depth=1
	s_wait_dscnt 0x0
	v_pk_add_f32 v[14:15], v[12:13], v[14:15]
	v_lshl_add_u64 v[12:13], v[6:7], 3, s[18:19]
	s_and_saveexec_b32 s11, s1
	s_cbranch_execz .LBB78_3
; %bb.11:                               ;   in Loop: Header=BB78_5 Depth=1
	global_load_b64 v[16:17], v[12:13], off
	s_wait_loadcnt 0x0
	v_pk_fma_f32 v[14:15], v[4:5], v[16:17], v[14:15] op_sel_hi:[1,0,1]
	s_delay_alu instid0(VALU_DEP_1)
	v_pk_fma_f32 v[14:15], v[8:9], v[16:17], v[14:15] op_sel:[0,1,0]
	s_branch .LBB78_3
.LBB78_12:
	s_endpgm
	.section	.rodata,"a",@progbits
	.p2align	6, 0x0
	.amdhsa_kernel _ZN9rocsparseL21csrmvn_general_kernelILj256ELj4Eli21rocsparse_complex_numIfES2_S2_S2_EEvbT2_NS_24const_host_device_scalarIT6_EEPKT1_S9_PKS3_PKT3_PKT4_S6_PT5_21rocsparse_index_base_b
		.amdhsa_group_segment_fixed_size 0
		.amdhsa_private_segment_fixed_size 0
		.amdhsa_kernarg_size 336
		.amdhsa_user_sgpr_count 2
		.amdhsa_user_sgpr_dispatch_ptr 0
		.amdhsa_user_sgpr_queue_ptr 0
		.amdhsa_user_sgpr_kernarg_segment_ptr 1
		.amdhsa_user_sgpr_dispatch_id 0
		.amdhsa_user_sgpr_kernarg_preload_length 0
		.amdhsa_user_sgpr_kernarg_preload_offset 0
		.amdhsa_user_sgpr_private_segment_size 0
		.amdhsa_wavefront_size32 1
		.amdhsa_uses_dynamic_stack 0
		.amdhsa_enable_private_segment 0
		.amdhsa_system_sgpr_workgroup_id_x 1
		.amdhsa_system_sgpr_workgroup_id_y 0
		.amdhsa_system_sgpr_workgroup_id_z 0
		.amdhsa_system_sgpr_workgroup_info 0
		.amdhsa_system_vgpr_workitem_id 0
		.amdhsa_next_free_vgpr 30
		.amdhsa_next_free_sgpr 24
		.amdhsa_named_barrier_count 0
		.amdhsa_reserve_vcc 1
		.amdhsa_float_round_mode_32 0
		.amdhsa_float_round_mode_16_64 0
		.amdhsa_float_denorm_mode_32 3
		.amdhsa_float_denorm_mode_16_64 3
		.amdhsa_fp16_overflow 0
		.amdhsa_memory_ordered 1
		.amdhsa_forward_progress 1
		.amdhsa_inst_pref_size 7
		.amdhsa_round_robin_scheduling 0
		.amdhsa_exception_fp_ieee_invalid_op 0
		.amdhsa_exception_fp_denorm_src 0
		.amdhsa_exception_fp_ieee_div_zero 0
		.amdhsa_exception_fp_ieee_overflow 0
		.amdhsa_exception_fp_ieee_underflow 0
		.amdhsa_exception_fp_ieee_inexact 0
		.amdhsa_exception_int_div_zero 0
	.end_amdhsa_kernel
	.section	.text._ZN9rocsparseL21csrmvn_general_kernelILj256ELj4Eli21rocsparse_complex_numIfES2_S2_S2_EEvbT2_NS_24const_host_device_scalarIT6_EEPKT1_S9_PKS3_PKT3_PKT4_S6_PT5_21rocsparse_index_base_b,"axG",@progbits,_ZN9rocsparseL21csrmvn_general_kernelILj256ELj4Eli21rocsparse_complex_numIfES2_S2_S2_EEvbT2_NS_24const_host_device_scalarIT6_EEPKT1_S9_PKS3_PKT3_PKT4_S6_PT5_21rocsparse_index_base_b,comdat
.Lfunc_end78:
	.size	_ZN9rocsparseL21csrmvn_general_kernelILj256ELj4Eli21rocsparse_complex_numIfES2_S2_S2_EEvbT2_NS_24const_host_device_scalarIT6_EEPKT1_S9_PKS3_PKT3_PKT4_S6_PT5_21rocsparse_index_base_b, .Lfunc_end78-_ZN9rocsparseL21csrmvn_general_kernelILj256ELj4Eli21rocsparse_complex_numIfES2_S2_S2_EEvbT2_NS_24const_host_device_scalarIT6_EEPKT1_S9_PKS3_PKT3_PKT4_S6_PT5_21rocsparse_index_base_b
                                        ; -- End function
	.set _ZN9rocsparseL21csrmvn_general_kernelILj256ELj4Eli21rocsparse_complex_numIfES2_S2_S2_EEvbT2_NS_24const_host_device_scalarIT6_EEPKT1_S9_PKS3_PKT3_PKT4_S6_PT5_21rocsparse_index_base_b.num_vgpr, 30
	.set _ZN9rocsparseL21csrmvn_general_kernelILj256ELj4Eli21rocsparse_complex_numIfES2_S2_S2_EEvbT2_NS_24const_host_device_scalarIT6_EEPKT1_S9_PKS3_PKT3_PKT4_S6_PT5_21rocsparse_index_base_b.num_agpr, 0
	.set _ZN9rocsparseL21csrmvn_general_kernelILj256ELj4Eli21rocsparse_complex_numIfES2_S2_S2_EEvbT2_NS_24const_host_device_scalarIT6_EEPKT1_S9_PKS3_PKT3_PKT4_S6_PT5_21rocsparse_index_base_b.numbered_sgpr, 24
	.set _ZN9rocsparseL21csrmvn_general_kernelILj256ELj4Eli21rocsparse_complex_numIfES2_S2_S2_EEvbT2_NS_24const_host_device_scalarIT6_EEPKT1_S9_PKS3_PKT3_PKT4_S6_PT5_21rocsparse_index_base_b.num_named_barrier, 0
	.set _ZN9rocsparseL21csrmvn_general_kernelILj256ELj4Eli21rocsparse_complex_numIfES2_S2_S2_EEvbT2_NS_24const_host_device_scalarIT6_EEPKT1_S9_PKS3_PKT3_PKT4_S6_PT5_21rocsparse_index_base_b.private_seg_size, 0
	.set _ZN9rocsparseL21csrmvn_general_kernelILj256ELj4Eli21rocsparse_complex_numIfES2_S2_S2_EEvbT2_NS_24const_host_device_scalarIT6_EEPKT1_S9_PKS3_PKT3_PKT4_S6_PT5_21rocsparse_index_base_b.uses_vcc, 1
	.set _ZN9rocsparseL21csrmvn_general_kernelILj256ELj4Eli21rocsparse_complex_numIfES2_S2_S2_EEvbT2_NS_24const_host_device_scalarIT6_EEPKT1_S9_PKS3_PKT3_PKT4_S6_PT5_21rocsparse_index_base_b.uses_flat_scratch, 1
	.set _ZN9rocsparseL21csrmvn_general_kernelILj256ELj4Eli21rocsparse_complex_numIfES2_S2_S2_EEvbT2_NS_24const_host_device_scalarIT6_EEPKT1_S9_PKS3_PKT3_PKT4_S6_PT5_21rocsparse_index_base_b.has_dyn_sized_stack, 0
	.set _ZN9rocsparseL21csrmvn_general_kernelILj256ELj4Eli21rocsparse_complex_numIfES2_S2_S2_EEvbT2_NS_24const_host_device_scalarIT6_EEPKT1_S9_PKS3_PKT3_PKT4_S6_PT5_21rocsparse_index_base_b.has_recursion, 0
	.set _ZN9rocsparseL21csrmvn_general_kernelILj256ELj4Eli21rocsparse_complex_numIfES2_S2_S2_EEvbT2_NS_24const_host_device_scalarIT6_EEPKT1_S9_PKS3_PKT3_PKT4_S6_PT5_21rocsparse_index_base_b.has_indirect_call, 0
	.section	.AMDGPU.csdata,"",@progbits
; Kernel info:
; codeLenInByte = 896
; TotalNumSgprs: 26
; NumVgprs: 30
; ScratchSize: 0
; MemoryBound: 0
; FloatMode: 240
; IeeeMode: 1
; LDSByteSize: 0 bytes/workgroup (compile time only)
; SGPRBlocks: 0
; VGPRBlocks: 1
; NumSGPRsForWavesPerEU: 26
; NumVGPRsForWavesPerEU: 30
; NamedBarCnt: 0
; Occupancy: 16
; WaveLimiterHint : 1
; COMPUTE_PGM_RSRC2:SCRATCH_EN: 0
; COMPUTE_PGM_RSRC2:USER_SGPR: 2
; COMPUTE_PGM_RSRC2:TRAP_HANDLER: 0
; COMPUTE_PGM_RSRC2:TGID_X_EN: 1
; COMPUTE_PGM_RSRC2:TGID_Y_EN: 0
; COMPUTE_PGM_RSRC2:TGID_Z_EN: 0
; COMPUTE_PGM_RSRC2:TIDIG_COMP_CNT: 0
	.section	.text._ZN9rocsparseL21csrmvn_general_kernelILj256ELj8Eli21rocsparse_complex_numIfES2_S2_S2_EEvbT2_NS_24const_host_device_scalarIT6_EEPKT1_S9_PKS3_PKT3_PKT4_S6_PT5_21rocsparse_index_base_b,"axG",@progbits,_ZN9rocsparseL21csrmvn_general_kernelILj256ELj8Eli21rocsparse_complex_numIfES2_S2_S2_EEvbT2_NS_24const_host_device_scalarIT6_EEPKT1_S9_PKS3_PKT3_PKT4_S6_PT5_21rocsparse_index_base_b,comdat
	.globl	_ZN9rocsparseL21csrmvn_general_kernelILj256ELj8Eli21rocsparse_complex_numIfES2_S2_S2_EEvbT2_NS_24const_host_device_scalarIT6_EEPKT1_S9_PKS3_PKT3_PKT4_S6_PT5_21rocsparse_index_base_b ; -- Begin function _ZN9rocsparseL21csrmvn_general_kernelILj256ELj8Eli21rocsparse_complex_numIfES2_S2_S2_EEvbT2_NS_24const_host_device_scalarIT6_EEPKT1_S9_PKS3_PKT3_PKT4_S6_PT5_21rocsparse_index_base_b
	.p2align	8
	.type	_ZN9rocsparseL21csrmvn_general_kernelILj256ELj8Eli21rocsparse_complex_numIfES2_S2_S2_EEvbT2_NS_24const_host_device_scalarIT6_EEPKT1_S9_PKS3_PKT3_PKT4_S6_PT5_21rocsparse_index_base_b,@function
_ZN9rocsparseL21csrmvn_general_kernelILj256ELj8Eli21rocsparse_complex_numIfES2_S2_S2_EEvbT2_NS_24const_host_device_scalarIT6_EEPKT1_S9_PKS3_PKT3_PKT4_S6_PT5_21rocsparse_index_base_b: ; @_ZN9rocsparseL21csrmvn_general_kernelILj256ELj8Eli21rocsparse_complex_numIfES2_S2_S2_EEvbT2_NS_24const_host_device_scalarIT6_EEPKT1_S9_PKS3_PKT3_PKT4_S6_PT5_21rocsparse_index_base_b
; %bb.0:
	s_clause 0x2
	s_load_b64 s[16:17], s[0:1], 0x48
	s_load_b128 s[12:15], s[0:1], 0x8
	s_load_b64 s[2:3], s[0:1], 0x38
	v_mov_b32_e32 v1, 0
	s_add_nc_u64 s[4:5], s[0:1], 8
	s_add_nc_u64 s[6:7], s[0:1], 56
	s_wait_kmcnt 0x0
	s_bitcmp1_b32 s17, 0
	s_cselect_b32 s5, s5, s13
	s_cselect_b32 s4, s4, s12
	s_cselect_b32 s3, s7, s3
	s_cselect_b32 s2, s6, s2
	s_clause 0x1
	flat_load_b64 v[2:3], v1, s[4:5]
	flat_load_b64 v[4:5], v1, s[2:3]
	s_wait_loadcnt_dscnt 0x101
	v_cmp_neq_f32_e32 vcc_lo, 0, v2
	s_wait_xcnt 0x0
	v_cmp_neq_f32_e64 s2, 0, v3
	s_wait_loadcnt_dscnt 0x0
	v_cmp_neq_f32_e64 s3, 1.0, v4
	v_cmp_neq_f32_e64 s4, 0, v5
	s_or_b32 s2, vcc_lo, s2
	s_or_b32 s3, s3, s4
	s_delay_alu instid0(SALU_CYCLE_1) | instskip(NEXT) | instid1(SALU_CYCLE_1)
	s_or_b32 s2, s2, s3
	s_and_saveexec_b32 s3, s2
	s_cbranch_execz .LBB79_12
; %bb.1:
	s_bfe_u32 s4, ttmp6, 0x4000c
	s_load_b64 s[2:3], s[0:1], 0x0
	s_add_co_i32 s4, s4, 1
	s_and_b32 s5, ttmp6, 15
	s_mul_i32 s4, ttmp9, s4
	s_getreg_b32 s6, hwreg(HW_REG_IB_STS2, 6, 4)
	s_add_co_i32 s5, s5, s4
	s_cmp_eq_u32 s6, 0
	s_cselect_b32 s4, ttmp9, s5
	s_delay_alu instid0(SALU_CYCLE_1) | instskip(NEXT) | instid1(VALU_DEP_1)
	v_lshl_or_b32 v1, s4, 8, v0
	v_lshrrev_b32_e32 v6, 3, v1
	s_wait_kmcnt 0x0
	s_delay_alu instid0(VALU_DEP_1)
	v_cmp_gt_i32_e32 vcc_lo, s3, v6
	s_and_b32 exec_lo, exec_lo, vcc_lo
	s_cbranch_execz .LBB79_12
; %bb.2:
	v_mbcnt_lo_u32_b32 v1, -1, 0
	s_clause 0x2
	s_load_b32 s18, s[0:1], 0x50
	s_load_b64 s[12:13], s[0:1], 0x40
	s_load_b256 s[4:11], s[0:1], 0x18
	v_dual_mov_b32 v11, 0 :: v_dual_bitop2_b32 v10, 7, v0 bitop3:0x40
	s_mov_b32 s17, 0
	v_xor_b32_e32 v12, 2, v1
	v_xor_b32_e32 v7, 4, v1
	s_wait_xcnt 0x0
	s_mov_b32 s0, s16
	v_sub_nc_u64_e64 v[8:9], v[10:11], s[16:17]
	v_xor_b32_e32 v0, 0x80000000, v3
	s_mov_b32 s19, s17
	v_cmp_gt_i32_e32 vcc_lo, 32, v7
	v_dual_cndmask_b32 v7, v1, v7, vcc_lo :: v_dual_bitop2_b32 v11, 1, v1 bitop3:0x14
	v_cmp_gt_i32_e32 vcc_lo, 32, v12
	s_wait_kmcnt 0x0
	s_lshl_b32 s18, s18, 5
	s_bitcmp1_b32 s2, 0
	v_lshlrev_b32_e32 v22, 2, v7
	s_cselect_b32 s2, -1, 0
	v_cndmask_b32_e32 v12, v1, v12, vcc_lo
	v_cmp_gt_i32_e32 vcc_lo, 32, v11
	s_ashr_i32 s1, s16, 31
	s_add_nc_u64 s[8:9], s[8:9], 4
	s_lshl_b64 s[0:1], s[0:1], 3
	v_dual_lshlrev_b32 v23, 2, v12 :: v_dual_cndmask_b32 v1, v1, v11, vcc_lo
	s_sub_nc_u64 s[10:11], s[10:11], s[0:1]
	v_cmp_neq_f32_e64 s0, 0, v4
	v_cmp_neq_f32_e64 s1, 0, v5
	v_cmp_eq_u32_e32 vcc_lo, 7, v10
	v_dual_mov_b32 v11, v4 :: v_dual_lshlrev_b32 v24, 2, v1
	v_xor_b32_e32 v10, 0x80000000, v5
	v_mov_b32_e32 v1, v2
	s_or_b32 s1, s0, s1
	s_branch .LBB79_5
.LBB79_3:                               ;   in Loop: Header=BB79_5 Depth=1
	s_wait_xcnt 0x0
	s_or_b32 exec_lo, exec_lo, s20
	global_store_b64 v[12:13], v[14:15], off
.LBB79_4:                               ;   in Loop: Header=BB79_5 Depth=1
	s_wait_xcnt 0x0
	s_or_b32 exec_lo, exec_lo, s0
	v_add_nc_u32_e32 v6, s18, v6
	s_delay_alu instid0(VALU_DEP_1) | instskip(SKIP_1) | instid1(SALU_CYCLE_1)
	v_cmp_le_i32_e64 s0, s3, v6
	s_or_b32 s19, s0, s19
	s_and_not1_b32 exec_lo, exec_lo, s19
	s_cbranch_execz .LBB79_12
.LBB79_5:                               ; =>This Loop Header: Depth=1
                                        ;     Child Loop BB79_7 Depth 2
	s_clause 0x1
	global_load_b64 v[12:13], v6, s[4:5] scale_offset
	global_load_b64 v[16:17], v6, s[14:15] scale_offset
	s_mov_b32 s20, exec_lo
	s_wait_loadcnt_dscnt 0x100
	v_sub_nc_u64_e64 v[14:15], v[12:13], s[16:17]
	s_wait_loadcnt 0x0
	v_add_nc_u64_e32 v[16:17], v[16:17], v[8:9]
	v_dual_mov_b32 v13, 0 :: v_dual_mov_b32 v12, 0
	s_wait_xcnt 0x0
	s_delay_alu instid0(VALU_DEP_2)
	v_cmpx_lt_i64_e64 v[16:17], v[14:15]
	s_cbranch_execz .LBB79_9
; %bb.6:                                ;   in Loop: Header=BB79_5 Depth=1
	v_mov_b32_e32 v12, 0
	v_lshl_add_u64 v[18:19], v[16:17], 3, s[8:9]
	v_lshl_add_u64 v[20:21], v[16:17], 2, s[6:7]
	s_mov_b32 s21, 0
	s_delay_alu instid0(VALU_DEP_3)
	v_mov_b32_e32 v13, v12
.LBB79_7:                               ;   Parent Loop BB79_5 Depth=1
                                        ; =>  This Inner Loop Header: Depth=2
	global_load_b32 v7, v[20:21], off
	global_load_b64 v[26:27], v[18:19], off offset:-4
	v_add_nc_u64_e32 v[16:17], 8, v[16:17]
	s_wait_xcnt 0x0
	v_add_nc_u64_e32 v[18:19], 64, v[18:19]
	v_add_nc_u64_e32 v[20:21], 32, v[20:21]
	s_delay_alu instid0(VALU_DEP_3)
	v_cmp_ge_i64_e64 s0, v[16:17], v[14:15]
	s_or_b32 s21, s0, s21
	s_wait_loadcnt 0x1
	global_load_b64 v[28:29], v7, s[10:11] scale_offset
	s_wait_loadcnt 0x1
	v_cndmask_b32_e64 v30, v27, -v27, s2
	s_delay_alu instid0(VALU_DEP_1) | instskip(NEXT) | instid1(VALU_DEP_1)
	v_pk_mul_f32 v[30:31], v[30:31], v[0:1] op_sel_hi:[0,1]
	v_pk_fma_f32 v[26:27], v[2:3], v[26:27], v[30:31] op_sel_hi:[1,0,1]
	s_wait_loadcnt 0x0
	s_delay_alu instid0(VALU_DEP_1) | instskip(NEXT) | instid1(VALU_DEP_1)
	v_pk_fma_f32 v[12:13], v[26:27], v[28:29], v[12:13] op_sel_hi:[1,0,1]
	v_pk_fma_f32 v[12:13], v[26:27], v[28:29], v[12:13] op_sel:[1,1,0] op_sel_hi:[0,1,1] neg_lo:[1,0,0]
	s_wait_xcnt 0x0
	s_and_not1_b32 exec_lo, exec_lo, s21
	s_cbranch_execnz .LBB79_7
; %bb.8:                                ;   in Loop: Header=BB79_5 Depth=1
	s_or_b32 exec_lo, exec_lo, s21
.LBB79_9:                               ;   in Loop: Header=BB79_5 Depth=1
	s_delay_alu instid0(SALU_CYCLE_1)
	s_or_b32 exec_lo, exec_lo, s20
	ds_bpermute_b32 v14, v22, v12
	ds_bpermute_b32 v15, v22, v13
	v_ashrrev_i32_e32 v7, 31, v6
	s_wait_dscnt 0x0
	v_pk_add_f32 v[12:13], v[12:13], v[14:15]
	ds_bpermute_b32 v14, v23, v12
	ds_bpermute_b32 v15, v23, v13
	s_wait_dscnt 0x0
	v_pk_add_f32 v[12:13], v[12:13], v[14:15]
	ds_bpermute_b32 v14, v24, v12
	ds_bpermute_b32 v15, v24, v13
	s_and_saveexec_b32 s0, vcc_lo
	s_cbranch_execz .LBB79_4
; %bb.10:                               ;   in Loop: Header=BB79_5 Depth=1
	s_wait_dscnt 0x0
	v_pk_add_f32 v[14:15], v[12:13], v[14:15]
	v_lshl_add_u64 v[12:13], v[6:7], 3, s[12:13]
	s_and_saveexec_b32 s20, s1
	s_cbranch_execz .LBB79_3
; %bb.11:                               ;   in Loop: Header=BB79_5 Depth=1
	global_load_b64 v[16:17], v[12:13], off
	s_wait_loadcnt 0x0
	v_pk_fma_f32 v[14:15], v[4:5], v[16:17], v[14:15] op_sel_hi:[1,0,1]
	s_delay_alu instid0(VALU_DEP_1)
	v_pk_fma_f32 v[14:15], v[10:11], v[16:17], v[14:15] op_sel:[0,1,0]
	s_branch .LBB79_3
.LBB79_12:
	s_endpgm
	.section	.rodata,"a",@progbits
	.p2align	6, 0x0
	.amdhsa_kernel _ZN9rocsparseL21csrmvn_general_kernelILj256ELj8Eli21rocsparse_complex_numIfES2_S2_S2_EEvbT2_NS_24const_host_device_scalarIT6_EEPKT1_S9_PKS3_PKT3_PKT4_S6_PT5_21rocsparse_index_base_b
		.amdhsa_group_segment_fixed_size 0
		.amdhsa_private_segment_fixed_size 0
		.amdhsa_kernarg_size 336
		.amdhsa_user_sgpr_count 2
		.amdhsa_user_sgpr_dispatch_ptr 0
		.amdhsa_user_sgpr_queue_ptr 0
		.amdhsa_user_sgpr_kernarg_segment_ptr 1
		.amdhsa_user_sgpr_dispatch_id 0
		.amdhsa_user_sgpr_kernarg_preload_length 0
		.amdhsa_user_sgpr_kernarg_preload_offset 0
		.amdhsa_user_sgpr_private_segment_size 0
		.amdhsa_wavefront_size32 1
		.amdhsa_uses_dynamic_stack 0
		.amdhsa_enable_private_segment 0
		.amdhsa_system_sgpr_workgroup_id_x 1
		.amdhsa_system_sgpr_workgroup_id_y 0
		.amdhsa_system_sgpr_workgroup_id_z 0
		.amdhsa_system_sgpr_workgroup_info 0
		.amdhsa_system_vgpr_workitem_id 0
		.amdhsa_next_free_vgpr 32
		.amdhsa_next_free_sgpr 22
		.amdhsa_named_barrier_count 0
		.amdhsa_reserve_vcc 1
		.amdhsa_float_round_mode_32 0
		.amdhsa_float_round_mode_16_64 0
		.amdhsa_float_denorm_mode_32 3
		.amdhsa_float_denorm_mode_16_64 3
		.amdhsa_fp16_overflow 0
		.amdhsa_memory_ordered 1
		.amdhsa_forward_progress 1
		.amdhsa_inst_pref_size 8
		.amdhsa_round_robin_scheduling 0
		.amdhsa_exception_fp_ieee_invalid_op 0
		.amdhsa_exception_fp_denorm_src 0
		.amdhsa_exception_fp_ieee_div_zero 0
		.amdhsa_exception_fp_ieee_overflow 0
		.amdhsa_exception_fp_ieee_underflow 0
		.amdhsa_exception_fp_ieee_inexact 0
		.amdhsa_exception_int_div_zero 0
	.end_amdhsa_kernel
	.section	.text._ZN9rocsparseL21csrmvn_general_kernelILj256ELj8Eli21rocsparse_complex_numIfES2_S2_S2_EEvbT2_NS_24const_host_device_scalarIT6_EEPKT1_S9_PKS3_PKT3_PKT4_S6_PT5_21rocsparse_index_base_b,"axG",@progbits,_ZN9rocsparseL21csrmvn_general_kernelILj256ELj8Eli21rocsparse_complex_numIfES2_S2_S2_EEvbT2_NS_24const_host_device_scalarIT6_EEPKT1_S9_PKS3_PKT3_PKT4_S6_PT5_21rocsparse_index_base_b,comdat
.Lfunc_end79:
	.size	_ZN9rocsparseL21csrmvn_general_kernelILj256ELj8Eli21rocsparse_complex_numIfES2_S2_S2_EEvbT2_NS_24const_host_device_scalarIT6_EEPKT1_S9_PKS3_PKT3_PKT4_S6_PT5_21rocsparse_index_base_b, .Lfunc_end79-_ZN9rocsparseL21csrmvn_general_kernelILj256ELj8Eli21rocsparse_complex_numIfES2_S2_S2_EEvbT2_NS_24const_host_device_scalarIT6_EEPKT1_S9_PKS3_PKT3_PKT4_S6_PT5_21rocsparse_index_base_b
                                        ; -- End function
	.set _ZN9rocsparseL21csrmvn_general_kernelILj256ELj8Eli21rocsparse_complex_numIfES2_S2_S2_EEvbT2_NS_24const_host_device_scalarIT6_EEPKT1_S9_PKS3_PKT3_PKT4_S6_PT5_21rocsparse_index_base_b.num_vgpr, 32
	.set _ZN9rocsparseL21csrmvn_general_kernelILj256ELj8Eli21rocsparse_complex_numIfES2_S2_S2_EEvbT2_NS_24const_host_device_scalarIT6_EEPKT1_S9_PKS3_PKT3_PKT4_S6_PT5_21rocsparse_index_base_b.num_agpr, 0
	.set _ZN9rocsparseL21csrmvn_general_kernelILj256ELj8Eli21rocsparse_complex_numIfES2_S2_S2_EEvbT2_NS_24const_host_device_scalarIT6_EEPKT1_S9_PKS3_PKT3_PKT4_S6_PT5_21rocsparse_index_base_b.numbered_sgpr, 22
	.set _ZN9rocsparseL21csrmvn_general_kernelILj256ELj8Eli21rocsparse_complex_numIfES2_S2_S2_EEvbT2_NS_24const_host_device_scalarIT6_EEPKT1_S9_PKS3_PKT3_PKT4_S6_PT5_21rocsparse_index_base_b.num_named_barrier, 0
	.set _ZN9rocsparseL21csrmvn_general_kernelILj256ELj8Eli21rocsparse_complex_numIfES2_S2_S2_EEvbT2_NS_24const_host_device_scalarIT6_EEPKT1_S9_PKS3_PKT3_PKT4_S6_PT5_21rocsparse_index_base_b.private_seg_size, 0
	.set _ZN9rocsparseL21csrmvn_general_kernelILj256ELj8Eli21rocsparse_complex_numIfES2_S2_S2_EEvbT2_NS_24const_host_device_scalarIT6_EEPKT1_S9_PKS3_PKT3_PKT4_S6_PT5_21rocsparse_index_base_b.uses_vcc, 1
	.set _ZN9rocsparseL21csrmvn_general_kernelILj256ELj8Eli21rocsparse_complex_numIfES2_S2_S2_EEvbT2_NS_24const_host_device_scalarIT6_EEPKT1_S9_PKS3_PKT3_PKT4_S6_PT5_21rocsparse_index_base_b.uses_flat_scratch, 1
	.set _ZN9rocsparseL21csrmvn_general_kernelILj256ELj8Eli21rocsparse_complex_numIfES2_S2_S2_EEvbT2_NS_24const_host_device_scalarIT6_EEPKT1_S9_PKS3_PKT3_PKT4_S6_PT5_21rocsparse_index_base_b.has_dyn_sized_stack, 0
	.set _ZN9rocsparseL21csrmvn_general_kernelILj256ELj8Eli21rocsparse_complex_numIfES2_S2_S2_EEvbT2_NS_24const_host_device_scalarIT6_EEPKT1_S9_PKS3_PKT3_PKT4_S6_PT5_21rocsparse_index_base_b.has_recursion, 0
	.set _ZN9rocsparseL21csrmvn_general_kernelILj256ELj8Eli21rocsparse_complex_numIfES2_S2_S2_EEvbT2_NS_24const_host_device_scalarIT6_EEPKT1_S9_PKS3_PKT3_PKT4_S6_PT5_21rocsparse_index_base_b.has_indirect_call, 0
	.section	.AMDGPU.csdata,"",@progbits
; Kernel info:
; codeLenInByte = 924
; TotalNumSgprs: 24
; NumVgprs: 32
; ScratchSize: 0
; MemoryBound: 0
; FloatMode: 240
; IeeeMode: 1
; LDSByteSize: 0 bytes/workgroup (compile time only)
; SGPRBlocks: 0
; VGPRBlocks: 1
; NumSGPRsForWavesPerEU: 24
; NumVGPRsForWavesPerEU: 32
; NamedBarCnt: 0
; Occupancy: 16
; WaveLimiterHint : 1
; COMPUTE_PGM_RSRC2:SCRATCH_EN: 0
; COMPUTE_PGM_RSRC2:USER_SGPR: 2
; COMPUTE_PGM_RSRC2:TRAP_HANDLER: 0
; COMPUTE_PGM_RSRC2:TGID_X_EN: 1
; COMPUTE_PGM_RSRC2:TGID_Y_EN: 0
; COMPUTE_PGM_RSRC2:TGID_Z_EN: 0
; COMPUTE_PGM_RSRC2:TIDIG_COMP_CNT: 0
	.section	.text._ZN9rocsparseL21csrmvn_general_kernelILj256ELj16Eli21rocsparse_complex_numIfES2_S2_S2_EEvbT2_NS_24const_host_device_scalarIT6_EEPKT1_S9_PKS3_PKT3_PKT4_S6_PT5_21rocsparse_index_base_b,"axG",@progbits,_ZN9rocsparseL21csrmvn_general_kernelILj256ELj16Eli21rocsparse_complex_numIfES2_S2_S2_EEvbT2_NS_24const_host_device_scalarIT6_EEPKT1_S9_PKS3_PKT3_PKT4_S6_PT5_21rocsparse_index_base_b,comdat
	.globl	_ZN9rocsparseL21csrmvn_general_kernelILj256ELj16Eli21rocsparse_complex_numIfES2_S2_S2_EEvbT2_NS_24const_host_device_scalarIT6_EEPKT1_S9_PKS3_PKT3_PKT4_S6_PT5_21rocsparse_index_base_b ; -- Begin function _ZN9rocsparseL21csrmvn_general_kernelILj256ELj16Eli21rocsparse_complex_numIfES2_S2_S2_EEvbT2_NS_24const_host_device_scalarIT6_EEPKT1_S9_PKS3_PKT3_PKT4_S6_PT5_21rocsparse_index_base_b
	.p2align	8
	.type	_ZN9rocsparseL21csrmvn_general_kernelILj256ELj16Eli21rocsparse_complex_numIfES2_S2_S2_EEvbT2_NS_24const_host_device_scalarIT6_EEPKT1_S9_PKS3_PKT3_PKT4_S6_PT5_21rocsparse_index_base_b,@function
_ZN9rocsparseL21csrmvn_general_kernelILj256ELj16Eli21rocsparse_complex_numIfES2_S2_S2_EEvbT2_NS_24const_host_device_scalarIT6_EEPKT1_S9_PKS3_PKT3_PKT4_S6_PT5_21rocsparse_index_base_b: ; @_ZN9rocsparseL21csrmvn_general_kernelILj256ELj16Eli21rocsparse_complex_numIfES2_S2_S2_EEvbT2_NS_24const_host_device_scalarIT6_EEPKT1_S9_PKS3_PKT3_PKT4_S6_PT5_21rocsparse_index_base_b
; %bb.0:
	s_clause 0x2
	s_load_b64 s[16:17], s[0:1], 0x48
	s_load_b128 s[12:15], s[0:1], 0x8
	s_load_b64 s[2:3], s[0:1], 0x38
	v_mov_b32_e32 v1, 0
	s_add_nc_u64 s[4:5], s[0:1], 8
	s_add_nc_u64 s[6:7], s[0:1], 56
	s_wait_kmcnt 0x0
	s_bitcmp1_b32 s17, 0
	s_cselect_b32 s5, s5, s13
	s_cselect_b32 s4, s4, s12
	;; [unrolled: 1-line block ×4, first 2 shown]
	s_clause 0x1
	flat_load_b64 v[2:3], v1, s[4:5]
	flat_load_b64 v[4:5], v1, s[2:3]
	s_wait_loadcnt_dscnt 0x101
	v_cmp_neq_f32_e32 vcc_lo, 0, v2
	s_wait_xcnt 0x0
	v_cmp_neq_f32_e64 s2, 0, v3
	s_wait_loadcnt_dscnt 0x0
	v_cmp_neq_f32_e64 s3, 1.0, v4
	v_cmp_neq_f32_e64 s4, 0, v5
	s_or_b32 s2, vcc_lo, s2
	s_or_b32 s3, s3, s4
	s_delay_alu instid0(SALU_CYCLE_1) | instskip(NEXT) | instid1(SALU_CYCLE_1)
	s_or_b32 s2, s2, s3
	s_and_saveexec_b32 s3, s2
	s_cbranch_execz .LBB80_12
; %bb.1:
	s_bfe_u32 s4, ttmp6, 0x4000c
	s_load_b64 s[2:3], s[0:1], 0x0
	s_add_co_i32 s4, s4, 1
	s_and_b32 s5, ttmp6, 15
	s_mul_i32 s4, ttmp9, s4
	s_getreg_b32 s6, hwreg(HW_REG_IB_STS2, 6, 4)
	s_add_co_i32 s5, s5, s4
	s_cmp_eq_u32 s6, 0
	s_cselect_b32 s4, ttmp9, s5
	s_delay_alu instid0(SALU_CYCLE_1) | instskip(NEXT) | instid1(VALU_DEP_1)
	v_lshl_or_b32 v1, s4, 8, v0
	v_lshrrev_b32_e32 v6, 4, v1
	s_wait_kmcnt 0x0
	s_delay_alu instid0(VALU_DEP_1)
	v_cmp_gt_i32_e32 vcc_lo, s3, v6
	s_and_b32 exec_lo, exec_lo, vcc_lo
	s_cbranch_execz .LBB80_12
; %bb.2:
	v_dual_mov_b32 v11, 0 :: v_dual_bitop2_b32 v10, 15, v0 bitop3:0x40
	v_mbcnt_lo_u32_b32 v1, -1, 0
	s_mov_b32 s17, 0
	s_clause 0x2
	s_load_b32 s18, s[0:1], 0x50
	s_load_b64 s[12:13], s[0:1], 0x40
	s_load_b256 s[4:11], s[0:1], 0x18
	s_wait_xcnt 0x0
	s_mov_b32 s0, s16
	v_sub_nc_u64_e64 v[8:9], v[10:11], s[16:17]
	v_xor_b32_e32 v11, 4, v1
	v_xor_b32_e32 v7, 8, v1
	;; [unrolled: 1-line block ×3, first 2 shown]
	s_mov_b32 s19, s17
	s_delay_alu instid0(VALU_DEP_2) | instskip(SKIP_4) | instid1(VALU_DEP_2)
	v_cmp_gt_i32_e32 vcc_lo, 32, v7
	v_dual_cndmask_b32 v7, v1, v7, vcc_lo :: v_dual_bitop2_b32 v12, 2, v1 bitop3:0x14
	v_cmp_gt_i32_e32 vcc_lo, 32, v11
	s_wait_kmcnt 0x0
	s_lshl_b32 s18, s18, 4
	v_lshlrev_b32_e32 v22, 2, v7
	s_bitcmp1_b32 s2, 0
	v_cndmask_b32_e32 v11, v1, v11, vcc_lo
	v_cmp_gt_i32_e32 vcc_lo, 32, v12
	v_xor_b32_e32 v13, 1, v1
	s_cselect_b32 s2, -1, 0
	s_ashr_i32 s1, s16, 31
	v_dual_cndmask_b32 v12, v1, v12 :: v_dual_lshlrev_b32 v23, 2, v11
	s_delay_alu instid0(VALU_DEP_2)
	v_cmp_gt_i32_e32 vcc_lo, 32, v13
	s_lshl_b64 s[0:1], s[0:1], 3
	v_mov_b32_e32 v11, v4
	s_sub_nc_u64 s[10:11], s[10:11], s[0:1]
	v_cmp_neq_f32_e64 s0, 0, v4
	v_cndmask_b32_e32 v1, v1, v13, vcc_lo
	v_cmp_neq_f32_e64 s1, 0, v5
	v_lshlrev_b32_e32 v24, 2, v12
	v_cmp_eq_u32_e32 vcc_lo, 15, v10
	v_xor_b32_e32 v10, 0x80000000, v5
	v_dual_lshlrev_b32 v25, 2, v1 :: v_dual_mov_b32 v1, v2
	s_or_b32 s1, s0, s1
	s_add_nc_u64 s[8:9], s[8:9], 4
	s_branch .LBB80_5
.LBB80_3:                               ;   in Loop: Header=BB80_5 Depth=1
	s_wait_xcnt 0x0
	s_or_b32 exec_lo, exec_lo, s20
	global_store_b64 v[12:13], v[14:15], off
.LBB80_4:                               ;   in Loop: Header=BB80_5 Depth=1
	s_wait_xcnt 0x0
	s_or_b32 exec_lo, exec_lo, s0
	v_add_nc_u32_e32 v6, s18, v6
	s_delay_alu instid0(VALU_DEP_1) | instskip(SKIP_1) | instid1(SALU_CYCLE_1)
	v_cmp_le_i32_e64 s0, s3, v6
	s_or_b32 s19, s0, s19
	s_and_not1_b32 exec_lo, exec_lo, s19
	s_cbranch_execz .LBB80_12
.LBB80_5:                               ; =>This Loop Header: Depth=1
                                        ;     Child Loop BB80_7 Depth 2
	s_clause 0x1
	global_load_b64 v[12:13], v6, s[4:5] scale_offset
	global_load_b64 v[16:17], v6, s[14:15] scale_offset
	s_mov_b32 s20, exec_lo
	s_wait_loadcnt_dscnt 0x100
	v_sub_nc_u64_e64 v[14:15], v[12:13], s[16:17]
	s_wait_loadcnt 0x0
	v_add_nc_u64_e32 v[16:17], v[16:17], v[8:9]
	v_dual_mov_b32 v13, 0 :: v_dual_mov_b32 v12, 0
	s_wait_xcnt 0x0
	s_delay_alu instid0(VALU_DEP_2)
	v_cmpx_lt_i64_e64 v[16:17], v[14:15]
	s_cbranch_execz .LBB80_9
; %bb.6:                                ;   in Loop: Header=BB80_5 Depth=1
	v_mov_b32_e32 v12, 0
	v_lshl_add_u64 v[18:19], v[16:17], 3, s[8:9]
	v_lshl_add_u64 v[20:21], v[16:17], 2, s[6:7]
	s_mov_b32 s21, 0
	s_delay_alu instid0(VALU_DEP_3)
	v_mov_b32_e32 v13, v12
.LBB80_7:                               ;   Parent Loop BB80_5 Depth=1
                                        ; =>  This Inner Loop Header: Depth=2
	global_load_b32 v7, v[20:21], off
	global_load_b64 v[26:27], v[18:19], off offset:-4
	v_add_nc_u64_e32 v[16:17], 16, v[16:17]
	s_wait_xcnt 0x0
	v_add_nc_u64_e32 v[18:19], 0x80, v[18:19]
	v_add_nc_u64_e32 v[20:21], 64, v[20:21]
	s_delay_alu instid0(VALU_DEP_3)
	v_cmp_ge_i64_e64 s0, v[16:17], v[14:15]
	s_or_b32 s21, s0, s21
	s_wait_loadcnt 0x1
	global_load_b64 v[28:29], v7, s[10:11] scale_offset
	s_wait_loadcnt 0x1
	v_cndmask_b32_e64 v30, v27, -v27, s2
	s_delay_alu instid0(VALU_DEP_1) | instskip(NEXT) | instid1(VALU_DEP_1)
	v_pk_mul_f32 v[30:31], v[30:31], v[0:1] op_sel_hi:[0,1]
	v_pk_fma_f32 v[26:27], v[2:3], v[26:27], v[30:31] op_sel_hi:[1,0,1]
	s_wait_loadcnt 0x0
	s_delay_alu instid0(VALU_DEP_1) | instskip(NEXT) | instid1(VALU_DEP_1)
	v_pk_fma_f32 v[12:13], v[26:27], v[28:29], v[12:13] op_sel_hi:[1,0,1]
	v_pk_fma_f32 v[12:13], v[26:27], v[28:29], v[12:13] op_sel:[1,1,0] op_sel_hi:[0,1,1] neg_lo:[1,0,0]
	s_wait_xcnt 0x0
	s_and_not1_b32 exec_lo, exec_lo, s21
	s_cbranch_execnz .LBB80_7
; %bb.8:                                ;   in Loop: Header=BB80_5 Depth=1
	s_or_b32 exec_lo, exec_lo, s21
.LBB80_9:                               ;   in Loop: Header=BB80_5 Depth=1
	s_delay_alu instid0(SALU_CYCLE_1)
	s_or_b32 exec_lo, exec_lo, s20
	ds_bpermute_b32 v14, v22, v12
	ds_bpermute_b32 v15, v22, v13
	v_ashrrev_i32_e32 v7, 31, v6
	s_wait_dscnt 0x0
	v_pk_add_f32 v[12:13], v[12:13], v[14:15]
	ds_bpermute_b32 v14, v23, v12
	ds_bpermute_b32 v15, v23, v13
	s_wait_dscnt 0x0
	v_pk_add_f32 v[12:13], v[12:13], v[14:15]
	ds_bpermute_b32 v14, v24, v12
	ds_bpermute_b32 v15, v24, v13
	;; [unrolled: 4-line block ×3, first 2 shown]
	s_and_saveexec_b32 s0, vcc_lo
	s_cbranch_execz .LBB80_4
; %bb.10:                               ;   in Loop: Header=BB80_5 Depth=1
	s_wait_dscnt 0x0
	v_pk_add_f32 v[14:15], v[12:13], v[14:15]
	v_lshl_add_u64 v[12:13], v[6:7], 3, s[12:13]
	s_and_saveexec_b32 s20, s1
	s_cbranch_execz .LBB80_3
; %bb.11:                               ;   in Loop: Header=BB80_5 Depth=1
	global_load_b64 v[16:17], v[12:13], off
	s_wait_loadcnt 0x0
	v_pk_fma_f32 v[14:15], v[4:5], v[16:17], v[14:15] op_sel_hi:[1,0,1]
	s_delay_alu instid0(VALU_DEP_1)
	v_pk_fma_f32 v[14:15], v[10:11], v[16:17], v[14:15] op_sel:[0,1,0]
	s_branch .LBB80_3
.LBB80_12:
	s_endpgm
	.section	.rodata,"a",@progbits
	.p2align	6, 0x0
	.amdhsa_kernel _ZN9rocsparseL21csrmvn_general_kernelILj256ELj16Eli21rocsparse_complex_numIfES2_S2_S2_EEvbT2_NS_24const_host_device_scalarIT6_EEPKT1_S9_PKS3_PKT3_PKT4_S6_PT5_21rocsparse_index_base_b
		.amdhsa_group_segment_fixed_size 0
		.amdhsa_private_segment_fixed_size 0
		.amdhsa_kernarg_size 336
		.amdhsa_user_sgpr_count 2
		.amdhsa_user_sgpr_dispatch_ptr 0
		.amdhsa_user_sgpr_queue_ptr 0
		.amdhsa_user_sgpr_kernarg_segment_ptr 1
		.amdhsa_user_sgpr_dispatch_id 0
		.amdhsa_user_sgpr_kernarg_preload_length 0
		.amdhsa_user_sgpr_kernarg_preload_offset 0
		.amdhsa_user_sgpr_private_segment_size 0
		.amdhsa_wavefront_size32 1
		.amdhsa_uses_dynamic_stack 0
		.amdhsa_enable_private_segment 0
		.amdhsa_system_sgpr_workgroup_id_x 1
		.amdhsa_system_sgpr_workgroup_id_y 0
		.amdhsa_system_sgpr_workgroup_id_z 0
		.amdhsa_system_sgpr_workgroup_info 0
		.amdhsa_system_vgpr_workitem_id 0
		.amdhsa_next_free_vgpr 32
		.amdhsa_next_free_sgpr 22
		.amdhsa_named_barrier_count 0
		.amdhsa_reserve_vcc 1
		.amdhsa_float_round_mode_32 0
		.amdhsa_float_round_mode_16_64 0
		.amdhsa_float_denorm_mode_32 3
		.amdhsa_float_denorm_mode_16_64 3
		.amdhsa_fp16_overflow 0
		.amdhsa_memory_ordered 1
		.amdhsa_forward_progress 1
		.amdhsa_inst_pref_size 8
		.amdhsa_round_robin_scheduling 0
		.amdhsa_exception_fp_ieee_invalid_op 0
		.amdhsa_exception_fp_denorm_src 0
		.amdhsa_exception_fp_ieee_div_zero 0
		.amdhsa_exception_fp_ieee_overflow 0
		.amdhsa_exception_fp_ieee_underflow 0
		.amdhsa_exception_fp_ieee_inexact 0
		.amdhsa_exception_int_div_zero 0
	.end_amdhsa_kernel
	.section	.text._ZN9rocsparseL21csrmvn_general_kernelILj256ELj16Eli21rocsparse_complex_numIfES2_S2_S2_EEvbT2_NS_24const_host_device_scalarIT6_EEPKT1_S9_PKS3_PKT3_PKT4_S6_PT5_21rocsparse_index_base_b,"axG",@progbits,_ZN9rocsparseL21csrmvn_general_kernelILj256ELj16Eli21rocsparse_complex_numIfES2_S2_S2_EEvbT2_NS_24const_host_device_scalarIT6_EEPKT1_S9_PKS3_PKT3_PKT4_S6_PT5_21rocsparse_index_base_b,comdat
.Lfunc_end80:
	.size	_ZN9rocsparseL21csrmvn_general_kernelILj256ELj16Eli21rocsparse_complex_numIfES2_S2_S2_EEvbT2_NS_24const_host_device_scalarIT6_EEPKT1_S9_PKS3_PKT3_PKT4_S6_PT5_21rocsparse_index_base_b, .Lfunc_end80-_ZN9rocsparseL21csrmvn_general_kernelILj256ELj16Eli21rocsparse_complex_numIfES2_S2_S2_EEvbT2_NS_24const_host_device_scalarIT6_EEPKT1_S9_PKS3_PKT3_PKT4_S6_PT5_21rocsparse_index_base_b
                                        ; -- End function
	.set _ZN9rocsparseL21csrmvn_general_kernelILj256ELj16Eli21rocsparse_complex_numIfES2_S2_S2_EEvbT2_NS_24const_host_device_scalarIT6_EEPKT1_S9_PKS3_PKT3_PKT4_S6_PT5_21rocsparse_index_base_b.num_vgpr, 32
	.set _ZN9rocsparseL21csrmvn_general_kernelILj256ELj16Eli21rocsparse_complex_numIfES2_S2_S2_EEvbT2_NS_24const_host_device_scalarIT6_EEPKT1_S9_PKS3_PKT3_PKT4_S6_PT5_21rocsparse_index_base_b.num_agpr, 0
	.set _ZN9rocsparseL21csrmvn_general_kernelILj256ELj16Eli21rocsparse_complex_numIfES2_S2_S2_EEvbT2_NS_24const_host_device_scalarIT6_EEPKT1_S9_PKS3_PKT3_PKT4_S6_PT5_21rocsparse_index_base_b.numbered_sgpr, 22
	.set _ZN9rocsparseL21csrmvn_general_kernelILj256ELj16Eli21rocsparse_complex_numIfES2_S2_S2_EEvbT2_NS_24const_host_device_scalarIT6_EEPKT1_S9_PKS3_PKT3_PKT4_S6_PT5_21rocsparse_index_base_b.num_named_barrier, 0
	.set _ZN9rocsparseL21csrmvn_general_kernelILj256ELj16Eli21rocsparse_complex_numIfES2_S2_S2_EEvbT2_NS_24const_host_device_scalarIT6_EEPKT1_S9_PKS3_PKT3_PKT4_S6_PT5_21rocsparse_index_base_b.private_seg_size, 0
	.set _ZN9rocsparseL21csrmvn_general_kernelILj256ELj16Eli21rocsparse_complex_numIfES2_S2_S2_EEvbT2_NS_24const_host_device_scalarIT6_EEPKT1_S9_PKS3_PKT3_PKT4_S6_PT5_21rocsparse_index_base_b.uses_vcc, 1
	.set _ZN9rocsparseL21csrmvn_general_kernelILj256ELj16Eli21rocsparse_complex_numIfES2_S2_S2_EEvbT2_NS_24const_host_device_scalarIT6_EEPKT1_S9_PKS3_PKT3_PKT4_S6_PT5_21rocsparse_index_base_b.uses_flat_scratch, 1
	.set _ZN9rocsparseL21csrmvn_general_kernelILj256ELj16Eli21rocsparse_complex_numIfES2_S2_S2_EEvbT2_NS_24const_host_device_scalarIT6_EEPKT1_S9_PKS3_PKT3_PKT4_S6_PT5_21rocsparse_index_base_b.has_dyn_sized_stack, 0
	.set _ZN9rocsparseL21csrmvn_general_kernelILj256ELj16Eli21rocsparse_complex_numIfES2_S2_S2_EEvbT2_NS_24const_host_device_scalarIT6_EEPKT1_S9_PKS3_PKT3_PKT4_S6_PT5_21rocsparse_index_base_b.has_recursion, 0
	.set _ZN9rocsparseL21csrmvn_general_kernelILj256ELj16Eli21rocsparse_complex_numIfES2_S2_S2_EEvbT2_NS_24const_host_device_scalarIT6_EEPKT1_S9_PKS3_PKT3_PKT4_S6_PT5_21rocsparse_index_base_b.has_indirect_call, 0
	.section	.AMDGPU.csdata,"",@progbits
; Kernel info:
; codeLenInByte = 980
; TotalNumSgprs: 24
; NumVgprs: 32
; ScratchSize: 0
; MemoryBound: 0
; FloatMode: 240
; IeeeMode: 1
; LDSByteSize: 0 bytes/workgroup (compile time only)
; SGPRBlocks: 0
; VGPRBlocks: 1
; NumSGPRsForWavesPerEU: 24
; NumVGPRsForWavesPerEU: 32
; NamedBarCnt: 0
; Occupancy: 16
; WaveLimiterHint : 1
; COMPUTE_PGM_RSRC2:SCRATCH_EN: 0
; COMPUTE_PGM_RSRC2:USER_SGPR: 2
; COMPUTE_PGM_RSRC2:TRAP_HANDLER: 0
; COMPUTE_PGM_RSRC2:TGID_X_EN: 1
; COMPUTE_PGM_RSRC2:TGID_Y_EN: 0
; COMPUTE_PGM_RSRC2:TGID_Z_EN: 0
; COMPUTE_PGM_RSRC2:TIDIG_COMP_CNT: 0
	.section	.text._ZN9rocsparseL21csrmvn_general_kernelILj256ELj32Eli21rocsparse_complex_numIfES2_S2_S2_EEvbT2_NS_24const_host_device_scalarIT6_EEPKT1_S9_PKS3_PKT3_PKT4_S6_PT5_21rocsparse_index_base_b,"axG",@progbits,_ZN9rocsparseL21csrmvn_general_kernelILj256ELj32Eli21rocsparse_complex_numIfES2_S2_S2_EEvbT2_NS_24const_host_device_scalarIT6_EEPKT1_S9_PKS3_PKT3_PKT4_S6_PT5_21rocsparse_index_base_b,comdat
	.globl	_ZN9rocsparseL21csrmvn_general_kernelILj256ELj32Eli21rocsparse_complex_numIfES2_S2_S2_EEvbT2_NS_24const_host_device_scalarIT6_EEPKT1_S9_PKS3_PKT3_PKT4_S6_PT5_21rocsparse_index_base_b ; -- Begin function _ZN9rocsparseL21csrmvn_general_kernelILj256ELj32Eli21rocsparse_complex_numIfES2_S2_S2_EEvbT2_NS_24const_host_device_scalarIT6_EEPKT1_S9_PKS3_PKT3_PKT4_S6_PT5_21rocsparse_index_base_b
	.p2align	8
	.type	_ZN9rocsparseL21csrmvn_general_kernelILj256ELj32Eli21rocsparse_complex_numIfES2_S2_S2_EEvbT2_NS_24const_host_device_scalarIT6_EEPKT1_S9_PKS3_PKT3_PKT4_S6_PT5_21rocsparse_index_base_b,@function
_ZN9rocsparseL21csrmvn_general_kernelILj256ELj32Eli21rocsparse_complex_numIfES2_S2_S2_EEvbT2_NS_24const_host_device_scalarIT6_EEPKT1_S9_PKS3_PKT3_PKT4_S6_PT5_21rocsparse_index_base_b: ; @_ZN9rocsparseL21csrmvn_general_kernelILj256ELj32Eli21rocsparse_complex_numIfES2_S2_S2_EEvbT2_NS_24const_host_device_scalarIT6_EEPKT1_S9_PKS3_PKT3_PKT4_S6_PT5_21rocsparse_index_base_b
; %bb.0:
	s_clause 0x2
	s_load_b64 s[16:17], s[0:1], 0x48
	s_load_b128 s[12:15], s[0:1], 0x8
	s_load_b64 s[2:3], s[0:1], 0x38
	v_mov_b32_e32 v1, 0
	s_add_nc_u64 s[4:5], s[0:1], 8
	s_add_nc_u64 s[6:7], s[0:1], 56
	s_wait_kmcnt 0x0
	s_bitcmp1_b32 s17, 0
	s_cselect_b32 s5, s5, s13
	s_cselect_b32 s4, s4, s12
	;; [unrolled: 1-line block ×4, first 2 shown]
	s_clause 0x1
	flat_load_b64 v[2:3], v1, s[4:5]
	flat_load_b64 v[4:5], v1, s[2:3]
	s_wait_loadcnt_dscnt 0x101
	v_cmp_neq_f32_e32 vcc_lo, 0, v2
	s_wait_xcnt 0x0
	v_cmp_neq_f32_e64 s2, 0, v3
	s_wait_loadcnt_dscnt 0x0
	v_cmp_neq_f32_e64 s3, 1.0, v4
	v_cmp_neq_f32_e64 s4, 0, v5
	s_or_b32 s2, vcc_lo, s2
	s_or_b32 s3, s3, s4
	s_delay_alu instid0(SALU_CYCLE_1) | instskip(NEXT) | instid1(SALU_CYCLE_1)
	s_or_b32 s2, s2, s3
	s_and_saveexec_b32 s3, s2
	s_cbranch_execz .LBB81_12
; %bb.1:
	s_bfe_u32 s4, ttmp6, 0x4000c
	s_load_b64 s[2:3], s[0:1], 0x0
	s_add_co_i32 s4, s4, 1
	s_and_b32 s5, ttmp6, 15
	s_mul_i32 s4, ttmp9, s4
	s_getreg_b32 s6, hwreg(HW_REG_IB_STS2, 6, 4)
	s_add_co_i32 s5, s5, s4
	s_cmp_eq_u32 s6, 0
	s_cselect_b32 s4, ttmp9, s5
	s_delay_alu instid0(SALU_CYCLE_1) | instskip(NEXT) | instid1(VALU_DEP_1)
	v_lshl_or_b32 v1, s4, 8, v0
	v_lshrrev_b32_e32 v6, 5, v1
	s_wait_kmcnt 0x0
	s_delay_alu instid0(VALU_DEP_1)
	v_cmp_gt_i32_e32 vcc_lo, s3, v6
	s_and_b32 exec_lo, exec_lo, vcc_lo
	s_cbranch_execz .LBB81_12
; %bb.2:
	v_dual_mov_b32 v11, 0 :: v_dual_bitop2_b32 v10, 31, v0 bitop3:0x40
	v_mbcnt_lo_u32_b32 v1, -1, 0
	s_mov_b32 s17, 0
	s_clause 0x2
	s_load_b32 s18, s[0:1], 0x50
	s_load_b64 s[12:13], s[0:1], 0x40
	s_load_b256 s[4:11], s[0:1], 0x18
	s_wait_xcnt 0x0
	s_mov_b32 s0, s16
	v_sub_nc_u64_e64 v[8:9], v[10:11], s[16:17]
	v_xor_b32_e32 v11, 8, v1
	v_xor_b32_e32 v7, 16, v1
	;; [unrolled: 1-line block ×3, first 2 shown]
	s_mov_b32 s19, s17
	s_delay_alu instid0(VALU_DEP_2) | instskip(SKIP_4) | instid1(VALU_DEP_2)
	v_cmp_gt_i32_e32 vcc_lo, 32, v7
	v_dual_cndmask_b32 v7, v1, v7, vcc_lo :: v_dual_bitop2_b32 v14, 1, v1 bitop3:0x14
	v_cmp_gt_i32_e32 vcc_lo, 32, v11
	s_wait_kmcnt 0x0
	s_lshl_b32 s18, s18, 3
	v_dual_lshlrev_b32 v22, 2, v7 :: v_dual_bitop2_b32 v12, 4, v1 bitop3:0x14
	v_cndmask_b32_e32 v11, v1, v11, vcc_lo
	s_bitcmp1_b32 s2, 0
	s_add_nc_u64 s[8:9], s[8:9], 4
	s_cselect_b32 s2, -1, 0
	v_cmp_gt_i32_e32 vcc_lo, 32, v12
	v_xor_b32_e32 v13, 2, v1
	s_ashr_i32 s1, s16, 31
	v_lshlrev_b32_e32 v23, 2, v11
	s_lshl_b64 s[0:1], s[0:1], 3
	v_cndmask_b32_e32 v12, v1, v12, vcc_lo
	v_cmp_gt_i32_e32 vcc_lo, 32, v13
	s_sub_nc_u64 s[10:11], s[10:11], s[0:1]
	v_cmp_neq_f32_e64 s0, 0, v4
	v_cmp_neq_f32_e64 s1, 0, v5
	v_dual_mov_b32 v11, v4 :: v_dual_cndmask_b32 v13, v1, v13, vcc_lo
	v_cmp_gt_i32_e32 vcc_lo, 32, v14
	v_lshlrev_b32_e32 v24, 2, v12
	s_or_b32 s1, s0, s1
	s_delay_alu instid0(VALU_DEP_3) | instskip(SKIP_2) | instid1(VALU_DEP_3)
	v_dual_lshlrev_b32 v25, 2, v13 :: v_dual_cndmask_b32 v1, v1, v14, vcc_lo
	v_cmp_eq_u32_e32 vcc_lo, 31, v10
	v_xor_b32_e32 v10, 0x80000000, v5
	v_dual_mov_b32 v1, v2 :: v_dual_lshlrev_b32 v26, 2, v1
	s_branch .LBB81_5
.LBB81_3:                               ;   in Loop: Header=BB81_5 Depth=1
	s_wait_xcnt 0x0
	s_or_b32 exec_lo, exec_lo, s20
	global_store_b64 v[12:13], v[14:15], off
.LBB81_4:                               ;   in Loop: Header=BB81_5 Depth=1
	s_wait_xcnt 0x0
	s_or_b32 exec_lo, exec_lo, s0
	v_add_nc_u32_e32 v6, s18, v6
	s_delay_alu instid0(VALU_DEP_1) | instskip(SKIP_1) | instid1(SALU_CYCLE_1)
	v_cmp_le_i32_e64 s0, s3, v6
	s_or_b32 s19, s0, s19
	s_and_not1_b32 exec_lo, exec_lo, s19
	s_cbranch_execz .LBB81_12
.LBB81_5:                               ; =>This Loop Header: Depth=1
                                        ;     Child Loop BB81_7 Depth 2
	s_clause 0x1
	global_load_b64 v[12:13], v6, s[4:5] scale_offset
	global_load_b64 v[16:17], v6, s[14:15] scale_offset
	s_mov_b32 s20, exec_lo
	s_wait_loadcnt_dscnt 0x100
	v_sub_nc_u64_e64 v[14:15], v[12:13], s[16:17]
	s_wait_loadcnt 0x0
	v_add_nc_u64_e32 v[16:17], v[16:17], v[8:9]
	v_dual_mov_b32 v13, 0 :: v_dual_mov_b32 v12, 0
	s_wait_xcnt 0x0
	s_delay_alu instid0(VALU_DEP_2)
	v_cmpx_lt_i64_e64 v[16:17], v[14:15]
	s_cbranch_execz .LBB81_9
; %bb.6:                                ;   in Loop: Header=BB81_5 Depth=1
	v_mov_b32_e32 v13, 0
	v_lshl_add_u64 v[18:19], v[16:17], 3, s[8:9]
	v_lshl_add_u64 v[20:21], v[16:17], 2, s[6:7]
	s_mov_b32 s21, 0
	s_delay_alu instid0(VALU_DEP_3)
	v_mov_b32_e32 v12, v13
.LBB81_7:                               ;   Parent Loop BB81_5 Depth=1
                                        ; =>  This Inner Loop Header: Depth=2
	global_load_b32 v7, v[20:21], off
	global_load_b64 v[28:29], v[18:19], off offset:-4
	v_add_nc_u64_e32 v[16:17], 32, v[16:17]
	s_wait_xcnt 0x0
	v_add_nc_u64_e32 v[18:19], 0x100, v[18:19]
	v_add_nc_u64_e32 v[20:21], 0x80, v[20:21]
	s_delay_alu instid0(VALU_DEP_3)
	v_cmp_ge_i64_e64 s0, v[16:17], v[14:15]
	s_or_b32 s21, s0, s21
	s_wait_loadcnt 0x1
	global_load_b64 v[30:31], v7, s[10:11] scale_offset
	s_wait_loadcnt 0x1
	v_cndmask_b32_e64 v32, v29, -v29, s2
	s_delay_alu instid0(VALU_DEP_1) | instskip(NEXT) | instid1(VALU_DEP_1)
	v_pk_mul_f32 v[32:33], v[32:33], v[0:1] op_sel_hi:[0,1]
	v_pk_fma_f32 v[28:29], v[2:3], v[28:29], v[32:33] op_sel_hi:[1,0,1]
	s_wait_loadcnt 0x0
	s_delay_alu instid0(VALU_DEP_1) | instskip(NEXT) | instid1(VALU_DEP_1)
	v_pk_fma_f32 v[12:13], v[28:29], v[30:31], v[12:13] op_sel_hi:[1,0,1]
	v_pk_fma_f32 v[12:13], v[28:29], v[30:31], v[12:13] op_sel:[1,1,0] op_sel_hi:[0,1,1] neg_lo:[1,0,0]
	s_wait_xcnt 0x0
	s_and_not1_b32 exec_lo, exec_lo, s21
	s_cbranch_execnz .LBB81_7
; %bb.8:                                ;   in Loop: Header=BB81_5 Depth=1
	s_or_b32 exec_lo, exec_lo, s21
.LBB81_9:                               ;   in Loop: Header=BB81_5 Depth=1
	s_delay_alu instid0(SALU_CYCLE_1)
	s_or_b32 exec_lo, exec_lo, s20
	ds_bpermute_b32 v14, v22, v12
	ds_bpermute_b32 v15, v22, v13
	v_ashrrev_i32_e32 v7, 31, v6
	s_wait_dscnt 0x0
	v_pk_add_f32 v[12:13], v[12:13], v[14:15]
	ds_bpermute_b32 v14, v23, v12
	ds_bpermute_b32 v15, v23, v13
	s_wait_dscnt 0x0
	v_pk_add_f32 v[12:13], v[12:13], v[14:15]
	ds_bpermute_b32 v14, v24, v12
	ds_bpermute_b32 v15, v24, v13
	;; [unrolled: 4-line block ×4, first 2 shown]
	s_and_saveexec_b32 s0, vcc_lo
	s_cbranch_execz .LBB81_4
; %bb.10:                               ;   in Loop: Header=BB81_5 Depth=1
	s_wait_dscnt 0x0
	v_pk_add_f32 v[14:15], v[12:13], v[14:15]
	v_lshl_add_u64 v[12:13], v[6:7], 3, s[12:13]
	s_and_saveexec_b32 s20, s1
	s_cbranch_execz .LBB81_3
; %bb.11:                               ;   in Loop: Header=BB81_5 Depth=1
	global_load_b64 v[16:17], v[12:13], off
	s_wait_loadcnt 0x0
	v_pk_fma_f32 v[14:15], v[4:5], v[16:17], v[14:15] op_sel_hi:[1,0,1]
	s_delay_alu instid0(VALU_DEP_1)
	v_pk_fma_f32 v[14:15], v[10:11], v[16:17], v[14:15] op_sel:[0,1,0]
	s_branch .LBB81_3
.LBB81_12:
	s_endpgm
	.section	.rodata,"a",@progbits
	.p2align	6, 0x0
	.amdhsa_kernel _ZN9rocsparseL21csrmvn_general_kernelILj256ELj32Eli21rocsparse_complex_numIfES2_S2_S2_EEvbT2_NS_24const_host_device_scalarIT6_EEPKT1_S9_PKS3_PKT3_PKT4_S6_PT5_21rocsparse_index_base_b
		.amdhsa_group_segment_fixed_size 0
		.amdhsa_private_segment_fixed_size 0
		.amdhsa_kernarg_size 336
		.amdhsa_user_sgpr_count 2
		.amdhsa_user_sgpr_dispatch_ptr 0
		.amdhsa_user_sgpr_queue_ptr 0
		.amdhsa_user_sgpr_kernarg_segment_ptr 1
		.amdhsa_user_sgpr_dispatch_id 0
		.amdhsa_user_sgpr_kernarg_preload_length 0
		.amdhsa_user_sgpr_kernarg_preload_offset 0
		.amdhsa_user_sgpr_private_segment_size 0
		.amdhsa_wavefront_size32 1
		.amdhsa_uses_dynamic_stack 0
		.amdhsa_enable_private_segment 0
		.amdhsa_system_sgpr_workgroup_id_x 1
		.amdhsa_system_sgpr_workgroup_id_y 0
		.amdhsa_system_sgpr_workgroup_id_z 0
		.amdhsa_system_sgpr_workgroup_info 0
		.amdhsa_system_vgpr_workitem_id 0
		.amdhsa_next_free_vgpr 34
		.amdhsa_next_free_sgpr 22
		.amdhsa_named_barrier_count 0
		.amdhsa_reserve_vcc 1
		.amdhsa_float_round_mode_32 0
		.amdhsa_float_round_mode_16_64 0
		.amdhsa_float_denorm_mode_32 3
		.amdhsa_float_denorm_mode_16_64 3
		.amdhsa_fp16_overflow 0
		.amdhsa_memory_ordered 1
		.amdhsa_forward_progress 1
		.amdhsa_inst_pref_size 9
		.amdhsa_round_robin_scheduling 0
		.amdhsa_exception_fp_ieee_invalid_op 0
		.amdhsa_exception_fp_denorm_src 0
		.amdhsa_exception_fp_ieee_div_zero 0
		.amdhsa_exception_fp_ieee_overflow 0
		.amdhsa_exception_fp_ieee_underflow 0
		.amdhsa_exception_fp_ieee_inexact 0
		.amdhsa_exception_int_div_zero 0
	.end_amdhsa_kernel
	.section	.text._ZN9rocsparseL21csrmvn_general_kernelILj256ELj32Eli21rocsparse_complex_numIfES2_S2_S2_EEvbT2_NS_24const_host_device_scalarIT6_EEPKT1_S9_PKS3_PKT3_PKT4_S6_PT5_21rocsparse_index_base_b,"axG",@progbits,_ZN9rocsparseL21csrmvn_general_kernelILj256ELj32Eli21rocsparse_complex_numIfES2_S2_S2_EEvbT2_NS_24const_host_device_scalarIT6_EEPKT1_S9_PKS3_PKT3_PKT4_S6_PT5_21rocsparse_index_base_b,comdat
.Lfunc_end81:
	.size	_ZN9rocsparseL21csrmvn_general_kernelILj256ELj32Eli21rocsparse_complex_numIfES2_S2_S2_EEvbT2_NS_24const_host_device_scalarIT6_EEPKT1_S9_PKS3_PKT3_PKT4_S6_PT5_21rocsparse_index_base_b, .Lfunc_end81-_ZN9rocsparseL21csrmvn_general_kernelILj256ELj32Eli21rocsparse_complex_numIfES2_S2_S2_EEvbT2_NS_24const_host_device_scalarIT6_EEPKT1_S9_PKS3_PKT3_PKT4_S6_PT5_21rocsparse_index_base_b
                                        ; -- End function
	.set _ZN9rocsparseL21csrmvn_general_kernelILj256ELj32Eli21rocsparse_complex_numIfES2_S2_S2_EEvbT2_NS_24const_host_device_scalarIT6_EEPKT1_S9_PKS3_PKT3_PKT4_S6_PT5_21rocsparse_index_base_b.num_vgpr, 34
	.set _ZN9rocsparseL21csrmvn_general_kernelILj256ELj32Eli21rocsparse_complex_numIfES2_S2_S2_EEvbT2_NS_24const_host_device_scalarIT6_EEPKT1_S9_PKS3_PKT3_PKT4_S6_PT5_21rocsparse_index_base_b.num_agpr, 0
	.set _ZN9rocsparseL21csrmvn_general_kernelILj256ELj32Eli21rocsparse_complex_numIfES2_S2_S2_EEvbT2_NS_24const_host_device_scalarIT6_EEPKT1_S9_PKS3_PKT3_PKT4_S6_PT5_21rocsparse_index_base_b.numbered_sgpr, 22
	.set _ZN9rocsparseL21csrmvn_general_kernelILj256ELj32Eli21rocsparse_complex_numIfES2_S2_S2_EEvbT2_NS_24const_host_device_scalarIT6_EEPKT1_S9_PKS3_PKT3_PKT4_S6_PT5_21rocsparse_index_base_b.num_named_barrier, 0
	.set _ZN9rocsparseL21csrmvn_general_kernelILj256ELj32Eli21rocsparse_complex_numIfES2_S2_S2_EEvbT2_NS_24const_host_device_scalarIT6_EEPKT1_S9_PKS3_PKT3_PKT4_S6_PT5_21rocsparse_index_base_b.private_seg_size, 0
	.set _ZN9rocsparseL21csrmvn_general_kernelILj256ELj32Eli21rocsparse_complex_numIfES2_S2_S2_EEvbT2_NS_24const_host_device_scalarIT6_EEPKT1_S9_PKS3_PKT3_PKT4_S6_PT5_21rocsparse_index_base_b.uses_vcc, 1
	.set _ZN9rocsparseL21csrmvn_general_kernelILj256ELj32Eli21rocsparse_complex_numIfES2_S2_S2_EEvbT2_NS_24const_host_device_scalarIT6_EEPKT1_S9_PKS3_PKT3_PKT4_S6_PT5_21rocsparse_index_base_b.uses_flat_scratch, 1
	.set _ZN9rocsparseL21csrmvn_general_kernelILj256ELj32Eli21rocsparse_complex_numIfES2_S2_S2_EEvbT2_NS_24const_host_device_scalarIT6_EEPKT1_S9_PKS3_PKT3_PKT4_S6_PT5_21rocsparse_index_base_b.has_dyn_sized_stack, 0
	.set _ZN9rocsparseL21csrmvn_general_kernelILj256ELj32Eli21rocsparse_complex_numIfES2_S2_S2_EEvbT2_NS_24const_host_device_scalarIT6_EEPKT1_S9_PKS3_PKT3_PKT4_S6_PT5_21rocsparse_index_base_b.has_recursion, 0
	.set _ZN9rocsparseL21csrmvn_general_kernelILj256ELj32Eli21rocsparse_complex_numIfES2_S2_S2_EEvbT2_NS_24const_host_device_scalarIT6_EEPKT1_S9_PKS3_PKT3_PKT4_S6_PT5_21rocsparse_index_base_b.has_indirect_call, 0
	.section	.AMDGPU.csdata,"",@progbits
; Kernel info:
; codeLenInByte = 1036
; TotalNumSgprs: 24
; NumVgprs: 34
; ScratchSize: 0
; MemoryBound: 0
; FloatMode: 240
; IeeeMode: 1
; LDSByteSize: 0 bytes/workgroup (compile time only)
; SGPRBlocks: 0
; VGPRBlocks: 2
; NumSGPRsForWavesPerEU: 24
; NumVGPRsForWavesPerEU: 34
; NamedBarCnt: 0
; Occupancy: 16
; WaveLimiterHint : 1
; COMPUTE_PGM_RSRC2:SCRATCH_EN: 0
; COMPUTE_PGM_RSRC2:USER_SGPR: 2
; COMPUTE_PGM_RSRC2:TRAP_HANDLER: 0
; COMPUTE_PGM_RSRC2:TGID_X_EN: 1
; COMPUTE_PGM_RSRC2:TGID_Y_EN: 0
; COMPUTE_PGM_RSRC2:TGID_Z_EN: 0
; COMPUTE_PGM_RSRC2:TIDIG_COMP_CNT: 0
	.section	.text._ZN9rocsparseL21csrmvn_general_kernelILj256ELj64Eli21rocsparse_complex_numIfES2_S2_S2_EEvbT2_NS_24const_host_device_scalarIT6_EEPKT1_S9_PKS3_PKT3_PKT4_S6_PT5_21rocsparse_index_base_b,"axG",@progbits,_ZN9rocsparseL21csrmvn_general_kernelILj256ELj64Eli21rocsparse_complex_numIfES2_S2_S2_EEvbT2_NS_24const_host_device_scalarIT6_EEPKT1_S9_PKS3_PKT3_PKT4_S6_PT5_21rocsparse_index_base_b,comdat
	.globl	_ZN9rocsparseL21csrmvn_general_kernelILj256ELj64Eli21rocsparse_complex_numIfES2_S2_S2_EEvbT2_NS_24const_host_device_scalarIT6_EEPKT1_S9_PKS3_PKT3_PKT4_S6_PT5_21rocsparse_index_base_b ; -- Begin function _ZN9rocsparseL21csrmvn_general_kernelILj256ELj64Eli21rocsparse_complex_numIfES2_S2_S2_EEvbT2_NS_24const_host_device_scalarIT6_EEPKT1_S9_PKS3_PKT3_PKT4_S6_PT5_21rocsparse_index_base_b
	.p2align	8
	.type	_ZN9rocsparseL21csrmvn_general_kernelILj256ELj64Eli21rocsparse_complex_numIfES2_S2_S2_EEvbT2_NS_24const_host_device_scalarIT6_EEPKT1_S9_PKS3_PKT3_PKT4_S6_PT5_21rocsparse_index_base_b,@function
_ZN9rocsparseL21csrmvn_general_kernelILj256ELj64Eli21rocsparse_complex_numIfES2_S2_S2_EEvbT2_NS_24const_host_device_scalarIT6_EEPKT1_S9_PKS3_PKT3_PKT4_S6_PT5_21rocsparse_index_base_b: ; @_ZN9rocsparseL21csrmvn_general_kernelILj256ELj64Eli21rocsparse_complex_numIfES2_S2_S2_EEvbT2_NS_24const_host_device_scalarIT6_EEPKT1_S9_PKS3_PKT3_PKT4_S6_PT5_21rocsparse_index_base_b
; %bb.0:
	s_clause 0x2
	s_load_b64 s[16:17], s[0:1], 0x48
	s_load_b128 s[12:15], s[0:1], 0x8
	s_load_b64 s[2:3], s[0:1], 0x38
	v_mov_b32_e32 v1, 0
	s_add_nc_u64 s[4:5], s[0:1], 8
	s_add_nc_u64 s[6:7], s[0:1], 56
	s_wait_kmcnt 0x0
	s_bitcmp1_b32 s17, 0
	s_cselect_b32 s5, s5, s13
	s_cselect_b32 s4, s4, s12
	;; [unrolled: 1-line block ×4, first 2 shown]
	s_clause 0x1
	flat_load_b64 v[2:3], v1, s[4:5]
	flat_load_b64 v[4:5], v1, s[2:3]
	s_wait_loadcnt_dscnt 0x101
	v_cmp_neq_f32_e32 vcc_lo, 0, v2
	s_wait_xcnt 0x0
	v_cmp_neq_f32_e64 s2, 0, v3
	s_wait_loadcnt_dscnt 0x0
	v_cmp_neq_f32_e64 s3, 1.0, v4
	v_cmp_neq_f32_e64 s4, 0, v5
	s_or_b32 s2, vcc_lo, s2
	s_or_b32 s3, s3, s4
	s_delay_alu instid0(SALU_CYCLE_1) | instskip(NEXT) | instid1(SALU_CYCLE_1)
	s_or_b32 s2, s2, s3
	s_and_saveexec_b32 s3, s2
	s_cbranch_execz .LBB82_12
; %bb.1:
	s_bfe_u32 s4, ttmp6, 0x4000c
	s_load_b64 s[2:3], s[0:1], 0x0
	s_add_co_i32 s4, s4, 1
	s_and_b32 s5, ttmp6, 15
	s_mul_i32 s4, ttmp9, s4
	s_getreg_b32 s6, hwreg(HW_REG_IB_STS2, 6, 4)
	s_add_co_i32 s5, s5, s4
	s_cmp_eq_u32 s6, 0
	s_cselect_b32 s4, ttmp9, s5
	s_delay_alu instid0(SALU_CYCLE_1) | instskip(NEXT) | instid1(VALU_DEP_1)
	v_lshl_or_b32 v1, s4, 8, v0
	v_lshrrev_b32_e32 v6, 6, v1
	s_wait_kmcnt 0x0
	s_delay_alu instid0(VALU_DEP_1)
	v_cmp_gt_i32_e32 vcc_lo, s3, v6
	s_and_b32 exec_lo, exec_lo, vcc_lo
	s_cbranch_execz .LBB82_12
; %bb.2:
	v_dual_mov_b32 v11, 0 :: v_dual_bitop2_b32 v10, 63, v0 bitop3:0x40
	v_mbcnt_lo_u32_b32 v1, -1, 0
	s_mov_b32 s17, 0
	s_clause 0x2
	s_load_b32 s18, s[0:1], 0x50
	s_load_b64 s[12:13], s[0:1], 0x40
	s_load_b256 s[4:11], s[0:1], 0x18
	s_wait_xcnt 0x0
	s_mov_b32 s0, s16
	v_sub_nc_u64_e64 v[8:9], v[10:11], s[16:17]
	v_xor_b32_e32 v11, 16, v1
	v_or_b32_e32 v7, 32, v1
	v_xor_b32_e32 v0, 0x80000000, v3
	s_mov_b32 s19, s17
	s_delay_alu instid0(VALU_DEP_2) | instskip(SKIP_4) | instid1(VALU_DEP_2)
	v_cmp_gt_i32_e32 vcc_lo, 32, v7
	v_dual_cndmask_b32 v7, v1, v7, vcc_lo :: v_dual_bitop2_b32 v12, 8, v1 bitop3:0x14
	v_cmp_gt_i32_e32 vcc_lo, 32, v11
	s_wait_kmcnt 0x0
	s_lshl_b32 s18, s18, 2
	v_dual_lshlrev_b32 v22, 2, v7 :: v_dual_bitop2_b32 v7, 1, v1 bitop3:0x14
	v_cndmask_b32_e32 v11, v1, v11, vcc_lo
	v_cmp_gt_i32_e32 vcc_lo, 32, v12
	v_xor_b32_e32 v13, 4, v1
	v_xor_b32_e32 v14, 2, v1
	s_bitcmp1_b32 s2, 0
	v_dual_cndmask_b32 v12, v1, v12 :: v_dual_lshlrev_b32 v23, 2, v11
	s_delay_alu instid0(VALU_DEP_3)
	v_cmp_gt_i32_e32 vcc_lo, 32, v13
	s_cselect_b32 s2, -1, 0
	s_ashr_i32 s1, s16, 31
	v_mov_b32_e32 v11, v4
	s_lshl_b64 s[0:1], s[0:1], 3
	v_cndmask_b32_e32 v13, v1, v13, vcc_lo
	v_cmp_gt_i32_e32 vcc_lo, 32, v14
	s_sub_nc_u64 s[10:11], s[10:11], s[0:1]
	v_cmp_neq_f32_e64 s0, 0, v4
	v_cmp_neq_f32_e64 s1, 0, v5
	v_dual_lshlrev_b32 v24, 2, v12 :: v_dual_lshlrev_b32 v25, 2, v13
	v_cndmask_b32_e32 v14, v1, v14, vcc_lo
	v_cmp_gt_i32_e32 vcc_lo, 32, v7
	s_or_b32 s1, s0, s1
	s_add_nc_u64 s[8:9], s[8:9], 4
	s_delay_alu instid0(VALU_DEP_2) | instskip(SKIP_2) | instid1(VALU_DEP_3)
	v_dual_cndmask_b32 v1, v1, v7 :: v_dual_lshlrev_b32 v26, 2, v14
	v_cmp_eq_u32_e32 vcc_lo, 63, v10
	v_xor_b32_e32 v10, 0x80000000, v5
	v_dual_lshlrev_b32 v27, 2, v1 :: v_dual_mov_b32 v1, v2
	s_branch .LBB82_5
.LBB82_3:                               ;   in Loop: Header=BB82_5 Depth=1
	s_wait_xcnt 0x0
	s_or_b32 exec_lo, exec_lo, s20
	global_store_b64 v[12:13], v[14:15], off
.LBB82_4:                               ;   in Loop: Header=BB82_5 Depth=1
	s_wait_xcnt 0x0
	s_or_b32 exec_lo, exec_lo, s0
	v_add_nc_u32_e32 v6, s18, v6
	s_delay_alu instid0(VALU_DEP_1) | instskip(SKIP_1) | instid1(SALU_CYCLE_1)
	v_cmp_le_i32_e64 s0, s3, v6
	s_or_b32 s19, s0, s19
	s_and_not1_b32 exec_lo, exec_lo, s19
	s_cbranch_execz .LBB82_12
.LBB82_5:                               ; =>This Loop Header: Depth=1
                                        ;     Child Loop BB82_7 Depth 2
	s_clause 0x1
	global_load_b64 v[12:13], v6, s[4:5] scale_offset
	global_load_b64 v[16:17], v6, s[14:15] scale_offset
	s_mov_b32 s20, exec_lo
	s_wait_loadcnt_dscnt 0x100
	v_sub_nc_u64_e64 v[14:15], v[12:13], s[16:17]
	s_wait_loadcnt 0x0
	v_add_nc_u64_e32 v[16:17], v[16:17], v[8:9]
	v_dual_mov_b32 v13, 0 :: v_dual_mov_b32 v12, 0
	s_wait_xcnt 0x0
	s_delay_alu instid0(VALU_DEP_2)
	v_cmpx_lt_i64_e64 v[16:17], v[14:15]
	s_cbranch_execz .LBB82_9
; %bb.6:                                ;   in Loop: Header=BB82_5 Depth=1
	v_mov_b32_e32 v12, 0
	v_lshl_add_u64 v[18:19], v[16:17], 3, s[8:9]
	v_lshl_add_u64 v[20:21], v[16:17], 2, s[6:7]
	s_mov_b32 s21, 0
	s_delay_alu instid0(VALU_DEP_3)
	v_mov_b32_e32 v13, v12
.LBB82_7:                               ;   Parent Loop BB82_5 Depth=1
                                        ; =>  This Inner Loop Header: Depth=2
	global_load_b32 v7, v[20:21], off
	global_load_b64 v[28:29], v[18:19], off offset:-4
	v_add_nc_u64_e32 v[16:17], 64, v[16:17]
	s_wait_xcnt 0x0
	v_add_nc_u64_e32 v[18:19], 0x200, v[18:19]
	v_add_nc_u64_e32 v[20:21], 0x100, v[20:21]
	s_delay_alu instid0(VALU_DEP_3)
	v_cmp_ge_i64_e64 s0, v[16:17], v[14:15]
	s_or_b32 s21, s0, s21
	s_wait_loadcnt 0x1
	global_load_b64 v[30:31], v7, s[10:11] scale_offset
	s_wait_loadcnt 0x1
	v_cndmask_b32_e64 v32, v29, -v29, s2
	s_delay_alu instid0(VALU_DEP_1) | instskip(NEXT) | instid1(VALU_DEP_1)
	v_pk_mul_f32 v[32:33], v[32:33], v[0:1] op_sel_hi:[0,1]
	v_pk_fma_f32 v[28:29], v[2:3], v[28:29], v[32:33] op_sel_hi:[1,0,1]
	s_wait_loadcnt 0x0
	s_delay_alu instid0(VALU_DEP_1) | instskip(NEXT) | instid1(VALU_DEP_1)
	v_pk_fma_f32 v[12:13], v[28:29], v[30:31], v[12:13] op_sel_hi:[1,0,1]
	v_pk_fma_f32 v[12:13], v[28:29], v[30:31], v[12:13] op_sel:[1,1,0] op_sel_hi:[0,1,1] neg_lo:[1,0,0]
	s_wait_xcnt 0x0
	s_and_not1_b32 exec_lo, exec_lo, s21
	s_cbranch_execnz .LBB82_7
; %bb.8:                                ;   in Loop: Header=BB82_5 Depth=1
	s_or_b32 exec_lo, exec_lo, s21
.LBB82_9:                               ;   in Loop: Header=BB82_5 Depth=1
	s_delay_alu instid0(SALU_CYCLE_1)
	s_or_b32 exec_lo, exec_lo, s20
	ds_bpermute_b32 v14, v22, v12
	ds_bpermute_b32 v15, v22, v13
	v_ashrrev_i32_e32 v7, 31, v6
	s_wait_dscnt 0x0
	v_pk_add_f32 v[12:13], v[12:13], v[14:15]
	ds_bpermute_b32 v14, v23, v12
	ds_bpermute_b32 v15, v23, v13
	s_wait_dscnt 0x0
	v_pk_add_f32 v[12:13], v[12:13], v[14:15]
	ds_bpermute_b32 v14, v24, v12
	ds_bpermute_b32 v15, v24, v13
	;; [unrolled: 4-line block ×5, first 2 shown]
	s_and_saveexec_b32 s0, vcc_lo
	s_cbranch_execz .LBB82_4
; %bb.10:                               ;   in Loop: Header=BB82_5 Depth=1
	s_wait_dscnt 0x0
	v_pk_add_f32 v[14:15], v[12:13], v[14:15]
	v_lshl_add_u64 v[12:13], v[6:7], 3, s[12:13]
	s_and_saveexec_b32 s20, s1
	s_cbranch_execz .LBB82_3
; %bb.11:                               ;   in Loop: Header=BB82_5 Depth=1
	global_load_b64 v[16:17], v[12:13], off
	s_wait_loadcnt 0x0
	v_pk_fma_f32 v[14:15], v[4:5], v[16:17], v[14:15] op_sel_hi:[1,0,1]
	s_delay_alu instid0(VALU_DEP_1)
	v_pk_fma_f32 v[14:15], v[10:11], v[16:17], v[14:15] op_sel:[0,1,0]
	s_branch .LBB82_3
.LBB82_12:
	s_endpgm
	.section	.rodata,"a",@progbits
	.p2align	6, 0x0
	.amdhsa_kernel _ZN9rocsparseL21csrmvn_general_kernelILj256ELj64Eli21rocsparse_complex_numIfES2_S2_S2_EEvbT2_NS_24const_host_device_scalarIT6_EEPKT1_S9_PKS3_PKT3_PKT4_S6_PT5_21rocsparse_index_base_b
		.amdhsa_group_segment_fixed_size 0
		.amdhsa_private_segment_fixed_size 0
		.amdhsa_kernarg_size 336
		.amdhsa_user_sgpr_count 2
		.amdhsa_user_sgpr_dispatch_ptr 0
		.amdhsa_user_sgpr_queue_ptr 0
		.amdhsa_user_sgpr_kernarg_segment_ptr 1
		.amdhsa_user_sgpr_dispatch_id 0
		.amdhsa_user_sgpr_kernarg_preload_length 0
		.amdhsa_user_sgpr_kernarg_preload_offset 0
		.amdhsa_user_sgpr_private_segment_size 0
		.amdhsa_wavefront_size32 1
		.amdhsa_uses_dynamic_stack 0
		.amdhsa_enable_private_segment 0
		.amdhsa_system_sgpr_workgroup_id_x 1
		.amdhsa_system_sgpr_workgroup_id_y 0
		.amdhsa_system_sgpr_workgroup_id_z 0
		.amdhsa_system_sgpr_workgroup_info 0
		.amdhsa_system_vgpr_workitem_id 0
		.amdhsa_next_free_vgpr 34
		.amdhsa_next_free_sgpr 22
		.amdhsa_named_barrier_count 0
		.amdhsa_reserve_vcc 1
		.amdhsa_float_round_mode_32 0
		.amdhsa_float_round_mode_16_64 0
		.amdhsa_float_denorm_mode_32 3
		.amdhsa_float_denorm_mode_16_64 3
		.amdhsa_fp16_overflow 0
		.amdhsa_memory_ordered 1
		.amdhsa_forward_progress 1
		.amdhsa_inst_pref_size 9
		.amdhsa_round_robin_scheduling 0
		.amdhsa_exception_fp_ieee_invalid_op 0
		.amdhsa_exception_fp_denorm_src 0
		.amdhsa_exception_fp_ieee_div_zero 0
		.amdhsa_exception_fp_ieee_overflow 0
		.amdhsa_exception_fp_ieee_underflow 0
		.amdhsa_exception_fp_ieee_inexact 0
		.amdhsa_exception_int_div_zero 0
	.end_amdhsa_kernel
	.section	.text._ZN9rocsparseL21csrmvn_general_kernelILj256ELj64Eli21rocsparse_complex_numIfES2_S2_S2_EEvbT2_NS_24const_host_device_scalarIT6_EEPKT1_S9_PKS3_PKT3_PKT4_S6_PT5_21rocsparse_index_base_b,"axG",@progbits,_ZN9rocsparseL21csrmvn_general_kernelILj256ELj64Eli21rocsparse_complex_numIfES2_S2_S2_EEvbT2_NS_24const_host_device_scalarIT6_EEPKT1_S9_PKS3_PKT3_PKT4_S6_PT5_21rocsparse_index_base_b,comdat
.Lfunc_end82:
	.size	_ZN9rocsparseL21csrmvn_general_kernelILj256ELj64Eli21rocsparse_complex_numIfES2_S2_S2_EEvbT2_NS_24const_host_device_scalarIT6_EEPKT1_S9_PKS3_PKT3_PKT4_S6_PT5_21rocsparse_index_base_b, .Lfunc_end82-_ZN9rocsparseL21csrmvn_general_kernelILj256ELj64Eli21rocsparse_complex_numIfES2_S2_S2_EEvbT2_NS_24const_host_device_scalarIT6_EEPKT1_S9_PKS3_PKT3_PKT4_S6_PT5_21rocsparse_index_base_b
                                        ; -- End function
	.set _ZN9rocsparseL21csrmvn_general_kernelILj256ELj64Eli21rocsparse_complex_numIfES2_S2_S2_EEvbT2_NS_24const_host_device_scalarIT6_EEPKT1_S9_PKS3_PKT3_PKT4_S6_PT5_21rocsparse_index_base_b.num_vgpr, 34
	.set _ZN9rocsparseL21csrmvn_general_kernelILj256ELj64Eli21rocsparse_complex_numIfES2_S2_S2_EEvbT2_NS_24const_host_device_scalarIT6_EEPKT1_S9_PKS3_PKT3_PKT4_S6_PT5_21rocsparse_index_base_b.num_agpr, 0
	.set _ZN9rocsparseL21csrmvn_general_kernelILj256ELj64Eli21rocsparse_complex_numIfES2_S2_S2_EEvbT2_NS_24const_host_device_scalarIT6_EEPKT1_S9_PKS3_PKT3_PKT4_S6_PT5_21rocsparse_index_base_b.numbered_sgpr, 22
	.set _ZN9rocsparseL21csrmvn_general_kernelILj256ELj64Eli21rocsparse_complex_numIfES2_S2_S2_EEvbT2_NS_24const_host_device_scalarIT6_EEPKT1_S9_PKS3_PKT3_PKT4_S6_PT5_21rocsparse_index_base_b.num_named_barrier, 0
	.set _ZN9rocsparseL21csrmvn_general_kernelILj256ELj64Eli21rocsparse_complex_numIfES2_S2_S2_EEvbT2_NS_24const_host_device_scalarIT6_EEPKT1_S9_PKS3_PKT3_PKT4_S6_PT5_21rocsparse_index_base_b.private_seg_size, 0
	.set _ZN9rocsparseL21csrmvn_general_kernelILj256ELj64Eli21rocsparse_complex_numIfES2_S2_S2_EEvbT2_NS_24const_host_device_scalarIT6_EEPKT1_S9_PKS3_PKT3_PKT4_S6_PT5_21rocsparse_index_base_b.uses_vcc, 1
	.set _ZN9rocsparseL21csrmvn_general_kernelILj256ELj64Eli21rocsparse_complex_numIfES2_S2_S2_EEvbT2_NS_24const_host_device_scalarIT6_EEPKT1_S9_PKS3_PKT3_PKT4_S6_PT5_21rocsparse_index_base_b.uses_flat_scratch, 1
	.set _ZN9rocsparseL21csrmvn_general_kernelILj256ELj64Eli21rocsparse_complex_numIfES2_S2_S2_EEvbT2_NS_24const_host_device_scalarIT6_EEPKT1_S9_PKS3_PKT3_PKT4_S6_PT5_21rocsparse_index_base_b.has_dyn_sized_stack, 0
	.set _ZN9rocsparseL21csrmvn_general_kernelILj256ELj64Eli21rocsparse_complex_numIfES2_S2_S2_EEvbT2_NS_24const_host_device_scalarIT6_EEPKT1_S9_PKS3_PKT3_PKT4_S6_PT5_21rocsparse_index_base_b.has_recursion, 0
	.set _ZN9rocsparseL21csrmvn_general_kernelILj256ELj64Eli21rocsparse_complex_numIfES2_S2_S2_EEvbT2_NS_24const_host_device_scalarIT6_EEPKT1_S9_PKS3_PKT3_PKT4_S6_PT5_21rocsparse_index_base_b.has_indirect_call, 0
	.section	.AMDGPU.csdata,"",@progbits
; Kernel info:
; codeLenInByte = 1084
; TotalNumSgprs: 24
; NumVgprs: 34
; ScratchSize: 0
; MemoryBound: 0
; FloatMode: 240
; IeeeMode: 1
; LDSByteSize: 0 bytes/workgroup (compile time only)
; SGPRBlocks: 0
; VGPRBlocks: 2
; NumSGPRsForWavesPerEU: 24
; NumVGPRsForWavesPerEU: 34
; NamedBarCnt: 0
; Occupancy: 16
; WaveLimiterHint : 1
; COMPUTE_PGM_RSRC2:SCRATCH_EN: 0
; COMPUTE_PGM_RSRC2:USER_SGPR: 2
; COMPUTE_PGM_RSRC2:TRAP_HANDLER: 0
; COMPUTE_PGM_RSRC2:TGID_X_EN: 1
; COMPUTE_PGM_RSRC2:TGID_Y_EN: 0
; COMPUTE_PGM_RSRC2:TGID_Z_EN: 0
; COMPUTE_PGM_RSRC2:TIDIG_COMP_CNT: 0
	.section	.text._ZN9rocsparseL21csrmvt_general_kernelILj256ELj4Eli21rocsparse_complex_numIfES2_S2_S2_EEvbbT2_NS_24const_host_device_scalarIT6_EEPKT1_S9_PKS3_PKT3_PKT4_PT5_21rocsparse_index_base_b,"axG",@progbits,_ZN9rocsparseL21csrmvt_general_kernelILj256ELj4Eli21rocsparse_complex_numIfES2_S2_S2_EEvbbT2_NS_24const_host_device_scalarIT6_EEPKT1_S9_PKS3_PKT3_PKT4_PT5_21rocsparse_index_base_b,comdat
	.globl	_ZN9rocsparseL21csrmvt_general_kernelILj256ELj4Eli21rocsparse_complex_numIfES2_S2_S2_EEvbbT2_NS_24const_host_device_scalarIT6_EEPKT1_S9_PKS3_PKT3_PKT4_PT5_21rocsparse_index_base_b ; -- Begin function _ZN9rocsparseL21csrmvt_general_kernelILj256ELj4Eli21rocsparse_complex_numIfES2_S2_S2_EEvbbT2_NS_24const_host_device_scalarIT6_EEPKT1_S9_PKS3_PKT3_PKT4_PT5_21rocsparse_index_base_b
	.p2align	8
	.type	_ZN9rocsparseL21csrmvt_general_kernelILj256ELj4Eli21rocsparse_complex_numIfES2_S2_S2_EEvbbT2_NS_24const_host_device_scalarIT6_EEPKT1_S9_PKS3_PKT3_PKT4_PT5_21rocsparse_index_base_b,@function
_ZN9rocsparseL21csrmvt_general_kernelILj256ELj4Eli21rocsparse_complex_numIfES2_S2_S2_EEvbbT2_NS_24const_host_device_scalarIT6_EEPKT1_S9_PKS3_PKT3_PKT4_PT5_21rocsparse_index_base_b: ; @_ZN9rocsparseL21csrmvt_general_kernelILj256ELj4Eli21rocsparse_complex_numIfES2_S2_S2_EEvbbT2_NS_24const_host_device_scalarIT6_EEPKT1_S9_PKS3_PKT3_PKT4_PT5_21rocsparse_index_base_b
; %bb.0:
	s_clause 0x1
	s_load_b64 s[16:17], s[0:1], 0x40
	s_load_b128 s[12:15], s[0:1], 0x8
	v_mov_b32_e32 v1, 0
	s_add_nc_u64 s[2:3], s[0:1], 8
	s_wait_kmcnt 0x0
	s_bitcmp1_b32 s17, 0
	s_cselect_b32 s3, s3, s13
	s_cselect_b32 s2, s2, s12
	flat_load_b64 v[2:3], v1, s[2:3]
	s_wait_loadcnt_dscnt 0x0
	v_cmp_neq_f32_e32 vcc_lo, 0, v2
	v_cmp_neq_f32_e64 s2, 0, v3
	s_or_b32 s2, vcc_lo, s2
	s_delay_alu instid0(SALU_CYCLE_1)
	s_and_saveexec_b32 s3, s2
	s_cbranch_execz .LBB83_18
; %bb.1:
	s_clause 0x3
	s_load_b32 s4, s[0:1], 0x0
	s_load_b64 s[2:3], s[0:1], 0x0
	s_load_b32 s17, s[0:1], 0x48
	s_load_b64 s[12:13], s[0:1], 0x38
	s_wait_kmcnt 0x0
	s_and_b32 s18, s4, 1
	s_bitcmp1_b32 s2, 8
	s_load_b256 s[4:11], s[0:1], 0x18
	s_cselect_b32 s2, -1, 0
	s_wait_xcnt 0x0
	s_bfe_u32 s0, ttmp6, 0x4000c
	s_and_b32 s1, ttmp6, 15
	s_add_co_i32 s0, s0, 1
	s_lshl_b32 s20, s17, 6
	s_mul_i32 s0, ttmp9, s0
	s_getreg_b32 s17, hwreg(HW_REG_IB_STS2, 6, 4)
	s_add_co_i32 s1, s1, s0
	s_cmp_eq_u32 s17, 0
	s_cselect_b32 s0, ttmp9, s1
	s_cmp_eq_u32 s18, 0
	v_lshl_or_b32 v1, s0, 8, v0
	s_mov_b32 s1, -1
	s_delay_alu instid0(VALU_DEP_1) | instskip(NEXT) | instid1(VALU_DEP_1)
	v_dual_lshrrev_b32 v4, 2, v1 :: v_dual_bitop2_b32 v0, 3, v0 bitop3:0x40
	v_cmp_gt_i32_e64 s0, s3, v4
	s_cbranch_scc0 .LBB83_9
; %bb.2:
	s_and_saveexec_b32 s1, s0
	s_cbranch_execz .LBB83_8
; %bb.3:
	v_dual_mov_b32 v1, 0 :: v_dual_mov_b32 v8, v4
	s_mov_b32 s17, 0
	s_wait_kmcnt 0x0
	s_add_nc_u64 s[18:19], s[8:9], 4
	s_mov_b32 s21, s17
	v_sub_nc_u64_e64 v[6:7], v[0:1], s[16:17]
	s_branch .LBB83_5
.LBB83_4:                               ;   in Loop: Header=BB83_5 Depth=1
	s_or_b32 exec_lo, exec_lo, s22
	v_add_nc_u32_e32 v8, s20, v8
	s_delay_alu instid0(VALU_DEP_1) | instskip(SKIP_1) | instid1(SALU_CYCLE_1)
	v_cmp_le_i32_e32 vcc_lo, s3, v8
	s_or_b32 s21, vcc_lo, s21
	s_and_not1_b32 exec_lo, exec_lo, s21
	s_cbranch_execz .LBB83_8
.LBB83_5:                               ; =>This Loop Header: Depth=1
                                        ;     Child Loop BB83_7 Depth 2
	s_clause 0x1
	global_load_b64 v[10:11], v8, s[4:5] scale_offset
	global_load_b64 v[12:13], v8, s[14:15] scale_offset
	s_mov_b32 s22, exec_lo
	s_wait_loadcnt 0x1
	v_sub_nc_u64_e64 v[10:11], v[10:11], s[16:17]
	s_wait_loadcnt 0x0
	v_add_nc_u64_e32 v[12:13], v[12:13], v[6:7]
	s_wait_xcnt 0x0
	s_delay_alu instid0(VALU_DEP_1)
	v_cmpx_lt_i64_e64 v[12:13], v[10:11]
	s_cbranch_execz .LBB83_4
; %bb.6:                                ;   in Loop: Header=BB83_5 Depth=1
	v_ashrrev_i32_e32 v9, 31, v8
	s_mov_b32 s23, 0
	s_delay_alu instid0(VALU_DEP_1)
	v_lshl_add_u64 v[14:15], v[8:9], 3, s[10:11]
	global_load_b64 v[16:17], v[14:15], off
	s_wait_xcnt 0x0
	v_lshl_add_u64 v[14:15], v[12:13], 2, s[6:7]
	s_wait_loadcnt 0x0
	v_dual_mul_f32 v1, v17, -v3 :: v_dual_mul_f32 v5, v2, v17
	s_delay_alu instid0(VALU_DEP_1) | instskip(NEXT) | instid1(VALU_DEP_2)
	v_fmac_f32_e32 v1, v2, v16
	v_fmac_f32_e32 v5, v3, v16
	v_lshl_add_u64 v[16:17], v[12:13], 3, s[18:19]
.LBB83_7:                               ;   Parent Loop BB83_5 Depth=1
                                        ; =>  This Inner Loop Header: Depth=2
	global_load_b32 v9, v[14:15], off
	global_load_b64 v[18:19], v[16:17], off offset:-4
	v_add_nc_u64_e32 v[12:13], 4, v[12:13]
	s_wait_xcnt 0x1
	v_add_nc_u64_e32 v[14:15], 16, v[14:15]
	s_wait_xcnt 0x0
	v_add_nc_u64_e32 v[16:17], 32, v[16:17]
	s_delay_alu instid0(VALU_DEP_3) | instskip(SKIP_4) | instid1(VALU_DEP_1)
	v_cmp_ge_i64_e32 vcc_lo, v[12:13], v[10:11]
	s_or_b32 s23, vcc_lo, s23
	s_wait_loadcnt 0x1
	v_subrev_nc_u32_e32 v20, s16, v9
	s_wait_loadcnt 0x0
	v_dual_cndmask_b32 v9, v19, -v19, s2 :: v_dual_ashrrev_i32 v21, 31, v20
	s_delay_alu instid0(VALU_DEP_1) | instskip(SKIP_1) | instid1(VALU_DEP_3)
	v_mul_f32_e64 v19, v9, -v5
	v_mul_f32_e32 v9, v1, v9
	v_lshl_add_u64 v[20:21], v[20:21], 3, s[12:13]
	s_delay_alu instid0(VALU_DEP_3) | instskip(NEXT) | instid1(VALU_DEP_3)
	v_fmac_f32_e32 v19, v1, v18
	v_fmac_f32_e32 v9, v5, v18
	global_atomic_add_f32 v[20:21], v19, off scope:SCOPE_DEV
	s_wait_xcnt 0x0
	global_atomic_add_f32 v[20:21], v9, off offset:4 scope:SCOPE_DEV
	s_wait_xcnt 0x0
	s_and_not1_b32 exec_lo, exec_lo, s23
	s_cbranch_execnz .LBB83_7
	s_branch .LBB83_4
.LBB83_8:
	s_or_b32 exec_lo, exec_lo, s1
	s_mov_b32 s1, 0
.LBB83_9:
	s_delay_alu instid0(SALU_CYCLE_1)
	s_and_not1_b32 vcc_lo, exec_lo, s1
	s_cbranch_vccnz .LBB83_18
; %bb.10:
	s_and_b32 exec_lo, exec_lo, s0
	s_cbranch_execz .LBB83_18
; %bb.11:
	v_mov_b32_e32 v1, 0
	s_mov_b32 s17, 0
	s_wait_kmcnt 0x0
	s_add_nc_u64 s[0:1], s[8:9], 4
	s_mov_b32 s8, s17
	v_sub_nc_u64_e64 v[0:1], v[0:1], s[16:17]
	s_branch .LBB83_13
.LBB83_12:                              ;   in Loop: Header=BB83_13 Depth=1
	s_or_b32 exec_lo, exec_lo, s9
	v_add_nc_u32_e32 v4, s20, v4
	s_delay_alu instid0(VALU_DEP_1) | instskip(SKIP_1) | instid1(SALU_CYCLE_1)
	v_cmp_le_i32_e32 vcc_lo, s3, v4
	s_or_b32 s8, vcc_lo, s8
	s_and_not1_b32 exec_lo, exec_lo, s8
	s_cbranch_execz .LBB83_18
.LBB83_13:                              ; =>This Loop Header: Depth=1
                                        ;     Child Loop BB83_16 Depth 2
	s_clause 0x1
	global_load_b64 v[6:7], v4, s[4:5] scale_offset
	global_load_b64 v[8:9], v4, s[14:15] scale_offset
	s_mov_b32 s9, exec_lo
	s_wait_loadcnt 0x1
	v_sub_nc_u64_e64 v[6:7], v[6:7], s[16:17]
	s_wait_loadcnt 0x0
	v_add_nc_u64_e32 v[8:9], v[8:9], v[0:1]
	s_wait_xcnt 0x0
	s_delay_alu instid0(VALU_DEP_1)
	v_cmpx_lt_i64_e64 v[8:9], v[6:7]
	s_cbranch_execz .LBB83_12
; %bb.14:                               ;   in Loop: Header=BB83_13 Depth=1
	v_ashrrev_i32_e32 v5, 31, v4
	s_mov_b32 s18, 0
	s_delay_alu instid0(VALU_DEP_1)
	v_lshl_add_u64 v[10:11], v[4:5], 3, s[10:11]
	global_load_b64 v[12:13], v[10:11], off
	s_wait_xcnt 0x0
	v_lshl_add_u64 v[10:11], v[8:9], 2, s[6:7]
	s_wait_loadcnt 0x0
	v_dual_mul_f32 v16, v2, v13 :: v_dual_mul_f32 v5, v13, -v3
	s_delay_alu instid0(VALU_DEP_1)
	v_dual_fmac_f32 v16, v3, v12 :: v_dual_fmac_f32 v5, v2, v12
	v_lshl_add_u64 v[12:13], v[8:9], 3, s[0:1]
	s_branch .LBB83_16
.LBB83_15:                              ;   in Loop: Header=BB83_16 Depth=2
	s_wait_xcnt 0x0
	s_or_b32 exec_lo, exec_lo, s19
	v_add_nc_u64_e32 v[8:9], 4, v[8:9]
	v_add_nc_u64_e32 v[10:11], 16, v[10:11]
	;; [unrolled: 1-line block ×3, first 2 shown]
	s_delay_alu instid0(VALU_DEP_3) | instskip(SKIP_1) | instid1(SALU_CYCLE_1)
	v_cmp_ge_i64_e32 vcc_lo, v[8:9], v[6:7]
	s_or_b32 s18, vcc_lo, s18
	s_and_not1_b32 exec_lo, exec_lo, s18
	s_cbranch_execz .LBB83_12
.LBB83_16:                              ;   Parent Loop BB83_13 Depth=1
                                        ; =>  This Inner Loop Header: Depth=2
	global_load_b32 v14, v[10:11], off
	s_mov_b32 s19, exec_lo
	s_wait_loadcnt 0x0
	v_subrev_nc_u32_e32 v14, s16, v14
	s_wait_xcnt 0x0
	s_delay_alu instid0(VALU_DEP_1)
	v_cmpx_ne_u32_e64 v14, v4
	s_cbranch_execz .LBB83_15
; %bb.17:                               ;   in Loop: Header=BB83_16 Depth=2
	global_load_b64 v[18:19], v[12:13], off offset:-4
	v_ashrrev_i32_e32 v15, 31, v14
	s_delay_alu instid0(VALU_DEP_1) | instskip(SKIP_2) | instid1(VALU_DEP_1)
	v_lshl_add_u64 v[14:15], v[14:15], 3, s[12:13]
	s_wait_loadcnt 0x0
	v_cndmask_b32_e64 v17, v19, -v19, s2
	v_mul_f32_e64 v19, v17, -v16
	v_mul_f32_e32 v17, v5, v17
	s_delay_alu instid0(VALU_DEP_1)
	v_dual_fmac_f32 v17, v16, v18 :: v_dual_fmac_f32 v19, v5, v18
	s_wait_xcnt 0x0
	global_atomic_add_f32 v[14:15], v19, off scope:SCOPE_DEV
	s_wait_xcnt 0x0
	global_atomic_add_f32 v[14:15], v17, off offset:4 scope:SCOPE_DEV
	s_branch .LBB83_15
.LBB83_18:
	s_endpgm
	.section	.rodata,"a",@progbits
	.p2align	6, 0x0
	.amdhsa_kernel _ZN9rocsparseL21csrmvt_general_kernelILj256ELj4Eli21rocsparse_complex_numIfES2_S2_S2_EEvbbT2_NS_24const_host_device_scalarIT6_EEPKT1_S9_PKS3_PKT3_PKT4_PT5_21rocsparse_index_base_b
		.amdhsa_group_segment_fixed_size 0
		.amdhsa_private_segment_fixed_size 0
		.amdhsa_kernarg_size 328
		.amdhsa_user_sgpr_count 2
		.amdhsa_user_sgpr_dispatch_ptr 0
		.amdhsa_user_sgpr_queue_ptr 0
		.amdhsa_user_sgpr_kernarg_segment_ptr 1
		.amdhsa_user_sgpr_dispatch_id 0
		.amdhsa_user_sgpr_kernarg_preload_length 0
		.amdhsa_user_sgpr_kernarg_preload_offset 0
		.amdhsa_user_sgpr_private_segment_size 0
		.amdhsa_wavefront_size32 1
		.amdhsa_uses_dynamic_stack 0
		.amdhsa_enable_private_segment 0
		.amdhsa_system_sgpr_workgroup_id_x 1
		.amdhsa_system_sgpr_workgroup_id_y 0
		.amdhsa_system_sgpr_workgroup_id_z 0
		.amdhsa_system_sgpr_workgroup_info 0
		.amdhsa_system_vgpr_workitem_id 0
		.amdhsa_next_free_vgpr 22
		.amdhsa_next_free_sgpr 24
		.amdhsa_named_barrier_count 0
		.amdhsa_reserve_vcc 1
		.amdhsa_float_round_mode_32 0
		.amdhsa_float_round_mode_16_64 0
		.amdhsa_float_denorm_mode_32 3
		.amdhsa_float_denorm_mode_16_64 3
		.amdhsa_fp16_overflow 0
		.amdhsa_memory_ordered 1
		.amdhsa_forward_progress 1
		.amdhsa_inst_pref_size 9
		.amdhsa_round_robin_scheduling 0
		.amdhsa_exception_fp_ieee_invalid_op 0
		.amdhsa_exception_fp_denorm_src 0
		.amdhsa_exception_fp_ieee_div_zero 0
		.amdhsa_exception_fp_ieee_overflow 0
		.amdhsa_exception_fp_ieee_underflow 0
		.amdhsa_exception_fp_ieee_inexact 0
		.amdhsa_exception_int_div_zero 0
	.end_amdhsa_kernel
	.section	.text._ZN9rocsparseL21csrmvt_general_kernelILj256ELj4Eli21rocsparse_complex_numIfES2_S2_S2_EEvbbT2_NS_24const_host_device_scalarIT6_EEPKT1_S9_PKS3_PKT3_PKT4_PT5_21rocsparse_index_base_b,"axG",@progbits,_ZN9rocsparseL21csrmvt_general_kernelILj256ELj4Eli21rocsparse_complex_numIfES2_S2_S2_EEvbbT2_NS_24const_host_device_scalarIT6_EEPKT1_S9_PKS3_PKT3_PKT4_PT5_21rocsparse_index_base_b,comdat
.Lfunc_end83:
	.size	_ZN9rocsparseL21csrmvt_general_kernelILj256ELj4Eli21rocsparse_complex_numIfES2_S2_S2_EEvbbT2_NS_24const_host_device_scalarIT6_EEPKT1_S9_PKS3_PKT3_PKT4_PT5_21rocsparse_index_base_b, .Lfunc_end83-_ZN9rocsparseL21csrmvt_general_kernelILj256ELj4Eli21rocsparse_complex_numIfES2_S2_S2_EEvbbT2_NS_24const_host_device_scalarIT6_EEPKT1_S9_PKS3_PKT3_PKT4_PT5_21rocsparse_index_base_b
                                        ; -- End function
	.set _ZN9rocsparseL21csrmvt_general_kernelILj256ELj4Eli21rocsparse_complex_numIfES2_S2_S2_EEvbbT2_NS_24const_host_device_scalarIT6_EEPKT1_S9_PKS3_PKT3_PKT4_PT5_21rocsparse_index_base_b.num_vgpr, 22
	.set _ZN9rocsparseL21csrmvt_general_kernelILj256ELj4Eli21rocsparse_complex_numIfES2_S2_S2_EEvbbT2_NS_24const_host_device_scalarIT6_EEPKT1_S9_PKS3_PKT3_PKT4_PT5_21rocsparse_index_base_b.num_agpr, 0
	.set _ZN9rocsparseL21csrmvt_general_kernelILj256ELj4Eli21rocsparse_complex_numIfES2_S2_S2_EEvbbT2_NS_24const_host_device_scalarIT6_EEPKT1_S9_PKS3_PKT3_PKT4_PT5_21rocsparse_index_base_b.numbered_sgpr, 24
	.set _ZN9rocsparseL21csrmvt_general_kernelILj256ELj4Eli21rocsparse_complex_numIfES2_S2_S2_EEvbbT2_NS_24const_host_device_scalarIT6_EEPKT1_S9_PKS3_PKT3_PKT4_PT5_21rocsparse_index_base_b.num_named_barrier, 0
	.set _ZN9rocsparseL21csrmvt_general_kernelILj256ELj4Eli21rocsparse_complex_numIfES2_S2_S2_EEvbbT2_NS_24const_host_device_scalarIT6_EEPKT1_S9_PKS3_PKT3_PKT4_PT5_21rocsparse_index_base_b.private_seg_size, 0
	.set _ZN9rocsparseL21csrmvt_general_kernelILj256ELj4Eli21rocsparse_complex_numIfES2_S2_S2_EEvbbT2_NS_24const_host_device_scalarIT6_EEPKT1_S9_PKS3_PKT3_PKT4_PT5_21rocsparse_index_base_b.uses_vcc, 1
	.set _ZN9rocsparseL21csrmvt_general_kernelILj256ELj4Eli21rocsparse_complex_numIfES2_S2_S2_EEvbbT2_NS_24const_host_device_scalarIT6_EEPKT1_S9_PKS3_PKT3_PKT4_PT5_21rocsparse_index_base_b.uses_flat_scratch, 0
	.set _ZN9rocsparseL21csrmvt_general_kernelILj256ELj4Eli21rocsparse_complex_numIfES2_S2_S2_EEvbbT2_NS_24const_host_device_scalarIT6_EEPKT1_S9_PKS3_PKT3_PKT4_PT5_21rocsparse_index_base_b.has_dyn_sized_stack, 0
	.set _ZN9rocsparseL21csrmvt_general_kernelILj256ELj4Eli21rocsparse_complex_numIfES2_S2_S2_EEvbbT2_NS_24const_host_device_scalarIT6_EEPKT1_S9_PKS3_PKT3_PKT4_PT5_21rocsparse_index_base_b.has_recursion, 0
	.set _ZN9rocsparseL21csrmvt_general_kernelILj256ELj4Eli21rocsparse_complex_numIfES2_S2_S2_EEvbbT2_NS_24const_host_device_scalarIT6_EEPKT1_S9_PKS3_PKT3_PKT4_PT5_21rocsparse_index_base_b.has_indirect_call, 0
	.section	.AMDGPU.csdata,"",@progbits
; Kernel info:
; codeLenInByte = 1056
; TotalNumSgprs: 26
; NumVgprs: 22
; ScratchSize: 0
; MemoryBound: 0
; FloatMode: 240
; IeeeMode: 1
; LDSByteSize: 0 bytes/workgroup (compile time only)
; SGPRBlocks: 0
; VGPRBlocks: 1
; NumSGPRsForWavesPerEU: 26
; NumVGPRsForWavesPerEU: 22
; NamedBarCnt: 0
; Occupancy: 16
; WaveLimiterHint : 1
; COMPUTE_PGM_RSRC2:SCRATCH_EN: 0
; COMPUTE_PGM_RSRC2:USER_SGPR: 2
; COMPUTE_PGM_RSRC2:TRAP_HANDLER: 0
; COMPUTE_PGM_RSRC2:TGID_X_EN: 1
; COMPUTE_PGM_RSRC2:TGID_Y_EN: 0
; COMPUTE_PGM_RSRC2:TGID_Z_EN: 0
; COMPUTE_PGM_RSRC2:TIDIG_COMP_CNT: 0
	.section	.text._ZN9rocsparseL21csrmvt_general_kernelILj256ELj8Eli21rocsparse_complex_numIfES2_S2_S2_EEvbbT2_NS_24const_host_device_scalarIT6_EEPKT1_S9_PKS3_PKT3_PKT4_PT5_21rocsparse_index_base_b,"axG",@progbits,_ZN9rocsparseL21csrmvt_general_kernelILj256ELj8Eli21rocsparse_complex_numIfES2_S2_S2_EEvbbT2_NS_24const_host_device_scalarIT6_EEPKT1_S9_PKS3_PKT3_PKT4_PT5_21rocsparse_index_base_b,comdat
	.globl	_ZN9rocsparseL21csrmvt_general_kernelILj256ELj8Eli21rocsparse_complex_numIfES2_S2_S2_EEvbbT2_NS_24const_host_device_scalarIT6_EEPKT1_S9_PKS3_PKT3_PKT4_PT5_21rocsparse_index_base_b ; -- Begin function _ZN9rocsparseL21csrmvt_general_kernelILj256ELj8Eli21rocsparse_complex_numIfES2_S2_S2_EEvbbT2_NS_24const_host_device_scalarIT6_EEPKT1_S9_PKS3_PKT3_PKT4_PT5_21rocsparse_index_base_b
	.p2align	8
	.type	_ZN9rocsparseL21csrmvt_general_kernelILj256ELj8Eli21rocsparse_complex_numIfES2_S2_S2_EEvbbT2_NS_24const_host_device_scalarIT6_EEPKT1_S9_PKS3_PKT3_PKT4_PT5_21rocsparse_index_base_b,@function
_ZN9rocsparseL21csrmvt_general_kernelILj256ELj8Eli21rocsparse_complex_numIfES2_S2_S2_EEvbbT2_NS_24const_host_device_scalarIT6_EEPKT1_S9_PKS3_PKT3_PKT4_PT5_21rocsparse_index_base_b: ; @_ZN9rocsparseL21csrmvt_general_kernelILj256ELj8Eli21rocsparse_complex_numIfES2_S2_S2_EEvbbT2_NS_24const_host_device_scalarIT6_EEPKT1_S9_PKS3_PKT3_PKT4_PT5_21rocsparse_index_base_b
; %bb.0:
	s_clause 0x1
	s_load_b64 s[16:17], s[0:1], 0x40
	s_load_b128 s[12:15], s[0:1], 0x8
	v_mov_b32_e32 v1, 0
	s_add_nc_u64 s[2:3], s[0:1], 8
	s_wait_kmcnt 0x0
	s_bitcmp1_b32 s17, 0
	s_cselect_b32 s3, s3, s13
	s_cselect_b32 s2, s2, s12
	flat_load_b64 v[2:3], v1, s[2:3]
	s_wait_loadcnt_dscnt 0x0
	v_cmp_neq_f32_e32 vcc_lo, 0, v2
	v_cmp_neq_f32_e64 s2, 0, v3
	s_or_b32 s2, vcc_lo, s2
	s_delay_alu instid0(SALU_CYCLE_1)
	s_and_saveexec_b32 s3, s2
	s_cbranch_execz .LBB84_18
; %bb.1:
	s_clause 0x3
	s_load_b32 s4, s[0:1], 0x0
	s_load_b64 s[2:3], s[0:1], 0x0
	s_load_b32 s17, s[0:1], 0x48
	s_load_b64 s[12:13], s[0:1], 0x38
	s_wait_kmcnt 0x0
	s_and_b32 s18, s4, 1
	s_bitcmp1_b32 s2, 8
	s_load_b256 s[4:11], s[0:1], 0x18
	s_cselect_b32 s2, -1, 0
	s_wait_xcnt 0x0
	s_bfe_u32 s0, ttmp6, 0x4000c
	s_and_b32 s1, ttmp6, 15
	s_add_co_i32 s0, s0, 1
	s_lshl_b32 s20, s17, 5
	s_mul_i32 s0, ttmp9, s0
	s_getreg_b32 s17, hwreg(HW_REG_IB_STS2, 6, 4)
	s_add_co_i32 s1, s1, s0
	s_cmp_eq_u32 s17, 0
	s_cselect_b32 s0, ttmp9, s1
	s_cmp_eq_u32 s18, 0
	v_lshl_or_b32 v1, s0, 8, v0
	s_mov_b32 s1, -1
	s_delay_alu instid0(VALU_DEP_1) | instskip(NEXT) | instid1(VALU_DEP_1)
	v_dual_lshrrev_b32 v4, 3, v1 :: v_dual_bitop2_b32 v0, 7, v0 bitop3:0x40
	v_cmp_gt_i32_e64 s0, s3, v4
	s_cbranch_scc0 .LBB84_9
; %bb.2:
	s_and_saveexec_b32 s1, s0
	s_cbranch_execz .LBB84_8
; %bb.3:
	v_dual_mov_b32 v1, 0 :: v_dual_mov_b32 v8, v4
	s_mov_b32 s17, 0
	s_wait_kmcnt 0x0
	s_add_nc_u64 s[18:19], s[8:9], 4
	s_mov_b32 s21, s17
	v_sub_nc_u64_e64 v[6:7], v[0:1], s[16:17]
	s_branch .LBB84_5
.LBB84_4:                               ;   in Loop: Header=BB84_5 Depth=1
	s_or_b32 exec_lo, exec_lo, s22
	v_add_nc_u32_e32 v8, s20, v8
	s_delay_alu instid0(VALU_DEP_1) | instskip(SKIP_1) | instid1(SALU_CYCLE_1)
	v_cmp_le_i32_e32 vcc_lo, s3, v8
	s_or_b32 s21, vcc_lo, s21
	s_and_not1_b32 exec_lo, exec_lo, s21
	s_cbranch_execz .LBB84_8
.LBB84_5:                               ; =>This Loop Header: Depth=1
                                        ;     Child Loop BB84_7 Depth 2
	s_clause 0x1
	global_load_b64 v[10:11], v8, s[4:5] scale_offset
	global_load_b64 v[12:13], v8, s[14:15] scale_offset
	s_mov_b32 s22, exec_lo
	s_wait_loadcnt 0x1
	v_sub_nc_u64_e64 v[10:11], v[10:11], s[16:17]
	s_wait_loadcnt 0x0
	v_add_nc_u64_e32 v[12:13], v[12:13], v[6:7]
	s_wait_xcnt 0x0
	s_delay_alu instid0(VALU_DEP_1)
	v_cmpx_lt_i64_e64 v[12:13], v[10:11]
	s_cbranch_execz .LBB84_4
; %bb.6:                                ;   in Loop: Header=BB84_5 Depth=1
	v_ashrrev_i32_e32 v9, 31, v8
	s_mov_b32 s23, 0
	s_delay_alu instid0(VALU_DEP_1)
	v_lshl_add_u64 v[14:15], v[8:9], 3, s[10:11]
	global_load_b64 v[16:17], v[14:15], off
	s_wait_xcnt 0x0
	v_lshl_add_u64 v[14:15], v[12:13], 2, s[6:7]
	s_wait_loadcnt 0x0
	v_dual_mul_f32 v1, v17, -v3 :: v_dual_mul_f32 v5, v2, v17
	s_delay_alu instid0(VALU_DEP_1) | instskip(NEXT) | instid1(VALU_DEP_2)
	v_fmac_f32_e32 v1, v2, v16
	v_fmac_f32_e32 v5, v3, v16
	v_lshl_add_u64 v[16:17], v[12:13], 3, s[18:19]
.LBB84_7:                               ;   Parent Loop BB84_5 Depth=1
                                        ; =>  This Inner Loop Header: Depth=2
	global_load_b32 v9, v[14:15], off
	global_load_b64 v[18:19], v[16:17], off offset:-4
	v_add_nc_u64_e32 v[12:13], 8, v[12:13]
	s_wait_xcnt 0x1
	v_add_nc_u64_e32 v[14:15], 32, v[14:15]
	s_wait_xcnt 0x0
	v_add_nc_u64_e32 v[16:17], 64, v[16:17]
	s_delay_alu instid0(VALU_DEP_3) | instskip(SKIP_4) | instid1(VALU_DEP_1)
	v_cmp_ge_i64_e32 vcc_lo, v[12:13], v[10:11]
	s_or_b32 s23, vcc_lo, s23
	s_wait_loadcnt 0x1
	v_subrev_nc_u32_e32 v20, s16, v9
	s_wait_loadcnt 0x0
	v_dual_cndmask_b32 v9, v19, -v19, s2 :: v_dual_ashrrev_i32 v21, 31, v20
	s_delay_alu instid0(VALU_DEP_1) | instskip(SKIP_1) | instid1(VALU_DEP_3)
	v_mul_f32_e64 v19, v9, -v5
	v_mul_f32_e32 v9, v1, v9
	v_lshl_add_u64 v[20:21], v[20:21], 3, s[12:13]
	s_delay_alu instid0(VALU_DEP_3) | instskip(NEXT) | instid1(VALU_DEP_3)
	v_fmac_f32_e32 v19, v1, v18
	v_fmac_f32_e32 v9, v5, v18
	global_atomic_add_f32 v[20:21], v19, off scope:SCOPE_DEV
	s_wait_xcnt 0x0
	global_atomic_add_f32 v[20:21], v9, off offset:4 scope:SCOPE_DEV
	s_wait_xcnt 0x0
	s_and_not1_b32 exec_lo, exec_lo, s23
	s_cbranch_execnz .LBB84_7
	s_branch .LBB84_4
.LBB84_8:
	s_or_b32 exec_lo, exec_lo, s1
	s_mov_b32 s1, 0
.LBB84_9:
	s_delay_alu instid0(SALU_CYCLE_1)
	s_and_not1_b32 vcc_lo, exec_lo, s1
	s_cbranch_vccnz .LBB84_18
; %bb.10:
	s_and_b32 exec_lo, exec_lo, s0
	s_cbranch_execz .LBB84_18
; %bb.11:
	v_mov_b32_e32 v1, 0
	s_mov_b32 s17, 0
	s_wait_kmcnt 0x0
	s_add_nc_u64 s[0:1], s[8:9], 4
	s_mov_b32 s8, s17
	v_sub_nc_u64_e64 v[0:1], v[0:1], s[16:17]
	s_branch .LBB84_13
.LBB84_12:                              ;   in Loop: Header=BB84_13 Depth=1
	s_or_b32 exec_lo, exec_lo, s9
	v_add_nc_u32_e32 v4, s20, v4
	s_delay_alu instid0(VALU_DEP_1) | instskip(SKIP_1) | instid1(SALU_CYCLE_1)
	v_cmp_le_i32_e32 vcc_lo, s3, v4
	s_or_b32 s8, vcc_lo, s8
	s_and_not1_b32 exec_lo, exec_lo, s8
	s_cbranch_execz .LBB84_18
.LBB84_13:                              ; =>This Loop Header: Depth=1
                                        ;     Child Loop BB84_16 Depth 2
	s_clause 0x1
	global_load_b64 v[6:7], v4, s[4:5] scale_offset
	global_load_b64 v[8:9], v4, s[14:15] scale_offset
	s_mov_b32 s9, exec_lo
	s_wait_loadcnt 0x1
	v_sub_nc_u64_e64 v[6:7], v[6:7], s[16:17]
	s_wait_loadcnt 0x0
	v_add_nc_u64_e32 v[8:9], v[8:9], v[0:1]
	s_wait_xcnt 0x0
	s_delay_alu instid0(VALU_DEP_1)
	v_cmpx_lt_i64_e64 v[8:9], v[6:7]
	s_cbranch_execz .LBB84_12
; %bb.14:                               ;   in Loop: Header=BB84_13 Depth=1
	v_ashrrev_i32_e32 v5, 31, v4
	s_mov_b32 s18, 0
	s_delay_alu instid0(VALU_DEP_1)
	v_lshl_add_u64 v[10:11], v[4:5], 3, s[10:11]
	global_load_b64 v[12:13], v[10:11], off
	s_wait_xcnt 0x0
	v_lshl_add_u64 v[10:11], v[8:9], 2, s[6:7]
	s_wait_loadcnt 0x0
	v_dual_mul_f32 v16, v2, v13 :: v_dual_mul_f32 v5, v13, -v3
	s_delay_alu instid0(VALU_DEP_1)
	v_dual_fmac_f32 v16, v3, v12 :: v_dual_fmac_f32 v5, v2, v12
	v_lshl_add_u64 v[12:13], v[8:9], 3, s[0:1]
	s_branch .LBB84_16
.LBB84_15:                              ;   in Loop: Header=BB84_16 Depth=2
	s_wait_xcnt 0x0
	s_or_b32 exec_lo, exec_lo, s19
	v_add_nc_u64_e32 v[8:9], 8, v[8:9]
	v_add_nc_u64_e32 v[10:11], 32, v[10:11]
	;; [unrolled: 1-line block ×3, first 2 shown]
	s_delay_alu instid0(VALU_DEP_3) | instskip(SKIP_1) | instid1(SALU_CYCLE_1)
	v_cmp_ge_i64_e32 vcc_lo, v[8:9], v[6:7]
	s_or_b32 s18, vcc_lo, s18
	s_and_not1_b32 exec_lo, exec_lo, s18
	s_cbranch_execz .LBB84_12
.LBB84_16:                              ;   Parent Loop BB84_13 Depth=1
                                        ; =>  This Inner Loop Header: Depth=2
	global_load_b32 v14, v[10:11], off
	s_mov_b32 s19, exec_lo
	s_wait_loadcnt 0x0
	v_subrev_nc_u32_e32 v14, s16, v14
	s_wait_xcnt 0x0
	s_delay_alu instid0(VALU_DEP_1)
	v_cmpx_ne_u32_e64 v14, v4
	s_cbranch_execz .LBB84_15
; %bb.17:                               ;   in Loop: Header=BB84_16 Depth=2
	global_load_b64 v[18:19], v[12:13], off offset:-4
	v_ashrrev_i32_e32 v15, 31, v14
	s_delay_alu instid0(VALU_DEP_1) | instskip(SKIP_2) | instid1(VALU_DEP_1)
	v_lshl_add_u64 v[14:15], v[14:15], 3, s[12:13]
	s_wait_loadcnt 0x0
	v_cndmask_b32_e64 v17, v19, -v19, s2
	v_mul_f32_e64 v19, v17, -v16
	v_mul_f32_e32 v17, v5, v17
	s_delay_alu instid0(VALU_DEP_1)
	v_dual_fmac_f32 v17, v16, v18 :: v_dual_fmac_f32 v19, v5, v18
	s_wait_xcnt 0x0
	global_atomic_add_f32 v[14:15], v19, off scope:SCOPE_DEV
	s_wait_xcnt 0x0
	global_atomic_add_f32 v[14:15], v17, off offset:4 scope:SCOPE_DEV
	s_branch .LBB84_15
.LBB84_18:
	s_endpgm
	.section	.rodata,"a",@progbits
	.p2align	6, 0x0
	.amdhsa_kernel _ZN9rocsparseL21csrmvt_general_kernelILj256ELj8Eli21rocsparse_complex_numIfES2_S2_S2_EEvbbT2_NS_24const_host_device_scalarIT6_EEPKT1_S9_PKS3_PKT3_PKT4_PT5_21rocsparse_index_base_b
		.amdhsa_group_segment_fixed_size 0
		.amdhsa_private_segment_fixed_size 0
		.amdhsa_kernarg_size 328
		.amdhsa_user_sgpr_count 2
		.amdhsa_user_sgpr_dispatch_ptr 0
		.amdhsa_user_sgpr_queue_ptr 0
		.amdhsa_user_sgpr_kernarg_segment_ptr 1
		.amdhsa_user_sgpr_dispatch_id 0
		.amdhsa_user_sgpr_kernarg_preload_length 0
		.amdhsa_user_sgpr_kernarg_preload_offset 0
		.amdhsa_user_sgpr_private_segment_size 0
		.amdhsa_wavefront_size32 1
		.amdhsa_uses_dynamic_stack 0
		.amdhsa_enable_private_segment 0
		.amdhsa_system_sgpr_workgroup_id_x 1
		.amdhsa_system_sgpr_workgroup_id_y 0
		.amdhsa_system_sgpr_workgroup_id_z 0
		.amdhsa_system_sgpr_workgroup_info 0
		.amdhsa_system_vgpr_workitem_id 0
		.amdhsa_next_free_vgpr 22
		.amdhsa_next_free_sgpr 24
		.amdhsa_named_barrier_count 0
		.amdhsa_reserve_vcc 1
		.amdhsa_float_round_mode_32 0
		.amdhsa_float_round_mode_16_64 0
		.amdhsa_float_denorm_mode_32 3
		.amdhsa_float_denorm_mode_16_64 3
		.amdhsa_fp16_overflow 0
		.amdhsa_memory_ordered 1
		.amdhsa_forward_progress 1
		.amdhsa_inst_pref_size 9
		.amdhsa_round_robin_scheduling 0
		.amdhsa_exception_fp_ieee_invalid_op 0
		.amdhsa_exception_fp_denorm_src 0
		.amdhsa_exception_fp_ieee_div_zero 0
		.amdhsa_exception_fp_ieee_overflow 0
		.amdhsa_exception_fp_ieee_underflow 0
		.amdhsa_exception_fp_ieee_inexact 0
		.amdhsa_exception_int_div_zero 0
	.end_amdhsa_kernel
	.section	.text._ZN9rocsparseL21csrmvt_general_kernelILj256ELj8Eli21rocsparse_complex_numIfES2_S2_S2_EEvbbT2_NS_24const_host_device_scalarIT6_EEPKT1_S9_PKS3_PKT3_PKT4_PT5_21rocsparse_index_base_b,"axG",@progbits,_ZN9rocsparseL21csrmvt_general_kernelILj256ELj8Eli21rocsparse_complex_numIfES2_S2_S2_EEvbbT2_NS_24const_host_device_scalarIT6_EEPKT1_S9_PKS3_PKT3_PKT4_PT5_21rocsparse_index_base_b,comdat
.Lfunc_end84:
	.size	_ZN9rocsparseL21csrmvt_general_kernelILj256ELj8Eli21rocsparse_complex_numIfES2_S2_S2_EEvbbT2_NS_24const_host_device_scalarIT6_EEPKT1_S9_PKS3_PKT3_PKT4_PT5_21rocsparse_index_base_b, .Lfunc_end84-_ZN9rocsparseL21csrmvt_general_kernelILj256ELj8Eli21rocsparse_complex_numIfES2_S2_S2_EEvbbT2_NS_24const_host_device_scalarIT6_EEPKT1_S9_PKS3_PKT3_PKT4_PT5_21rocsparse_index_base_b
                                        ; -- End function
	.set _ZN9rocsparseL21csrmvt_general_kernelILj256ELj8Eli21rocsparse_complex_numIfES2_S2_S2_EEvbbT2_NS_24const_host_device_scalarIT6_EEPKT1_S9_PKS3_PKT3_PKT4_PT5_21rocsparse_index_base_b.num_vgpr, 22
	.set _ZN9rocsparseL21csrmvt_general_kernelILj256ELj8Eli21rocsparse_complex_numIfES2_S2_S2_EEvbbT2_NS_24const_host_device_scalarIT6_EEPKT1_S9_PKS3_PKT3_PKT4_PT5_21rocsparse_index_base_b.num_agpr, 0
	.set _ZN9rocsparseL21csrmvt_general_kernelILj256ELj8Eli21rocsparse_complex_numIfES2_S2_S2_EEvbbT2_NS_24const_host_device_scalarIT6_EEPKT1_S9_PKS3_PKT3_PKT4_PT5_21rocsparse_index_base_b.numbered_sgpr, 24
	.set _ZN9rocsparseL21csrmvt_general_kernelILj256ELj8Eli21rocsparse_complex_numIfES2_S2_S2_EEvbbT2_NS_24const_host_device_scalarIT6_EEPKT1_S9_PKS3_PKT3_PKT4_PT5_21rocsparse_index_base_b.num_named_barrier, 0
	.set _ZN9rocsparseL21csrmvt_general_kernelILj256ELj8Eli21rocsparse_complex_numIfES2_S2_S2_EEvbbT2_NS_24const_host_device_scalarIT6_EEPKT1_S9_PKS3_PKT3_PKT4_PT5_21rocsparse_index_base_b.private_seg_size, 0
	.set _ZN9rocsparseL21csrmvt_general_kernelILj256ELj8Eli21rocsparse_complex_numIfES2_S2_S2_EEvbbT2_NS_24const_host_device_scalarIT6_EEPKT1_S9_PKS3_PKT3_PKT4_PT5_21rocsparse_index_base_b.uses_vcc, 1
	.set _ZN9rocsparseL21csrmvt_general_kernelILj256ELj8Eli21rocsparse_complex_numIfES2_S2_S2_EEvbbT2_NS_24const_host_device_scalarIT6_EEPKT1_S9_PKS3_PKT3_PKT4_PT5_21rocsparse_index_base_b.uses_flat_scratch, 0
	.set _ZN9rocsparseL21csrmvt_general_kernelILj256ELj8Eli21rocsparse_complex_numIfES2_S2_S2_EEvbbT2_NS_24const_host_device_scalarIT6_EEPKT1_S9_PKS3_PKT3_PKT4_PT5_21rocsparse_index_base_b.has_dyn_sized_stack, 0
	.set _ZN9rocsparseL21csrmvt_general_kernelILj256ELj8Eli21rocsparse_complex_numIfES2_S2_S2_EEvbbT2_NS_24const_host_device_scalarIT6_EEPKT1_S9_PKS3_PKT3_PKT4_PT5_21rocsparse_index_base_b.has_recursion, 0
	.set _ZN9rocsparseL21csrmvt_general_kernelILj256ELj8Eli21rocsparse_complex_numIfES2_S2_S2_EEvbbT2_NS_24const_host_device_scalarIT6_EEPKT1_S9_PKS3_PKT3_PKT4_PT5_21rocsparse_index_base_b.has_indirect_call, 0
	.section	.AMDGPU.csdata,"",@progbits
; Kernel info:
; codeLenInByte = 1056
; TotalNumSgprs: 26
; NumVgprs: 22
; ScratchSize: 0
; MemoryBound: 0
; FloatMode: 240
; IeeeMode: 1
; LDSByteSize: 0 bytes/workgroup (compile time only)
; SGPRBlocks: 0
; VGPRBlocks: 1
; NumSGPRsForWavesPerEU: 26
; NumVGPRsForWavesPerEU: 22
; NamedBarCnt: 0
; Occupancy: 16
; WaveLimiterHint : 1
; COMPUTE_PGM_RSRC2:SCRATCH_EN: 0
; COMPUTE_PGM_RSRC2:USER_SGPR: 2
; COMPUTE_PGM_RSRC2:TRAP_HANDLER: 0
; COMPUTE_PGM_RSRC2:TGID_X_EN: 1
; COMPUTE_PGM_RSRC2:TGID_Y_EN: 0
; COMPUTE_PGM_RSRC2:TGID_Z_EN: 0
; COMPUTE_PGM_RSRC2:TIDIG_COMP_CNT: 0
	.section	.text._ZN9rocsparseL21csrmvt_general_kernelILj256ELj16Eli21rocsparse_complex_numIfES2_S2_S2_EEvbbT2_NS_24const_host_device_scalarIT6_EEPKT1_S9_PKS3_PKT3_PKT4_PT5_21rocsparse_index_base_b,"axG",@progbits,_ZN9rocsparseL21csrmvt_general_kernelILj256ELj16Eli21rocsparse_complex_numIfES2_S2_S2_EEvbbT2_NS_24const_host_device_scalarIT6_EEPKT1_S9_PKS3_PKT3_PKT4_PT5_21rocsparse_index_base_b,comdat
	.globl	_ZN9rocsparseL21csrmvt_general_kernelILj256ELj16Eli21rocsparse_complex_numIfES2_S2_S2_EEvbbT2_NS_24const_host_device_scalarIT6_EEPKT1_S9_PKS3_PKT3_PKT4_PT5_21rocsparse_index_base_b ; -- Begin function _ZN9rocsparseL21csrmvt_general_kernelILj256ELj16Eli21rocsparse_complex_numIfES2_S2_S2_EEvbbT2_NS_24const_host_device_scalarIT6_EEPKT1_S9_PKS3_PKT3_PKT4_PT5_21rocsparse_index_base_b
	.p2align	8
	.type	_ZN9rocsparseL21csrmvt_general_kernelILj256ELj16Eli21rocsparse_complex_numIfES2_S2_S2_EEvbbT2_NS_24const_host_device_scalarIT6_EEPKT1_S9_PKS3_PKT3_PKT4_PT5_21rocsparse_index_base_b,@function
_ZN9rocsparseL21csrmvt_general_kernelILj256ELj16Eli21rocsparse_complex_numIfES2_S2_S2_EEvbbT2_NS_24const_host_device_scalarIT6_EEPKT1_S9_PKS3_PKT3_PKT4_PT5_21rocsparse_index_base_b: ; @_ZN9rocsparseL21csrmvt_general_kernelILj256ELj16Eli21rocsparse_complex_numIfES2_S2_S2_EEvbbT2_NS_24const_host_device_scalarIT6_EEPKT1_S9_PKS3_PKT3_PKT4_PT5_21rocsparse_index_base_b
; %bb.0:
	s_clause 0x1
	s_load_b64 s[16:17], s[0:1], 0x40
	s_load_b128 s[12:15], s[0:1], 0x8
	v_mov_b32_e32 v1, 0
	s_add_nc_u64 s[2:3], s[0:1], 8
	s_wait_kmcnt 0x0
	s_bitcmp1_b32 s17, 0
	s_cselect_b32 s3, s3, s13
	s_cselect_b32 s2, s2, s12
	flat_load_b64 v[2:3], v1, s[2:3]
	s_wait_loadcnt_dscnt 0x0
	v_cmp_neq_f32_e32 vcc_lo, 0, v2
	v_cmp_neq_f32_e64 s2, 0, v3
	s_or_b32 s2, vcc_lo, s2
	s_delay_alu instid0(SALU_CYCLE_1)
	s_and_saveexec_b32 s3, s2
	s_cbranch_execz .LBB85_18
; %bb.1:
	s_clause 0x3
	s_load_b32 s4, s[0:1], 0x0
	s_load_b64 s[2:3], s[0:1], 0x0
	s_load_b32 s17, s[0:1], 0x48
	s_load_b64 s[12:13], s[0:1], 0x38
	s_wait_kmcnt 0x0
	s_and_b32 s18, s4, 1
	s_bitcmp1_b32 s2, 8
	s_load_b256 s[4:11], s[0:1], 0x18
	s_cselect_b32 s2, -1, 0
	s_wait_xcnt 0x0
	s_bfe_u32 s0, ttmp6, 0x4000c
	s_and_b32 s1, ttmp6, 15
	s_add_co_i32 s0, s0, 1
	s_lshl_b32 s20, s17, 4
	s_mul_i32 s0, ttmp9, s0
	s_getreg_b32 s17, hwreg(HW_REG_IB_STS2, 6, 4)
	s_add_co_i32 s1, s1, s0
	s_cmp_eq_u32 s17, 0
	s_cselect_b32 s0, ttmp9, s1
	s_cmp_eq_u32 s18, 0
	v_lshl_or_b32 v1, s0, 8, v0
	s_mov_b32 s1, -1
	s_delay_alu instid0(VALU_DEP_1) | instskip(NEXT) | instid1(VALU_DEP_1)
	v_dual_lshrrev_b32 v4, 4, v1 :: v_dual_bitop2_b32 v0, 15, v0 bitop3:0x40
	v_cmp_gt_i32_e64 s0, s3, v4
	s_cbranch_scc0 .LBB85_9
; %bb.2:
	s_and_saveexec_b32 s1, s0
	s_cbranch_execz .LBB85_8
; %bb.3:
	v_dual_mov_b32 v1, 0 :: v_dual_mov_b32 v8, v4
	s_mov_b32 s17, 0
	s_wait_kmcnt 0x0
	s_add_nc_u64 s[18:19], s[8:9], 4
	s_mov_b32 s21, s17
	v_sub_nc_u64_e64 v[6:7], v[0:1], s[16:17]
	s_branch .LBB85_5
.LBB85_4:                               ;   in Loop: Header=BB85_5 Depth=1
	s_or_b32 exec_lo, exec_lo, s22
	v_add_nc_u32_e32 v8, s20, v8
	s_delay_alu instid0(VALU_DEP_1) | instskip(SKIP_1) | instid1(SALU_CYCLE_1)
	v_cmp_le_i32_e32 vcc_lo, s3, v8
	s_or_b32 s21, vcc_lo, s21
	s_and_not1_b32 exec_lo, exec_lo, s21
	s_cbranch_execz .LBB85_8
.LBB85_5:                               ; =>This Loop Header: Depth=1
                                        ;     Child Loop BB85_7 Depth 2
	s_clause 0x1
	global_load_b64 v[10:11], v8, s[4:5] scale_offset
	global_load_b64 v[12:13], v8, s[14:15] scale_offset
	s_mov_b32 s22, exec_lo
	s_wait_loadcnt 0x1
	v_sub_nc_u64_e64 v[10:11], v[10:11], s[16:17]
	s_wait_loadcnt 0x0
	v_add_nc_u64_e32 v[12:13], v[12:13], v[6:7]
	s_wait_xcnt 0x0
	s_delay_alu instid0(VALU_DEP_1)
	v_cmpx_lt_i64_e64 v[12:13], v[10:11]
	s_cbranch_execz .LBB85_4
; %bb.6:                                ;   in Loop: Header=BB85_5 Depth=1
	v_ashrrev_i32_e32 v9, 31, v8
	s_mov_b32 s23, 0
	s_delay_alu instid0(VALU_DEP_1)
	v_lshl_add_u64 v[14:15], v[8:9], 3, s[10:11]
	global_load_b64 v[16:17], v[14:15], off
	s_wait_xcnt 0x0
	v_lshl_add_u64 v[14:15], v[12:13], 2, s[6:7]
	s_wait_loadcnt 0x0
	v_dual_mul_f32 v1, v17, -v3 :: v_dual_mul_f32 v5, v2, v17
	s_delay_alu instid0(VALU_DEP_1) | instskip(NEXT) | instid1(VALU_DEP_2)
	v_fmac_f32_e32 v1, v2, v16
	v_fmac_f32_e32 v5, v3, v16
	v_lshl_add_u64 v[16:17], v[12:13], 3, s[18:19]
.LBB85_7:                               ;   Parent Loop BB85_5 Depth=1
                                        ; =>  This Inner Loop Header: Depth=2
	global_load_b32 v9, v[14:15], off
	global_load_b64 v[18:19], v[16:17], off offset:-4
	v_add_nc_u64_e32 v[12:13], 16, v[12:13]
	s_wait_xcnt 0x1
	v_add_nc_u64_e32 v[14:15], 64, v[14:15]
	s_wait_xcnt 0x0
	v_add_nc_u64_e32 v[16:17], 0x80, v[16:17]
	s_delay_alu instid0(VALU_DEP_3) | instskip(SKIP_4) | instid1(VALU_DEP_1)
	v_cmp_ge_i64_e32 vcc_lo, v[12:13], v[10:11]
	s_or_b32 s23, vcc_lo, s23
	s_wait_loadcnt 0x1
	v_subrev_nc_u32_e32 v20, s16, v9
	s_wait_loadcnt 0x0
	v_dual_cndmask_b32 v9, v19, -v19, s2 :: v_dual_ashrrev_i32 v21, 31, v20
	s_delay_alu instid0(VALU_DEP_1) | instskip(SKIP_1) | instid1(VALU_DEP_3)
	v_mul_f32_e64 v19, v9, -v5
	v_mul_f32_e32 v9, v1, v9
	v_lshl_add_u64 v[20:21], v[20:21], 3, s[12:13]
	s_delay_alu instid0(VALU_DEP_3) | instskip(NEXT) | instid1(VALU_DEP_3)
	v_fmac_f32_e32 v19, v1, v18
	v_fmac_f32_e32 v9, v5, v18
	global_atomic_add_f32 v[20:21], v19, off scope:SCOPE_DEV
	s_wait_xcnt 0x0
	global_atomic_add_f32 v[20:21], v9, off offset:4 scope:SCOPE_DEV
	s_wait_xcnt 0x0
	s_and_not1_b32 exec_lo, exec_lo, s23
	s_cbranch_execnz .LBB85_7
	s_branch .LBB85_4
.LBB85_8:
	s_or_b32 exec_lo, exec_lo, s1
	s_mov_b32 s1, 0
.LBB85_9:
	s_delay_alu instid0(SALU_CYCLE_1)
	s_and_not1_b32 vcc_lo, exec_lo, s1
	s_cbranch_vccnz .LBB85_18
; %bb.10:
	s_and_b32 exec_lo, exec_lo, s0
	s_cbranch_execz .LBB85_18
; %bb.11:
	v_mov_b32_e32 v1, 0
	s_mov_b32 s17, 0
	s_wait_kmcnt 0x0
	s_add_nc_u64 s[0:1], s[8:9], 4
	s_mov_b32 s8, s17
	v_sub_nc_u64_e64 v[0:1], v[0:1], s[16:17]
	s_branch .LBB85_13
.LBB85_12:                              ;   in Loop: Header=BB85_13 Depth=1
	s_or_b32 exec_lo, exec_lo, s9
	v_add_nc_u32_e32 v4, s20, v4
	s_delay_alu instid0(VALU_DEP_1) | instskip(SKIP_1) | instid1(SALU_CYCLE_1)
	v_cmp_le_i32_e32 vcc_lo, s3, v4
	s_or_b32 s8, vcc_lo, s8
	s_and_not1_b32 exec_lo, exec_lo, s8
	s_cbranch_execz .LBB85_18
.LBB85_13:                              ; =>This Loop Header: Depth=1
                                        ;     Child Loop BB85_16 Depth 2
	s_clause 0x1
	global_load_b64 v[6:7], v4, s[4:5] scale_offset
	global_load_b64 v[8:9], v4, s[14:15] scale_offset
	s_mov_b32 s9, exec_lo
	s_wait_loadcnt 0x1
	v_sub_nc_u64_e64 v[6:7], v[6:7], s[16:17]
	s_wait_loadcnt 0x0
	v_add_nc_u64_e32 v[8:9], v[8:9], v[0:1]
	s_wait_xcnt 0x0
	s_delay_alu instid0(VALU_DEP_1)
	v_cmpx_lt_i64_e64 v[8:9], v[6:7]
	s_cbranch_execz .LBB85_12
; %bb.14:                               ;   in Loop: Header=BB85_13 Depth=1
	v_ashrrev_i32_e32 v5, 31, v4
	s_mov_b32 s18, 0
	s_delay_alu instid0(VALU_DEP_1)
	v_lshl_add_u64 v[10:11], v[4:5], 3, s[10:11]
	global_load_b64 v[12:13], v[10:11], off
	s_wait_xcnt 0x0
	v_lshl_add_u64 v[10:11], v[8:9], 2, s[6:7]
	s_wait_loadcnt 0x0
	v_dual_mul_f32 v16, v2, v13 :: v_dual_mul_f32 v5, v13, -v3
	s_delay_alu instid0(VALU_DEP_1)
	v_dual_fmac_f32 v16, v3, v12 :: v_dual_fmac_f32 v5, v2, v12
	v_lshl_add_u64 v[12:13], v[8:9], 3, s[0:1]
	s_branch .LBB85_16
.LBB85_15:                              ;   in Loop: Header=BB85_16 Depth=2
	s_wait_xcnt 0x0
	s_or_b32 exec_lo, exec_lo, s19
	v_add_nc_u64_e32 v[8:9], 16, v[8:9]
	v_add_nc_u64_e32 v[10:11], 64, v[10:11]
	;; [unrolled: 1-line block ×3, first 2 shown]
	s_delay_alu instid0(VALU_DEP_3) | instskip(SKIP_1) | instid1(SALU_CYCLE_1)
	v_cmp_ge_i64_e32 vcc_lo, v[8:9], v[6:7]
	s_or_b32 s18, vcc_lo, s18
	s_and_not1_b32 exec_lo, exec_lo, s18
	s_cbranch_execz .LBB85_12
.LBB85_16:                              ;   Parent Loop BB85_13 Depth=1
                                        ; =>  This Inner Loop Header: Depth=2
	global_load_b32 v14, v[10:11], off
	s_mov_b32 s19, exec_lo
	s_wait_loadcnt 0x0
	v_subrev_nc_u32_e32 v14, s16, v14
	s_wait_xcnt 0x0
	s_delay_alu instid0(VALU_DEP_1)
	v_cmpx_ne_u32_e64 v14, v4
	s_cbranch_execz .LBB85_15
; %bb.17:                               ;   in Loop: Header=BB85_16 Depth=2
	global_load_b64 v[18:19], v[12:13], off offset:-4
	v_ashrrev_i32_e32 v15, 31, v14
	s_delay_alu instid0(VALU_DEP_1) | instskip(SKIP_2) | instid1(VALU_DEP_1)
	v_lshl_add_u64 v[14:15], v[14:15], 3, s[12:13]
	s_wait_loadcnt 0x0
	v_cndmask_b32_e64 v17, v19, -v19, s2
	v_mul_f32_e64 v19, v17, -v16
	v_mul_f32_e32 v17, v5, v17
	s_delay_alu instid0(VALU_DEP_1)
	v_dual_fmac_f32 v17, v16, v18 :: v_dual_fmac_f32 v19, v5, v18
	s_wait_xcnt 0x0
	global_atomic_add_f32 v[14:15], v19, off scope:SCOPE_DEV
	s_wait_xcnt 0x0
	global_atomic_add_f32 v[14:15], v17, off offset:4 scope:SCOPE_DEV
	s_branch .LBB85_15
.LBB85_18:
	s_endpgm
	.section	.rodata,"a",@progbits
	.p2align	6, 0x0
	.amdhsa_kernel _ZN9rocsparseL21csrmvt_general_kernelILj256ELj16Eli21rocsparse_complex_numIfES2_S2_S2_EEvbbT2_NS_24const_host_device_scalarIT6_EEPKT1_S9_PKS3_PKT3_PKT4_PT5_21rocsparse_index_base_b
		.amdhsa_group_segment_fixed_size 0
		.amdhsa_private_segment_fixed_size 0
		.amdhsa_kernarg_size 328
		.amdhsa_user_sgpr_count 2
		.amdhsa_user_sgpr_dispatch_ptr 0
		.amdhsa_user_sgpr_queue_ptr 0
		.amdhsa_user_sgpr_kernarg_segment_ptr 1
		.amdhsa_user_sgpr_dispatch_id 0
		.amdhsa_user_sgpr_kernarg_preload_length 0
		.amdhsa_user_sgpr_kernarg_preload_offset 0
		.amdhsa_user_sgpr_private_segment_size 0
		.amdhsa_wavefront_size32 1
		.amdhsa_uses_dynamic_stack 0
		.amdhsa_enable_private_segment 0
		.amdhsa_system_sgpr_workgroup_id_x 1
		.amdhsa_system_sgpr_workgroup_id_y 0
		.amdhsa_system_sgpr_workgroup_id_z 0
		.amdhsa_system_sgpr_workgroup_info 0
		.amdhsa_system_vgpr_workitem_id 0
		.amdhsa_next_free_vgpr 22
		.amdhsa_next_free_sgpr 24
		.amdhsa_named_barrier_count 0
		.amdhsa_reserve_vcc 1
		.amdhsa_float_round_mode_32 0
		.amdhsa_float_round_mode_16_64 0
		.amdhsa_float_denorm_mode_32 3
		.amdhsa_float_denorm_mode_16_64 3
		.amdhsa_fp16_overflow 0
		.amdhsa_memory_ordered 1
		.amdhsa_forward_progress 1
		.amdhsa_inst_pref_size 9
		.amdhsa_round_robin_scheduling 0
		.amdhsa_exception_fp_ieee_invalid_op 0
		.amdhsa_exception_fp_denorm_src 0
		.amdhsa_exception_fp_ieee_div_zero 0
		.amdhsa_exception_fp_ieee_overflow 0
		.amdhsa_exception_fp_ieee_underflow 0
		.amdhsa_exception_fp_ieee_inexact 0
		.amdhsa_exception_int_div_zero 0
	.end_amdhsa_kernel
	.section	.text._ZN9rocsparseL21csrmvt_general_kernelILj256ELj16Eli21rocsparse_complex_numIfES2_S2_S2_EEvbbT2_NS_24const_host_device_scalarIT6_EEPKT1_S9_PKS3_PKT3_PKT4_PT5_21rocsparse_index_base_b,"axG",@progbits,_ZN9rocsparseL21csrmvt_general_kernelILj256ELj16Eli21rocsparse_complex_numIfES2_S2_S2_EEvbbT2_NS_24const_host_device_scalarIT6_EEPKT1_S9_PKS3_PKT3_PKT4_PT5_21rocsparse_index_base_b,comdat
.Lfunc_end85:
	.size	_ZN9rocsparseL21csrmvt_general_kernelILj256ELj16Eli21rocsparse_complex_numIfES2_S2_S2_EEvbbT2_NS_24const_host_device_scalarIT6_EEPKT1_S9_PKS3_PKT3_PKT4_PT5_21rocsparse_index_base_b, .Lfunc_end85-_ZN9rocsparseL21csrmvt_general_kernelILj256ELj16Eli21rocsparse_complex_numIfES2_S2_S2_EEvbbT2_NS_24const_host_device_scalarIT6_EEPKT1_S9_PKS3_PKT3_PKT4_PT5_21rocsparse_index_base_b
                                        ; -- End function
	.set _ZN9rocsparseL21csrmvt_general_kernelILj256ELj16Eli21rocsparse_complex_numIfES2_S2_S2_EEvbbT2_NS_24const_host_device_scalarIT6_EEPKT1_S9_PKS3_PKT3_PKT4_PT5_21rocsparse_index_base_b.num_vgpr, 22
	.set _ZN9rocsparseL21csrmvt_general_kernelILj256ELj16Eli21rocsparse_complex_numIfES2_S2_S2_EEvbbT2_NS_24const_host_device_scalarIT6_EEPKT1_S9_PKS3_PKT3_PKT4_PT5_21rocsparse_index_base_b.num_agpr, 0
	.set _ZN9rocsparseL21csrmvt_general_kernelILj256ELj16Eli21rocsparse_complex_numIfES2_S2_S2_EEvbbT2_NS_24const_host_device_scalarIT6_EEPKT1_S9_PKS3_PKT3_PKT4_PT5_21rocsparse_index_base_b.numbered_sgpr, 24
	.set _ZN9rocsparseL21csrmvt_general_kernelILj256ELj16Eli21rocsparse_complex_numIfES2_S2_S2_EEvbbT2_NS_24const_host_device_scalarIT6_EEPKT1_S9_PKS3_PKT3_PKT4_PT5_21rocsparse_index_base_b.num_named_barrier, 0
	.set _ZN9rocsparseL21csrmvt_general_kernelILj256ELj16Eli21rocsparse_complex_numIfES2_S2_S2_EEvbbT2_NS_24const_host_device_scalarIT6_EEPKT1_S9_PKS3_PKT3_PKT4_PT5_21rocsparse_index_base_b.private_seg_size, 0
	.set _ZN9rocsparseL21csrmvt_general_kernelILj256ELj16Eli21rocsparse_complex_numIfES2_S2_S2_EEvbbT2_NS_24const_host_device_scalarIT6_EEPKT1_S9_PKS3_PKT3_PKT4_PT5_21rocsparse_index_base_b.uses_vcc, 1
	.set _ZN9rocsparseL21csrmvt_general_kernelILj256ELj16Eli21rocsparse_complex_numIfES2_S2_S2_EEvbbT2_NS_24const_host_device_scalarIT6_EEPKT1_S9_PKS3_PKT3_PKT4_PT5_21rocsparse_index_base_b.uses_flat_scratch, 0
	.set _ZN9rocsparseL21csrmvt_general_kernelILj256ELj16Eli21rocsparse_complex_numIfES2_S2_S2_EEvbbT2_NS_24const_host_device_scalarIT6_EEPKT1_S9_PKS3_PKT3_PKT4_PT5_21rocsparse_index_base_b.has_dyn_sized_stack, 0
	.set _ZN9rocsparseL21csrmvt_general_kernelILj256ELj16Eli21rocsparse_complex_numIfES2_S2_S2_EEvbbT2_NS_24const_host_device_scalarIT6_EEPKT1_S9_PKS3_PKT3_PKT4_PT5_21rocsparse_index_base_b.has_recursion, 0
	.set _ZN9rocsparseL21csrmvt_general_kernelILj256ELj16Eli21rocsparse_complex_numIfES2_S2_S2_EEvbbT2_NS_24const_host_device_scalarIT6_EEPKT1_S9_PKS3_PKT3_PKT4_PT5_21rocsparse_index_base_b.has_indirect_call, 0
	.section	.AMDGPU.csdata,"",@progbits
; Kernel info:
; codeLenInByte = 1064
; TotalNumSgprs: 26
; NumVgprs: 22
; ScratchSize: 0
; MemoryBound: 0
; FloatMode: 240
; IeeeMode: 1
; LDSByteSize: 0 bytes/workgroup (compile time only)
; SGPRBlocks: 0
; VGPRBlocks: 1
; NumSGPRsForWavesPerEU: 26
; NumVGPRsForWavesPerEU: 22
; NamedBarCnt: 0
; Occupancy: 16
; WaveLimiterHint : 1
; COMPUTE_PGM_RSRC2:SCRATCH_EN: 0
; COMPUTE_PGM_RSRC2:USER_SGPR: 2
; COMPUTE_PGM_RSRC2:TRAP_HANDLER: 0
; COMPUTE_PGM_RSRC2:TGID_X_EN: 1
; COMPUTE_PGM_RSRC2:TGID_Y_EN: 0
; COMPUTE_PGM_RSRC2:TGID_Z_EN: 0
; COMPUTE_PGM_RSRC2:TIDIG_COMP_CNT: 0
	.section	.text._ZN9rocsparseL21csrmvt_general_kernelILj256ELj32Eli21rocsparse_complex_numIfES2_S2_S2_EEvbbT2_NS_24const_host_device_scalarIT6_EEPKT1_S9_PKS3_PKT3_PKT4_PT5_21rocsparse_index_base_b,"axG",@progbits,_ZN9rocsparseL21csrmvt_general_kernelILj256ELj32Eli21rocsparse_complex_numIfES2_S2_S2_EEvbbT2_NS_24const_host_device_scalarIT6_EEPKT1_S9_PKS3_PKT3_PKT4_PT5_21rocsparse_index_base_b,comdat
	.globl	_ZN9rocsparseL21csrmvt_general_kernelILj256ELj32Eli21rocsparse_complex_numIfES2_S2_S2_EEvbbT2_NS_24const_host_device_scalarIT6_EEPKT1_S9_PKS3_PKT3_PKT4_PT5_21rocsparse_index_base_b ; -- Begin function _ZN9rocsparseL21csrmvt_general_kernelILj256ELj32Eli21rocsparse_complex_numIfES2_S2_S2_EEvbbT2_NS_24const_host_device_scalarIT6_EEPKT1_S9_PKS3_PKT3_PKT4_PT5_21rocsparse_index_base_b
	.p2align	8
	.type	_ZN9rocsparseL21csrmvt_general_kernelILj256ELj32Eli21rocsparse_complex_numIfES2_S2_S2_EEvbbT2_NS_24const_host_device_scalarIT6_EEPKT1_S9_PKS3_PKT3_PKT4_PT5_21rocsparse_index_base_b,@function
_ZN9rocsparseL21csrmvt_general_kernelILj256ELj32Eli21rocsparse_complex_numIfES2_S2_S2_EEvbbT2_NS_24const_host_device_scalarIT6_EEPKT1_S9_PKS3_PKT3_PKT4_PT5_21rocsparse_index_base_b: ; @_ZN9rocsparseL21csrmvt_general_kernelILj256ELj32Eli21rocsparse_complex_numIfES2_S2_S2_EEvbbT2_NS_24const_host_device_scalarIT6_EEPKT1_S9_PKS3_PKT3_PKT4_PT5_21rocsparse_index_base_b
; %bb.0:
	s_clause 0x1
	s_load_b64 s[16:17], s[0:1], 0x40
	s_load_b128 s[12:15], s[0:1], 0x8
	v_mov_b32_e32 v1, 0
	s_add_nc_u64 s[2:3], s[0:1], 8
	s_wait_kmcnt 0x0
	s_bitcmp1_b32 s17, 0
	s_cselect_b32 s3, s3, s13
	s_cselect_b32 s2, s2, s12
	flat_load_b64 v[2:3], v1, s[2:3]
	s_wait_loadcnt_dscnt 0x0
	v_cmp_neq_f32_e32 vcc_lo, 0, v2
	v_cmp_neq_f32_e64 s2, 0, v3
	s_or_b32 s2, vcc_lo, s2
	s_delay_alu instid0(SALU_CYCLE_1)
	s_and_saveexec_b32 s3, s2
	s_cbranch_execz .LBB86_18
; %bb.1:
	s_clause 0x3
	s_load_b32 s4, s[0:1], 0x0
	s_load_b64 s[2:3], s[0:1], 0x0
	s_load_b32 s17, s[0:1], 0x48
	s_load_b64 s[12:13], s[0:1], 0x38
	s_wait_kmcnt 0x0
	s_and_b32 s18, s4, 1
	s_bitcmp1_b32 s2, 8
	s_load_b256 s[4:11], s[0:1], 0x18
	s_cselect_b32 s2, -1, 0
	s_wait_xcnt 0x0
	s_bfe_u32 s0, ttmp6, 0x4000c
	s_and_b32 s1, ttmp6, 15
	s_add_co_i32 s0, s0, 1
	s_lshl_b32 s20, s17, 3
	s_mul_i32 s0, ttmp9, s0
	s_getreg_b32 s17, hwreg(HW_REG_IB_STS2, 6, 4)
	s_add_co_i32 s1, s1, s0
	s_cmp_eq_u32 s17, 0
	s_cselect_b32 s0, ttmp9, s1
	s_cmp_eq_u32 s18, 0
	v_lshl_or_b32 v1, s0, 8, v0
	s_mov_b32 s1, -1
	s_delay_alu instid0(VALU_DEP_1) | instskip(NEXT) | instid1(VALU_DEP_1)
	v_dual_lshrrev_b32 v4, 5, v1 :: v_dual_bitop2_b32 v0, 31, v0 bitop3:0x40
	v_cmp_gt_i32_e64 s0, s3, v4
	s_cbranch_scc0 .LBB86_9
; %bb.2:
	s_and_saveexec_b32 s1, s0
	s_cbranch_execz .LBB86_8
; %bb.3:
	v_dual_mov_b32 v1, 0 :: v_dual_mov_b32 v8, v4
	s_mov_b32 s17, 0
	s_wait_kmcnt 0x0
	s_add_nc_u64 s[18:19], s[8:9], 4
	s_mov_b32 s21, s17
	v_sub_nc_u64_e64 v[6:7], v[0:1], s[16:17]
	s_branch .LBB86_5
.LBB86_4:                               ;   in Loop: Header=BB86_5 Depth=1
	s_or_b32 exec_lo, exec_lo, s22
	v_add_nc_u32_e32 v8, s20, v8
	s_delay_alu instid0(VALU_DEP_1) | instskip(SKIP_1) | instid1(SALU_CYCLE_1)
	v_cmp_le_i32_e32 vcc_lo, s3, v8
	s_or_b32 s21, vcc_lo, s21
	s_and_not1_b32 exec_lo, exec_lo, s21
	s_cbranch_execz .LBB86_8
.LBB86_5:                               ; =>This Loop Header: Depth=1
                                        ;     Child Loop BB86_7 Depth 2
	s_clause 0x1
	global_load_b64 v[10:11], v8, s[4:5] scale_offset
	global_load_b64 v[12:13], v8, s[14:15] scale_offset
	s_mov_b32 s22, exec_lo
	s_wait_loadcnt 0x1
	v_sub_nc_u64_e64 v[10:11], v[10:11], s[16:17]
	s_wait_loadcnt 0x0
	v_add_nc_u64_e32 v[12:13], v[12:13], v[6:7]
	s_wait_xcnt 0x0
	s_delay_alu instid0(VALU_DEP_1)
	v_cmpx_lt_i64_e64 v[12:13], v[10:11]
	s_cbranch_execz .LBB86_4
; %bb.6:                                ;   in Loop: Header=BB86_5 Depth=1
	v_ashrrev_i32_e32 v9, 31, v8
	s_mov_b32 s23, 0
	s_delay_alu instid0(VALU_DEP_1)
	v_lshl_add_u64 v[14:15], v[8:9], 3, s[10:11]
	global_load_b64 v[16:17], v[14:15], off
	s_wait_xcnt 0x0
	v_lshl_add_u64 v[14:15], v[12:13], 2, s[6:7]
	s_wait_loadcnt 0x0
	v_dual_mul_f32 v1, v17, -v3 :: v_dual_mul_f32 v5, v2, v17
	s_delay_alu instid0(VALU_DEP_1) | instskip(NEXT) | instid1(VALU_DEP_2)
	v_fmac_f32_e32 v1, v2, v16
	v_fmac_f32_e32 v5, v3, v16
	v_lshl_add_u64 v[16:17], v[12:13], 3, s[18:19]
.LBB86_7:                               ;   Parent Loop BB86_5 Depth=1
                                        ; =>  This Inner Loop Header: Depth=2
	global_load_b32 v9, v[14:15], off
	global_load_b64 v[18:19], v[16:17], off offset:-4
	v_add_nc_u64_e32 v[12:13], 32, v[12:13]
	s_wait_xcnt 0x1
	v_add_nc_u64_e32 v[14:15], 0x80, v[14:15]
	s_wait_xcnt 0x0
	v_add_nc_u64_e32 v[16:17], 0x100, v[16:17]
	s_delay_alu instid0(VALU_DEP_3) | instskip(SKIP_4) | instid1(VALU_DEP_1)
	v_cmp_ge_i64_e32 vcc_lo, v[12:13], v[10:11]
	s_or_b32 s23, vcc_lo, s23
	s_wait_loadcnt 0x1
	v_subrev_nc_u32_e32 v20, s16, v9
	s_wait_loadcnt 0x0
	v_dual_cndmask_b32 v9, v19, -v19, s2 :: v_dual_ashrrev_i32 v21, 31, v20
	s_delay_alu instid0(VALU_DEP_1) | instskip(SKIP_1) | instid1(VALU_DEP_3)
	v_mul_f32_e64 v19, v9, -v5
	v_mul_f32_e32 v9, v1, v9
	v_lshl_add_u64 v[20:21], v[20:21], 3, s[12:13]
	s_delay_alu instid0(VALU_DEP_3) | instskip(NEXT) | instid1(VALU_DEP_3)
	v_fmac_f32_e32 v19, v1, v18
	v_fmac_f32_e32 v9, v5, v18
	global_atomic_add_f32 v[20:21], v19, off scope:SCOPE_DEV
	s_wait_xcnt 0x0
	global_atomic_add_f32 v[20:21], v9, off offset:4 scope:SCOPE_DEV
	s_wait_xcnt 0x0
	s_and_not1_b32 exec_lo, exec_lo, s23
	s_cbranch_execnz .LBB86_7
	s_branch .LBB86_4
.LBB86_8:
	s_or_b32 exec_lo, exec_lo, s1
	s_mov_b32 s1, 0
.LBB86_9:
	s_delay_alu instid0(SALU_CYCLE_1)
	s_and_not1_b32 vcc_lo, exec_lo, s1
	s_cbranch_vccnz .LBB86_18
; %bb.10:
	s_and_b32 exec_lo, exec_lo, s0
	s_cbranch_execz .LBB86_18
; %bb.11:
	v_mov_b32_e32 v1, 0
	s_mov_b32 s17, 0
	s_wait_kmcnt 0x0
	s_add_nc_u64 s[0:1], s[8:9], 4
	s_mov_b32 s8, s17
	v_sub_nc_u64_e64 v[0:1], v[0:1], s[16:17]
	s_branch .LBB86_13
.LBB86_12:                              ;   in Loop: Header=BB86_13 Depth=1
	s_or_b32 exec_lo, exec_lo, s9
	v_add_nc_u32_e32 v4, s20, v4
	s_delay_alu instid0(VALU_DEP_1) | instskip(SKIP_1) | instid1(SALU_CYCLE_1)
	v_cmp_le_i32_e32 vcc_lo, s3, v4
	s_or_b32 s8, vcc_lo, s8
	s_and_not1_b32 exec_lo, exec_lo, s8
	s_cbranch_execz .LBB86_18
.LBB86_13:                              ; =>This Loop Header: Depth=1
                                        ;     Child Loop BB86_16 Depth 2
	s_clause 0x1
	global_load_b64 v[6:7], v4, s[4:5] scale_offset
	global_load_b64 v[8:9], v4, s[14:15] scale_offset
	s_mov_b32 s9, exec_lo
	s_wait_loadcnt 0x1
	v_sub_nc_u64_e64 v[6:7], v[6:7], s[16:17]
	s_wait_loadcnt 0x0
	v_add_nc_u64_e32 v[8:9], v[8:9], v[0:1]
	s_wait_xcnt 0x0
	s_delay_alu instid0(VALU_DEP_1)
	v_cmpx_lt_i64_e64 v[8:9], v[6:7]
	s_cbranch_execz .LBB86_12
; %bb.14:                               ;   in Loop: Header=BB86_13 Depth=1
	v_ashrrev_i32_e32 v5, 31, v4
	s_mov_b32 s18, 0
	s_delay_alu instid0(VALU_DEP_1)
	v_lshl_add_u64 v[10:11], v[4:5], 3, s[10:11]
	global_load_b64 v[12:13], v[10:11], off
	s_wait_xcnt 0x0
	v_lshl_add_u64 v[10:11], v[8:9], 2, s[6:7]
	s_wait_loadcnt 0x0
	v_dual_mul_f32 v16, v2, v13 :: v_dual_mul_f32 v5, v13, -v3
	s_delay_alu instid0(VALU_DEP_1)
	v_dual_fmac_f32 v16, v3, v12 :: v_dual_fmac_f32 v5, v2, v12
	v_lshl_add_u64 v[12:13], v[8:9], 3, s[0:1]
	s_branch .LBB86_16
.LBB86_15:                              ;   in Loop: Header=BB86_16 Depth=2
	s_wait_xcnt 0x0
	s_or_b32 exec_lo, exec_lo, s19
	v_add_nc_u64_e32 v[8:9], 32, v[8:9]
	v_add_nc_u64_e32 v[10:11], 0x80, v[10:11]
	v_add_nc_u64_e32 v[12:13], 0x100, v[12:13]
	s_delay_alu instid0(VALU_DEP_3) | instskip(SKIP_1) | instid1(SALU_CYCLE_1)
	v_cmp_ge_i64_e32 vcc_lo, v[8:9], v[6:7]
	s_or_b32 s18, vcc_lo, s18
	s_and_not1_b32 exec_lo, exec_lo, s18
	s_cbranch_execz .LBB86_12
.LBB86_16:                              ;   Parent Loop BB86_13 Depth=1
                                        ; =>  This Inner Loop Header: Depth=2
	global_load_b32 v14, v[10:11], off
	s_mov_b32 s19, exec_lo
	s_wait_loadcnt 0x0
	v_subrev_nc_u32_e32 v14, s16, v14
	s_wait_xcnt 0x0
	s_delay_alu instid0(VALU_DEP_1)
	v_cmpx_ne_u32_e64 v14, v4
	s_cbranch_execz .LBB86_15
; %bb.17:                               ;   in Loop: Header=BB86_16 Depth=2
	global_load_b64 v[18:19], v[12:13], off offset:-4
	v_ashrrev_i32_e32 v15, 31, v14
	s_delay_alu instid0(VALU_DEP_1) | instskip(SKIP_2) | instid1(VALU_DEP_1)
	v_lshl_add_u64 v[14:15], v[14:15], 3, s[12:13]
	s_wait_loadcnt 0x0
	v_cndmask_b32_e64 v17, v19, -v19, s2
	v_mul_f32_e64 v19, v17, -v16
	v_mul_f32_e32 v17, v5, v17
	s_delay_alu instid0(VALU_DEP_1)
	v_dual_fmac_f32 v17, v16, v18 :: v_dual_fmac_f32 v19, v5, v18
	s_wait_xcnt 0x0
	global_atomic_add_f32 v[14:15], v19, off scope:SCOPE_DEV
	s_wait_xcnt 0x0
	global_atomic_add_f32 v[14:15], v17, off offset:4 scope:SCOPE_DEV
	s_branch .LBB86_15
.LBB86_18:
	s_endpgm
	.section	.rodata,"a",@progbits
	.p2align	6, 0x0
	.amdhsa_kernel _ZN9rocsparseL21csrmvt_general_kernelILj256ELj32Eli21rocsparse_complex_numIfES2_S2_S2_EEvbbT2_NS_24const_host_device_scalarIT6_EEPKT1_S9_PKS3_PKT3_PKT4_PT5_21rocsparse_index_base_b
		.amdhsa_group_segment_fixed_size 0
		.amdhsa_private_segment_fixed_size 0
		.amdhsa_kernarg_size 328
		.amdhsa_user_sgpr_count 2
		.amdhsa_user_sgpr_dispatch_ptr 0
		.amdhsa_user_sgpr_queue_ptr 0
		.amdhsa_user_sgpr_kernarg_segment_ptr 1
		.amdhsa_user_sgpr_dispatch_id 0
		.amdhsa_user_sgpr_kernarg_preload_length 0
		.amdhsa_user_sgpr_kernarg_preload_offset 0
		.amdhsa_user_sgpr_private_segment_size 0
		.amdhsa_wavefront_size32 1
		.amdhsa_uses_dynamic_stack 0
		.amdhsa_enable_private_segment 0
		.amdhsa_system_sgpr_workgroup_id_x 1
		.amdhsa_system_sgpr_workgroup_id_y 0
		.amdhsa_system_sgpr_workgroup_id_z 0
		.amdhsa_system_sgpr_workgroup_info 0
		.amdhsa_system_vgpr_workitem_id 0
		.amdhsa_next_free_vgpr 22
		.amdhsa_next_free_sgpr 24
		.amdhsa_named_barrier_count 0
		.amdhsa_reserve_vcc 1
		.amdhsa_float_round_mode_32 0
		.amdhsa_float_round_mode_16_64 0
		.amdhsa_float_denorm_mode_32 3
		.amdhsa_float_denorm_mode_16_64 3
		.amdhsa_fp16_overflow 0
		.amdhsa_memory_ordered 1
		.amdhsa_forward_progress 1
		.amdhsa_inst_pref_size 9
		.amdhsa_round_robin_scheduling 0
		.amdhsa_exception_fp_ieee_invalid_op 0
		.amdhsa_exception_fp_denorm_src 0
		.amdhsa_exception_fp_ieee_div_zero 0
		.amdhsa_exception_fp_ieee_overflow 0
		.amdhsa_exception_fp_ieee_underflow 0
		.amdhsa_exception_fp_ieee_inexact 0
		.amdhsa_exception_int_div_zero 0
	.end_amdhsa_kernel
	.section	.text._ZN9rocsparseL21csrmvt_general_kernelILj256ELj32Eli21rocsparse_complex_numIfES2_S2_S2_EEvbbT2_NS_24const_host_device_scalarIT6_EEPKT1_S9_PKS3_PKT3_PKT4_PT5_21rocsparse_index_base_b,"axG",@progbits,_ZN9rocsparseL21csrmvt_general_kernelILj256ELj32Eli21rocsparse_complex_numIfES2_S2_S2_EEvbbT2_NS_24const_host_device_scalarIT6_EEPKT1_S9_PKS3_PKT3_PKT4_PT5_21rocsparse_index_base_b,comdat
.Lfunc_end86:
	.size	_ZN9rocsparseL21csrmvt_general_kernelILj256ELj32Eli21rocsparse_complex_numIfES2_S2_S2_EEvbbT2_NS_24const_host_device_scalarIT6_EEPKT1_S9_PKS3_PKT3_PKT4_PT5_21rocsparse_index_base_b, .Lfunc_end86-_ZN9rocsparseL21csrmvt_general_kernelILj256ELj32Eli21rocsparse_complex_numIfES2_S2_S2_EEvbbT2_NS_24const_host_device_scalarIT6_EEPKT1_S9_PKS3_PKT3_PKT4_PT5_21rocsparse_index_base_b
                                        ; -- End function
	.set _ZN9rocsparseL21csrmvt_general_kernelILj256ELj32Eli21rocsparse_complex_numIfES2_S2_S2_EEvbbT2_NS_24const_host_device_scalarIT6_EEPKT1_S9_PKS3_PKT3_PKT4_PT5_21rocsparse_index_base_b.num_vgpr, 22
	.set _ZN9rocsparseL21csrmvt_general_kernelILj256ELj32Eli21rocsparse_complex_numIfES2_S2_S2_EEvbbT2_NS_24const_host_device_scalarIT6_EEPKT1_S9_PKS3_PKT3_PKT4_PT5_21rocsparse_index_base_b.num_agpr, 0
	.set _ZN9rocsparseL21csrmvt_general_kernelILj256ELj32Eli21rocsparse_complex_numIfES2_S2_S2_EEvbbT2_NS_24const_host_device_scalarIT6_EEPKT1_S9_PKS3_PKT3_PKT4_PT5_21rocsparse_index_base_b.numbered_sgpr, 24
	.set _ZN9rocsparseL21csrmvt_general_kernelILj256ELj32Eli21rocsparse_complex_numIfES2_S2_S2_EEvbbT2_NS_24const_host_device_scalarIT6_EEPKT1_S9_PKS3_PKT3_PKT4_PT5_21rocsparse_index_base_b.num_named_barrier, 0
	.set _ZN9rocsparseL21csrmvt_general_kernelILj256ELj32Eli21rocsparse_complex_numIfES2_S2_S2_EEvbbT2_NS_24const_host_device_scalarIT6_EEPKT1_S9_PKS3_PKT3_PKT4_PT5_21rocsparse_index_base_b.private_seg_size, 0
	.set _ZN9rocsparseL21csrmvt_general_kernelILj256ELj32Eli21rocsparse_complex_numIfES2_S2_S2_EEvbbT2_NS_24const_host_device_scalarIT6_EEPKT1_S9_PKS3_PKT3_PKT4_PT5_21rocsparse_index_base_b.uses_vcc, 1
	.set _ZN9rocsparseL21csrmvt_general_kernelILj256ELj32Eli21rocsparse_complex_numIfES2_S2_S2_EEvbbT2_NS_24const_host_device_scalarIT6_EEPKT1_S9_PKS3_PKT3_PKT4_PT5_21rocsparse_index_base_b.uses_flat_scratch, 0
	.set _ZN9rocsparseL21csrmvt_general_kernelILj256ELj32Eli21rocsparse_complex_numIfES2_S2_S2_EEvbbT2_NS_24const_host_device_scalarIT6_EEPKT1_S9_PKS3_PKT3_PKT4_PT5_21rocsparse_index_base_b.has_dyn_sized_stack, 0
	.set _ZN9rocsparseL21csrmvt_general_kernelILj256ELj32Eli21rocsparse_complex_numIfES2_S2_S2_EEvbbT2_NS_24const_host_device_scalarIT6_EEPKT1_S9_PKS3_PKT3_PKT4_PT5_21rocsparse_index_base_b.has_recursion, 0
	.set _ZN9rocsparseL21csrmvt_general_kernelILj256ELj32Eli21rocsparse_complex_numIfES2_S2_S2_EEvbbT2_NS_24const_host_device_scalarIT6_EEPKT1_S9_PKS3_PKT3_PKT4_PT5_21rocsparse_index_base_b.has_indirect_call, 0
	.section	.AMDGPU.csdata,"",@progbits
; Kernel info:
; codeLenInByte = 1072
; TotalNumSgprs: 26
; NumVgprs: 22
; ScratchSize: 0
; MemoryBound: 0
; FloatMode: 240
; IeeeMode: 1
; LDSByteSize: 0 bytes/workgroup (compile time only)
; SGPRBlocks: 0
; VGPRBlocks: 1
; NumSGPRsForWavesPerEU: 26
; NumVGPRsForWavesPerEU: 22
; NamedBarCnt: 0
; Occupancy: 16
; WaveLimiterHint : 1
; COMPUTE_PGM_RSRC2:SCRATCH_EN: 0
; COMPUTE_PGM_RSRC2:USER_SGPR: 2
; COMPUTE_PGM_RSRC2:TRAP_HANDLER: 0
; COMPUTE_PGM_RSRC2:TGID_X_EN: 1
; COMPUTE_PGM_RSRC2:TGID_Y_EN: 0
; COMPUTE_PGM_RSRC2:TGID_Z_EN: 0
; COMPUTE_PGM_RSRC2:TIDIG_COMP_CNT: 0
	.section	.text._ZN9rocsparseL21csrmvt_general_kernelILj256ELj64Eli21rocsparse_complex_numIfES2_S2_S2_EEvbbT2_NS_24const_host_device_scalarIT6_EEPKT1_S9_PKS3_PKT3_PKT4_PT5_21rocsparse_index_base_b,"axG",@progbits,_ZN9rocsparseL21csrmvt_general_kernelILj256ELj64Eli21rocsparse_complex_numIfES2_S2_S2_EEvbbT2_NS_24const_host_device_scalarIT6_EEPKT1_S9_PKS3_PKT3_PKT4_PT5_21rocsparse_index_base_b,comdat
	.globl	_ZN9rocsparseL21csrmvt_general_kernelILj256ELj64Eli21rocsparse_complex_numIfES2_S2_S2_EEvbbT2_NS_24const_host_device_scalarIT6_EEPKT1_S9_PKS3_PKT3_PKT4_PT5_21rocsparse_index_base_b ; -- Begin function _ZN9rocsparseL21csrmvt_general_kernelILj256ELj64Eli21rocsparse_complex_numIfES2_S2_S2_EEvbbT2_NS_24const_host_device_scalarIT6_EEPKT1_S9_PKS3_PKT3_PKT4_PT5_21rocsparse_index_base_b
	.p2align	8
	.type	_ZN9rocsparseL21csrmvt_general_kernelILj256ELj64Eli21rocsparse_complex_numIfES2_S2_S2_EEvbbT2_NS_24const_host_device_scalarIT6_EEPKT1_S9_PKS3_PKT3_PKT4_PT5_21rocsparse_index_base_b,@function
_ZN9rocsparseL21csrmvt_general_kernelILj256ELj64Eli21rocsparse_complex_numIfES2_S2_S2_EEvbbT2_NS_24const_host_device_scalarIT6_EEPKT1_S9_PKS3_PKT3_PKT4_PT5_21rocsparse_index_base_b: ; @_ZN9rocsparseL21csrmvt_general_kernelILj256ELj64Eli21rocsparse_complex_numIfES2_S2_S2_EEvbbT2_NS_24const_host_device_scalarIT6_EEPKT1_S9_PKS3_PKT3_PKT4_PT5_21rocsparse_index_base_b
; %bb.0:
	s_clause 0x1
	s_load_b64 s[16:17], s[0:1], 0x40
	s_load_b128 s[12:15], s[0:1], 0x8
	v_mov_b32_e32 v1, 0
	s_add_nc_u64 s[2:3], s[0:1], 8
	s_wait_kmcnt 0x0
	s_bitcmp1_b32 s17, 0
	s_cselect_b32 s3, s3, s13
	s_cselect_b32 s2, s2, s12
	flat_load_b64 v[2:3], v1, s[2:3]
	s_wait_loadcnt_dscnt 0x0
	v_cmp_neq_f32_e32 vcc_lo, 0, v2
	v_cmp_neq_f32_e64 s2, 0, v3
	s_or_b32 s2, vcc_lo, s2
	s_delay_alu instid0(SALU_CYCLE_1)
	s_and_saveexec_b32 s3, s2
	s_cbranch_execz .LBB87_18
; %bb.1:
	s_clause 0x3
	s_load_b32 s4, s[0:1], 0x0
	s_load_b64 s[2:3], s[0:1], 0x0
	s_load_b32 s17, s[0:1], 0x48
	s_load_b64 s[12:13], s[0:1], 0x38
	s_wait_kmcnt 0x0
	s_and_b32 s18, s4, 1
	s_bitcmp1_b32 s2, 8
	s_load_b256 s[4:11], s[0:1], 0x18
	s_cselect_b32 s2, -1, 0
	s_wait_xcnt 0x0
	s_bfe_u32 s0, ttmp6, 0x4000c
	s_and_b32 s1, ttmp6, 15
	s_add_co_i32 s0, s0, 1
	s_lshl_b32 s20, s17, 2
	s_mul_i32 s0, ttmp9, s0
	s_getreg_b32 s17, hwreg(HW_REG_IB_STS2, 6, 4)
	s_add_co_i32 s1, s1, s0
	s_cmp_eq_u32 s17, 0
	s_cselect_b32 s0, ttmp9, s1
	s_cmp_eq_u32 s18, 0
	v_lshl_or_b32 v1, s0, 8, v0
	s_mov_b32 s1, -1
	s_delay_alu instid0(VALU_DEP_1) | instskip(NEXT) | instid1(VALU_DEP_1)
	v_dual_lshrrev_b32 v4, 6, v1 :: v_dual_bitop2_b32 v0, 63, v0 bitop3:0x40
	v_cmp_gt_i32_e64 s0, s3, v4
	s_cbranch_scc0 .LBB87_9
; %bb.2:
	s_and_saveexec_b32 s1, s0
	s_cbranch_execz .LBB87_8
; %bb.3:
	v_dual_mov_b32 v1, 0 :: v_dual_mov_b32 v8, v4
	s_mov_b32 s17, 0
	s_wait_kmcnt 0x0
	s_add_nc_u64 s[18:19], s[8:9], 4
	s_mov_b32 s21, s17
	v_sub_nc_u64_e64 v[6:7], v[0:1], s[16:17]
	s_branch .LBB87_5
.LBB87_4:                               ;   in Loop: Header=BB87_5 Depth=1
	s_or_b32 exec_lo, exec_lo, s22
	v_add_nc_u32_e32 v8, s20, v8
	s_delay_alu instid0(VALU_DEP_1) | instskip(SKIP_1) | instid1(SALU_CYCLE_1)
	v_cmp_le_i32_e32 vcc_lo, s3, v8
	s_or_b32 s21, vcc_lo, s21
	s_and_not1_b32 exec_lo, exec_lo, s21
	s_cbranch_execz .LBB87_8
.LBB87_5:                               ; =>This Loop Header: Depth=1
                                        ;     Child Loop BB87_7 Depth 2
	s_clause 0x1
	global_load_b64 v[10:11], v8, s[4:5] scale_offset
	global_load_b64 v[12:13], v8, s[14:15] scale_offset
	s_mov_b32 s22, exec_lo
	s_wait_loadcnt 0x1
	v_sub_nc_u64_e64 v[10:11], v[10:11], s[16:17]
	s_wait_loadcnt 0x0
	v_add_nc_u64_e32 v[12:13], v[12:13], v[6:7]
	s_wait_xcnt 0x0
	s_delay_alu instid0(VALU_DEP_1)
	v_cmpx_lt_i64_e64 v[12:13], v[10:11]
	s_cbranch_execz .LBB87_4
; %bb.6:                                ;   in Loop: Header=BB87_5 Depth=1
	v_ashrrev_i32_e32 v9, 31, v8
	s_mov_b32 s23, 0
	s_delay_alu instid0(VALU_DEP_1)
	v_lshl_add_u64 v[14:15], v[8:9], 3, s[10:11]
	global_load_b64 v[16:17], v[14:15], off
	s_wait_xcnt 0x0
	v_lshl_add_u64 v[14:15], v[12:13], 2, s[6:7]
	s_wait_loadcnt 0x0
	v_dual_mul_f32 v1, v17, -v3 :: v_dual_mul_f32 v5, v2, v17
	s_delay_alu instid0(VALU_DEP_1) | instskip(NEXT) | instid1(VALU_DEP_2)
	v_fmac_f32_e32 v1, v2, v16
	v_fmac_f32_e32 v5, v3, v16
	v_lshl_add_u64 v[16:17], v[12:13], 3, s[18:19]
.LBB87_7:                               ;   Parent Loop BB87_5 Depth=1
                                        ; =>  This Inner Loop Header: Depth=2
	global_load_b32 v9, v[14:15], off
	global_load_b64 v[18:19], v[16:17], off offset:-4
	v_add_nc_u64_e32 v[12:13], 64, v[12:13]
	s_wait_xcnt 0x1
	v_add_nc_u64_e32 v[14:15], 0x100, v[14:15]
	s_wait_xcnt 0x0
	v_add_nc_u64_e32 v[16:17], 0x200, v[16:17]
	s_delay_alu instid0(VALU_DEP_3) | instskip(SKIP_4) | instid1(VALU_DEP_1)
	v_cmp_ge_i64_e32 vcc_lo, v[12:13], v[10:11]
	s_or_b32 s23, vcc_lo, s23
	s_wait_loadcnt 0x1
	v_subrev_nc_u32_e32 v20, s16, v9
	s_wait_loadcnt 0x0
	v_dual_cndmask_b32 v9, v19, -v19, s2 :: v_dual_ashrrev_i32 v21, 31, v20
	s_delay_alu instid0(VALU_DEP_1) | instskip(SKIP_1) | instid1(VALU_DEP_3)
	v_mul_f32_e64 v19, v9, -v5
	v_mul_f32_e32 v9, v1, v9
	v_lshl_add_u64 v[20:21], v[20:21], 3, s[12:13]
	s_delay_alu instid0(VALU_DEP_3) | instskip(NEXT) | instid1(VALU_DEP_3)
	v_fmac_f32_e32 v19, v1, v18
	v_fmac_f32_e32 v9, v5, v18
	global_atomic_add_f32 v[20:21], v19, off scope:SCOPE_DEV
	s_wait_xcnt 0x0
	global_atomic_add_f32 v[20:21], v9, off offset:4 scope:SCOPE_DEV
	s_wait_xcnt 0x0
	s_and_not1_b32 exec_lo, exec_lo, s23
	s_cbranch_execnz .LBB87_7
	s_branch .LBB87_4
.LBB87_8:
	s_or_b32 exec_lo, exec_lo, s1
	s_mov_b32 s1, 0
.LBB87_9:
	s_delay_alu instid0(SALU_CYCLE_1)
	s_and_not1_b32 vcc_lo, exec_lo, s1
	s_cbranch_vccnz .LBB87_18
; %bb.10:
	s_and_b32 exec_lo, exec_lo, s0
	s_cbranch_execz .LBB87_18
; %bb.11:
	v_mov_b32_e32 v1, 0
	s_mov_b32 s17, 0
	s_wait_kmcnt 0x0
	s_add_nc_u64 s[0:1], s[8:9], 4
	s_mov_b32 s8, s17
	v_sub_nc_u64_e64 v[0:1], v[0:1], s[16:17]
	s_branch .LBB87_13
.LBB87_12:                              ;   in Loop: Header=BB87_13 Depth=1
	s_or_b32 exec_lo, exec_lo, s9
	v_add_nc_u32_e32 v4, s20, v4
	s_delay_alu instid0(VALU_DEP_1) | instskip(SKIP_1) | instid1(SALU_CYCLE_1)
	v_cmp_le_i32_e32 vcc_lo, s3, v4
	s_or_b32 s8, vcc_lo, s8
	s_and_not1_b32 exec_lo, exec_lo, s8
	s_cbranch_execz .LBB87_18
.LBB87_13:                              ; =>This Loop Header: Depth=1
                                        ;     Child Loop BB87_16 Depth 2
	s_clause 0x1
	global_load_b64 v[6:7], v4, s[4:5] scale_offset
	global_load_b64 v[8:9], v4, s[14:15] scale_offset
	s_mov_b32 s9, exec_lo
	s_wait_loadcnt 0x1
	v_sub_nc_u64_e64 v[6:7], v[6:7], s[16:17]
	s_wait_loadcnt 0x0
	v_add_nc_u64_e32 v[8:9], v[8:9], v[0:1]
	s_wait_xcnt 0x0
	s_delay_alu instid0(VALU_DEP_1)
	v_cmpx_lt_i64_e64 v[8:9], v[6:7]
	s_cbranch_execz .LBB87_12
; %bb.14:                               ;   in Loop: Header=BB87_13 Depth=1
	v_ashrrev_i32_e32 v5, 31, v4
	s_mov_b32 s18, 0
	s_delay_alu instid0(VALU_DEP_1)
	v_lshl_add_u64 v[10:11], v[4:5], 3, s[10:11]
	global_load_b64 v[12:13], v[10:11], off
	s_wait_xcnt 0x0
	v_lshl_add_u64 v[10:11], v[8:9], 2, s[6:7]
	s_wait_loadcnt 0x0
	v_dual_mul_f32 v16, v2, v13 :: v_dual_mul_f32 v5, v13, -v3
	s_delay_alu instid0(VALU_DEP_1)
	v_dual_fmac_f32 v16, v3, v12 :: v_dual_fmac_f32 v5, v2, v12
	v_lshl_add_u64 v[12:13], v[8:9], 3, s[0:1]
	s_branch .LBB87_16
.LBB87_15:                              ;   in Loop: Header=BB87_16 Depth=2
	s_wait_xcnt 0x0
	s_or_b32 exec_lo, exec_lo, s19
	v_add_nc_u64_e32 v[8:9], 64, v[8:9]
	v_add_nc_u64_e32 v[10:11], 0x100, v[10:11]
	;; [unrolled: 1-line block ×3, first 2 shown]
	s_delay_alu instid0(VALU_DEP_3) | instskip(SKIP_1) | instid1(SALU_CYCLE_1)
	v_cmp_ge_i64_e32 vcc_lo, v[8:9], v[6:7]
	s_or_b32 s18, vcc_lo, s18
	s_and_not1_b32 exec_lo, exec_lo, s18
	s_cbranch_execz .LBB87_12
.LBB87_16:                              ;   Parent Loop BB87_13 Depth=1
                                        ; =>  This Inner Loop Header: Depth=2
	global_load_b32 v14, v[10:11], off
	s_mov_b32 s19, exec_lo
	s_wait_loadcnt 0x0
	v_subrev_nc_u32_e32 v14, s16, v14
	s_wait_xcnt 0x0
	s_delay_alu instid0(VALU_DEP_1)
	v_cmpx_ne_u32_e64 v14, v4
	s_cbranch_execz .LBB87_15
; %bb.17:                               ;   in Loop: Header=BB87_16 Depth=2
	global_load_b64 v[18:19], v[12:13], off offset:-4
	v_ashrrev_i32_e32 v15, 31, v14
	s_delay_alu instid0(VALU_DEP_1) | instskip(SKIP_2) | instid1(VALU_DEP_1)
	v_lshl_add_u64 v[14:15], v[14:15], 3, s[12:13]
	s_wait_loadcnt 0x0
	v_cndmask_b32_e64 v17, v19, -v19, s2
	v_mul_f32_e64 v19, v17, -v16
	v_mul_f32_e32 v17, v5, v17
	s_delay_alu instid0(VALU_DEP_1)
	v_dual_fmac_f32 v17, v16, v18 :: v_dual_fmac_f32 v19, v5, v18
	s_wait_xcnt 0x0
	global_atomic_add_f32 v[14:15], v19, off scope:SCOPE_DEV
	s_wait_xcnt 0x0
	global_atomic_add_f32 v[14:15], v17, off offset:4 scope:SCOPE_DEV
	s_branch .LBB87_15
.LBB87_18:
	s_endpgm
	.section	.rodata,"a",@progbits
	.p2align	6, 0x0
	.amdhsa_kernel _ZN9rocsparseL21csrmvt_general_kernelILj256ELj64Eli21rocsparse_complex_numIfES2_S2_S2_EEvbbT2_NS_24const_host_device_scalarIT6_EEPKT1_S9_PKS3_PKT3_PKT4_PT5_21rocsparse_index_base_b
		.amdhsa_group_segment_fixed_size 0
		.amdhsa_private_segment_fixed_size 0
		.amdhsa_kernarg_size 328
		.amdhsa_user_sgpr_count 2
		.amdhsa_user_sgpr_dispatch_ptr 0
		.amdhsa_user_sgpr_queue_ptr 0
		.amdhsa_user_sgpr_kernarg_segment_ptr 1
		.amdhsa_user_sgpr_dispatch_id 0
		.amdhsa_user_sgpr_kernarg_preload_length 0
		.amdhsa_user_sgpr_kernarg_preload_offset 0
		.amdhsa_user_sgpr_private_segment_size 0
		.amdhsa_wavefront_size32 1
		.amdhsa_uses_dynamic_stack 0
		.amdhsa_enable_private_segment 0
		.amdhsa_system_sgpr_workgroup_id_x 1
		.amdhsa_system_sgpr_workgroup_id_y 0
		.amdhsa_system_sgpr_workgroup_id_z 0
		.amdhsa_system_sgpr_workgroup_info 0
		.amdhsa_system_vgpr_workitem_id 0
		.amdhsa_next_free_vgpr 22
		.amdhsa_next_free_sgpr 24
		.amdhsa_named_barrier_count 0
		.amdhsa_reserve_vcc 1
		.amdhsa_float_round_mode_32 0
		.amdhsa_float_round_mode_16_64 0
		.amdhsa_float_denorm_mode_32 3
		.amdhsa_float_denorm_mode_16_64 3
		.amdhsa_fp16_overflow 0
		.amdhsa_memory_ordered 1
		.amdhsa_forward_progress 1
		.amdhsa_inst_pref_size 9
		.amdhsa_round_robin_scheduling 0
		.amdhsa_exception_fp_ieee_invalid_op 0
		.amdhsa_exception_fp_denorm_src 0
		.amdhsa_exception_fp_ieee_div_zero 0
		.amdhsa_exception_fp_ieee_overflow 0
		.amdhsa_exception_fp_ieee_underflow 0
		.amdhsa_exception_fp_ieee_inexact 0
		.amdhsa_exception_int_div_zero 0
	.end_amdhsa_kernel
	.section	.text._ZN9rocsparseL21csrmvt_general_kernelILj256ELj64Eli21rocsparse_complex_numIfES2_S2_S2_EEvbbT2_NS_24const_host_device_scalarIT6_EEPKT1_S9_PKS3_PKT3_PKT4_PT5_21rocsparse_index_base_b,"axG",@progbits,_ZN9rocsparseL21csrmvt_general_kernelILj256ELj64Eli21rocsparse_complex_numIfES2_S2_S2_EEvbbT2_NS_24const_host_device_scalarIT6_EEPKT1_S9_PKS3_PKT3_PKT4_PT5_21rocsparse_index_base_b,comdat
.Lfunc_end87:
	.size	_ZN9rocsparseL21csrmvt_general_kernelILj256ELj64Eli21rocsparse_complex_numIfES2_S2_S2_EEvbbT2_NS_24const_host_device_scalarIT6_EEPKT1_S9_PKS3_PKT3_PKT4_PT5_21rocsparse_index_base_b, .Lfunc_end87-_ZN9rocsparseL21csrmvt_general_kernelILj256ELj64Eli21rocsparse_complex_numIfES2_S2_S2_EEvbbT2_NS_24const_host_device_scalarIT6_EEPKT1_S9_PKS3_PKT3_PKT4_PT5_21rocsparse_index_base_b
                                        ; -- End function
	.set _ZN9rocsparseL21csrmvt_general_kernelILj256ELj64Eli21rocsparse_complex_numIfES2_S2_S2_EEvbbT2_NS_24const_host_device_scalarIT6_EEPKT1_S9_PKS3_PKT3_PKT4_PT5_21rocsparse_index_base_b.num_vgpr, 22
	.set _ZN9rocsparseL21csrmvt_general_kernelILj256ELj64Eli21rocsparse_complex_numIfES2_S2_S2_EEvbbT2_NS_24const_host_device_scalarIT6_EEPKT1_S9_PKS3_PKT3_PKT4_PT5_21rocsparse_index_base_b.num_agpr, 0
	.set _ZN9rocsparseL21csrmvt_general_kernelILj256ELj64Eli21rocsparse_complex_numIfES2_S2_S2_EEvbbT2_NS_24const_host_device_scalarIT6_EEPKT1_S9_PKS3_PKT3_PKT4_PT5_21rocsparse_index_base_b.numbered_sgpr, 24
	.set _ZN9rocsparseL21csrmvt_general_kernelILj256ELj64Eli21rocsparse_complex_numIfES2_S2_S2_EEvbbT2_NS_24const_host_device_scalarIT6_EEPKT1_S9_PKS3_PKT3_PKT4_PT5_21rocsparse_index_base_b.num_named_barrier, 0
	.set _ZN9rocsparseL21csrmvt_general_kernelILj256ELj64Eli21rocsparse_complex_numIfES2_S2_S2_EEvbbT2_NS_24const_host_device_scalarIT6_EEPKT1_S9_PKS3_PKT3_PKT4_PT5_21rocsparse_index_base_b.private_seg_size, 0
	.set _ZN9rocsparseL21csrmvt_general_kernelILj256ELj64Eli21rocsparse_complex_numIfES2_S2_S2_EEvbbT2_NS_24const_host_device_scalarIT6_EEPKT1_S9_PKS3_PKT3_PKT4_PT5_21rocsparse_index_base_b.uses_vcc, 1
	.set _ZN9rocsparseL21csrmvt_general_kernelILj256ELj64Eli21rocsparse_complex_numIfES2_S2_S2_EEvbbT2_NS_24const_host_device_scalarIT6_EEPKT1_S9_PKS3_PKT3_PKT4_PT5_21rocsparse_index_base_b.uses_flat_scratch, 0
	.set _ZN9rocsparseL21csrmvt_general_kernelILj256ELj64Eli21rocsparse_complex_numIfES2_S2_S2_EEvbbT2_NS_24const_host_device_scalarIT6_EEPKT1_S9_PKS3_PKT3_PKT4_PT5_21rocsparse_index_base_b.has_dyn_sized_stack, 0
	.set _ZN9rocsparseL21csrmvt_general_kernelILj256ELj64Eli21rocsparse_complex_numIfES2_S2_S2_EEvbbT2_NS_24const_host_device_scalarIT6_EEPKT1_S9_PKS3_PKT3_PKT4_PT5_21rocsparse_index_base_b.has_recursion, 0
	.set _ZN9rocsparseL21csrmvt_general_kernelILj256ELj64Eli21rocsparse_complex_numIfES2_S2_S2_EEvbbT2_NS_24const_host_device_scalarIT6_EEPKT1_S9_PKS3_PKT3_PKT4_PT5_21rocsparse_index_base_b.has_indirect_call, 0
	.section	.AMDGPU.csdata,"",@progbits
; Kernel info:
; codeLenInByte = 1072
; TotalNumSgprs: 26
; NumVgprs: 22
; ScratchSize: 0
; MemoryBound: 0
; FloatMode: 240
; IeeeMode: 1
; LDSByteSize: 0 bytes/workgroup (compile time only)
; SGPRBlocks: 0
; VGPRBlocks: 1
; NumSGPRsForWavesPerEU: 26
; NumVGPRsForWavesPerEU: 22
; NamedBarCnt: 0
; Occupancy: 16
; WaveLimiterHint : 1
; COMPUTE_PGM_RSRC2:SCRATCH_EN: 0
; COMPUTE_PGM_RSRC2:USER_SGPR: 2
; COMPUTE_PGM_RSRC2:TRAP_HANDLER: 0
; COMPUTE_PGM_RSRC2:TGID_X_EN: 1
; COMPUTE_PGM_RSRC2:TGID_Y_EN: 0
; COMPUTE_PGM_RSRC2:TGID_Z_EN: 0
; COMPUTE_PGM_RSRC2:TIDIG_COMP_CNT: 0
	.section	.text._ZN9rocsparseL21csrmvn_general_kernelILj256ELj2Ell21rocsparse_complex_numIfES2_S2_S2_EEvbT2_NS_24const_host_device_scalarIT6_EEPKT1_S9_PKS3_PKT3_PKT4_S6_PT5_21rocsparse_index_base_b,"axG",@progbits,_ZN9rocsparseL21csrmvn_general_kernelILj256ELj2Ell21rocsparse_complex_numIfES2_S2_S2_EEvbT2_NS_24const_host_device_scalarIT6_EEPKT1_S9_PKS3_PKT3_PKT4_S6_PT5_21rocsparse_index_base_b,comdat
	.globl	_ZN9rocsparseL21csrmvn_general_kernelILj256ELj2Ell21rocsparse_complex_numIfES2_S2_S2_EEvbT2_NS_24const_host_device_scalarIT6_EEPKT1_S9_PKS3_PKT3_PKT4_S6_PT5_21rocsparse_index_base_b ; -- Begin function _ZN9rocsparseL21csrmvn_general_kernelILj256ELj2Ell21rocsparse_complex_numIfES2_S2_S2_EEvbT2_NS_24const_host_device_scalarIT6_EEPKT1_S9_PKS3_PKT3_PKT4_S6_PT5_21rocsparse_index_base_b
	.p2align	8
	.type	_ZN9rocsparseL21csrmvn_general_kernelILj256ELj2Ell21rocsparse_complex_numIfES2_S2_S2_EEvbT2_NS_24const_host_device_scalarIT6_EEPKT1_S9_PKS3_PKT3_PKT4_S6_PT5_21rocsparse_index_base_b,@function
_ZN9rocsparseL21csrmvn_general_kernelILj256ELj2Ell21rocsparse_complex_numIfES2_S2_S2_EEvbT2_NS_24const_host_device_scalarIT6_EEPKT1_S9_PKS3_PKT3_PKT4_S6_PT5_21rocsparse_index_base_b: ; @_ZN9rocsparseL21csrmvn_general_kernelILj256ELj2Ell21rocsparse_complex_numIfES2_S2_S2_EEvbT2_NS_24const_host_device_scalarIT6_EEPKT1_S9_PKS3_PKT3_PKT4_S6_PT5_21rocsparse_index_base_b
; %bb.0:
	s_clause 0x2
	s_load_b64 s[16:17], s[0:1], 0x50
	s_load_b256 s[8:15], s[0:1], 0x8
	s_load_b64 s[2:3], s[0:1], 0x40
	v_mov_b32_e32 v3, 0
	s_add_nc_u64 s[4:5], s[0:1], 16
	s_add_nc_u64 s[6:7], s[0:1], 64
	s_wait_kmcnt 0x0
	s_bitcmp1_b32 s17, 0
	s_cselect_b32 s5, s5, s11
	s_cselect_b32 s4, s4, s10
	;; [unrolled: 1-line block ×4, first 2 shown]
	s_clause 0x1
	flat_load_b64 v[4:5], v3, s[4:5]
	flat_load_b64 v[6:7], v3, s[2:3]
	s_wait_loadcnt_dscnt 0x101
	v_cmp_neq_f32_e32 vcc_lo, 0, v4
	s_wait_xcnt 0x0
	v_cmp_neq_f32_e64 s2, 0, v5
	s_wait_loadcnt_dscnt 0x0
	v_cmp_neq_f32_e64 s3, 1.0, v6
	v_cmp_neq_f32_e64 s4, 0, v7
	s_or_b32 s2, vcc_lo, s2
	s_or_b32 s3, s3, s4
	s_delay_alu instid0(SALU_CYCLE_1) | instskip(NEXT) | instid1(SALU_CYCLE_1)
	s_or_b32 s2, s2, s3
	s_and_saveexec_b32 s3, s2
	s_cbranch_execz .LBB88_12
; %bb.1:
	s_bfe_u32 s2, ttmp6, 0x4000c
	s_and_b32 s3, ttmp6, 15
	s_add_co_i32 s2, s2, 1
	s_getreg_b32 s4, hwreg(HW_REG_IB_STS2, 6, 4)
	s_mul_i32 s2, ttmp9, s2
	s_delay_alu instid0(SALU_CYCLE_1) | instskip(SKIP_2) | instid1(SALU_CYCLE_1)
	s_add_co_i32 s3, s3, s2
	s_cmp_eq_u32 s4, 0
	s_cselect_b32 s2, ttmp9, s3
	v_lshl_or_b32 v1, s2, 8, v0
	s_delay_alu instid0(VALU_DEP_1) | instskip(NEXT) | instid1(VALU_DEP_1)
	v_lshrrev_b32_e32 v2, 1, v1
	v_cmp_gt_i64_e32 vcc_lo, s[8:9], v[2:3]
	s_and_b32 exec_lo, exec_lo, vcc_lo
	s_cbranch_execz .LBB88_12
; %bb.2:
	s_clause 0x4
	s_load_b32 s10, s[0:1], 0x58
	s_load_b32 s20, s[0:1], 0x0
	s_load_b128 s[4:7], s[0:1], 0x28
	s_load_b64 s[2:3], s[0:1], 0x48
	s_load_b64 s[18:19], s[0:1], 0x38
	v_mbcnt_lo_u32_b32 v1, -1, 0
	v_dual_mov_b32 v13, 0 :: v_dual_bitop2_b32 v12, 1, v0 bitop3:0x40
	s_mov_b32 s11, 0
	s_delay_alu instid0(VALU_DEP_2)
	v_dual_mov_b32 v9, v6 :: v_dual_bitop2_b32 v14, 1, v1 bitop3:0x14
	s_mov_b32 s17, s11
	s_wait_xcnt 0x0
	v_cmp_neq_f32_e64 s0, 0, v6
	v_cmp_neq_f32_e64 s1, 0, v7
	v_sub_nc_u64_e64 v[10:11], v[12:13], s[16:17]
	v_cmp_gt_i32_e32 vcc_lo, 32, v14
	s_mov_b32 s22, s16
	v_xor_b32_e32 v0, 0x80000000, v5
	v_xor_b32_e32 v8, 0x80000000, v7
	s_mov_b32 s21, s11
	v_cndmask_b32_e32 v1, v1, v14, vcc_lo
	s_wait_kmcnt 0x0
	s_lshl_b32 s10, s10, 7
	s_bitcmp1_b32 s20, 0
	s_add_nc_u64 s[6:7], s[6:7], 4
	s_cselect_b32 s20, -1, 0
	s_ashr_i32 s23, s16, 31
	v_dual_mov_b32 v1, v4 :: v_dual_lshlrev_b32 v22, 2, v1
	s_lshl_b64 s[22:23], s[22:23], 3
	s_or_b32 s1, s0, s1
	s_sub_nc_u64 s[18:19], s[18:19], s[22:23]
	v_cmp_eq_u32_e32 vcc_lo, 1, v12
	s_branch .LBB88_5
.LBB88_3:                               ;   in Loop: Header=BB88_5 Depth=1
	s_wait_xcnt 0x0
	s_or_b32 exec_lo, exec_lo, s22
	global_store_b64 v[12:13], v[14:15], off
.LBB88_4:                               ;   in Loop: Header=BB88_5 Depth=1
	s_wait_xcnt 0x0
	s_or_b32 exec_lo, exec_lo, s0
	v_add_nc_u64_e32 v[2:3], s[10:11], v[2:3]
	s_delay_alu instid0(VALU_DEP_1) | instskip(SKIP_1) | instid1(SALU_CYCLE_1)
	v_cmp_le_i64_e64 s0, s[8:9], v[2:3]
	s_or_b32 s21, s0, s21
	s_and_not1_b32 exec_lo, exec_lo, s21
	s_cbranch_execz .LBB88_12
.LBB88_5:                               ; =>This Loop Header: Depth=1
                                        ;     Child Loop BB88_7 Depth 2
	v_lshlrev_b64_e32 v[12:13], 3, v[2:3]
	s_mov_b32 s22, exec_lo
	s_wait_dscnt 0x0
	s_delay_alu instid0(VALU_DEP_1)
	v_add_nc_u64_e32 v[14:15], s[14:15], v[12:13]
	v_add_nc_u64_e32 v[12:13], s[12:13], v[12:13]
	global_load_b64 v[16:17], v[14:15], off
	global_load_b64 v[18:19], v[12:13], off
	s_wait_xcnt 0x0
	v_dual_mov_b32 v13, 0 :: v_dual_mov_b32 v12, 0
	s_wait_loadcnt 0x1
	v_sub_nc_u64_e64 v[14:15], v[16:17], s[16:17]
	s_wait_loadcnt 0x0
	v_add_nc_u64_e32 v[16:17], v[18:19], v[10:11]
	s_delay_alu instid0(VALU_DEP_1)
	v_cmpx_lt_i64_e64 v[16:17], v[14:15]
	s_cbranch_execz .LBB88_9
; %bb.6:                                ;   in Loop: Header=BB88_5 Depth=1
	v_lshlrev_b64_e32 v[20:21], 3, v[16:17]
	v_mov_b32_e32 v12, 0
	s_mov_b32 s23, 0
	s_delay_alu instid0(VALU_DEP_1) | instskip(NEXT) | instid1(VALU_DEP_3)
	v_mov_b32_e32 v13, v12
	v_add_nc_u64_e32 v[18:19], s[6:7], v[20:21]
	v_add_nc_u64_e32 v[20:21], s[4:5], v[20:21]
.LBB88_7:                               ;   Parent Loop BB88_5 Depth=1
                                        ; =>  This Inner Loop Header: Depth=2
	global_load_b64 v[24:25], v[20:21], off
	global_load_b64 v[26:27], v[18:19], off offset:-4
	v_add_nc_u64_e32 v[16:17], 2, v[16:17]
	s_wait_xcnt 0x0
	v_add_nc_u64_e32 v[18:19], 16, v[18:19]
	v_add_nc_u64_e32 v[20:21], 16, v[20:21]
	s_delay_alu instid0(VALU_DEP_3)
	v_cmp_ge_i64_e64 s0, v[16:17], v[14:15]
	s_or_b32 s23, s0, s23
	s_wait_loadcnt 0x1
	v_lshl_add_u64 v[24:25], v[24:25], 3, s[18:19]
	s_wait_loadcnt 0x0
	v_cndmask_b32_e64 v28, v27, -v27, s20
	global_load_b64 v[24:25], v[24:25], off
	v_pk_mul_f32 v[28:29], v[28:29], v[0:1] op_sel_hi:[0,1]
	s_delay_alu instid0(VALU_DEP_1) | instskip(SKIP_1) | instid1(VALU_DEP_1)
	v_pk_fma_f32 v[26:27], v[4:5], v[26:27], v[28:29] op_sel_hi:[1,0,1]
	s_wait_loadcnt 0x0
	v_pk_fma_f32 v[12:13], v[26:27], v[24:25], v[12:13] op_sel_hi:[1,0,1]
	s_delay_alu instid0(VALU_DEP_1)
	v_pk_fma_f32 v[12:13], v[26:27], v[24:25], v[12:13] op_sel:[1,1,0] op_sel_hi:[0,1,1] neg_lo:[1,0,0]
	s_wait_xcnt 0x0
	s_and_not1_b32 exec_lo, exec_lo, s23
	s_cbranch_execnz .LBB88_7
; %bb.8:                                ;   in Loop: Header=BB88_5 Depth=1
	s_or_b32 exec_lo, exec_lo, s23
.LBB88_9:                               ;   in Loop: Header=BB88_5 Depth=1
	s_delay_alu instid0(SALU_CYCLE_1)
	s_or_b32 exec_lo, exec_lo, s22
	ds_bpermute_b32 v14, v22, v12
	ds_bpermute_b32 v15, v22, v13
	s_and_saveexec_b32 s0, vcc_lo
	s_cbranch_execz .LBB88_4
; %bb.10:                               ;   in Loop: Header=BB88_5 Depth=1
	s_wait_dscnt 0x0
	v_pk_add_f32 v[14:15], v[12:13], v[14:15]
	v_lshl_add_u64 v[12:13], v[2:3], 3, s[2:3]
	s_and_saveexec_b32 s22, s1
	s_cbranch_execz .LBB88_3
; %bb.11:                               ;   in Loop: Header=BB88_5 Depth=1
	global_load_b64 v[16:17], v[12:13], off
	s_wait_loadcnt 0x0
	v_pk_fma_f32 v[14:15], v[6:7], v[16:17], v[14:15] op_sel_hi:[1,0,1]
	s_delay_alu instid0(VALU_DEP_1)
	v_pk_fma_f32 v[14:15], v[8:9], v[16:17], v[14:15] op_sel:[0,1,0]
	s_branch .LBB88_3
.LBB88_12:
	s_endpgm
	.section	.rodata,"a",@progbits
	.p2align	6, 0x0
	.amdhsa_kernel _ZN9rocsparseL21csrmvn_general_kernelILj256ELj2Ell21rocsparse_complex_numIfES2_S2_S2_EEvbT2_NS_24const_host_device_scalarIT6_EEPKT1_S9_PKS3_PKT3_PKT4_S6_PT5_21rocsparse_index_base_b
		.amdhsa_group_segment_fixed_size 0
		.amdhsa_private_segment_fixed_size 0
		.amdhsa_kernarg_size 344
		.amdhsa_user_sgpr_count 2
		.amdhsa_user_sgpr_dispatch_ptr 0
		.amdhsa_user_sgpr_queue_ptr 0
		.amdhsa_user_sgpr_kernarg_segment_ptr 1
		.amdhsa_user_sgpr_dispatch_id 0
		.amdhsa_user_sgpr_kernarg_preload_length 0
		.amdhsa_user_sgpr_kernarg_preload_offset 0
		.amdhsa_user_sgpr_private_segment_size 0
		.amdhsa_wavefront_size32 1
		.amdhsa_uses_dynamic_stack 0
		.amdhsa_enable_private_segment 0
		.amdhsa_system_sgpr_workgroup_id_x 1
		.amdhsa_system_sgpr_workgroup_id_y 0
		.amdhsa_system_sgpr_workgroup_id_z 0
		.amdhsa_system_sgpr_workgroup_info 0
		.amdhsa_system_vgpr_workitem_id 0
		.amdhsa_next_free_vgpr 30
		.amdhsa_next_free_sgpr 24
		.amdhsa_named_barrier_count 0
		.amdhsa_reserve_vcc 1
		.amdhsa_float_round_mode_32 0
		.amdhsa_float_round_mode_16_64 0
		.amdhsa_float_denorm_mode_32 3
		.amdhsa_float_denorm_mode_16_64 3
		.amdhsa_fp16_overflow 0
		.amdhsa_memory_ordered 1
		.amdhsa_forward_progress 1
		.amdhsa_inst_pref_size 7
		.amdhsa_round_robin_scheduling 0
		.amdhsa_exception_fp_ieee_invalid_op 0
		.amdhsa_exception_fp_denorm_src 0
		.amdhsa_exception_fp_ieee_div_zero 0
		.amdhsa_exception_fp_ieee_overflow 0
		.amdhsa_exception_fp_ieee_underflow 0
		.amdhsa_exception_fp_ieee_inexact 0
		.amdhsa_exception_int_div_zero 0
	.end_amdhsa_kernel
	.section	.text._ZN9rocsparseL21csrmvn_general_kernelILj256ELj2Ell21rocsparse_complex_numIfES2_S2_S2_EEvbT2_NS_24const_host_device_scalarIT6_EEPKT1_S9_PKS3_PKT3_PKT4_S6_PT5_21rocsparse_index_base_b,"axG",@progbits,_ZN9rocsparseL21csrmvn_general_kernelILj256ELj2Ell21rocsparse_complex_numIfES2_S2_S2_EEvbT2_NS_24const_host_device_scalarIT6_EEPKT1_S9_PKS3_PKT3_PKT4_S6_PT5_21rocsparse_index_base_b,comdat
.Lfunc_end88:
	.size	_ZN9rocsparseL21csrmvn_general_kernelILj256ELj2Ell21rocsparse_complex_numIfES2_S2_S2_EEvbT2_NS_24const_host_device_scalarIT6_EEPKT1_S9_PKS3_PKT3_PKT4_S6_PT5_21rocsparse_index_base_b, .Lfunc_end88-_ZN9rocsparseL21csrmvn_general_kernelILj256ELj2Ell21rocsparse_complex_numIfES2_S2_S2_EEvbT2_NS_24const_host_device_scalarIT6_EEPKT1_S9_PKS3_PKT3_PKT4_S6_PT5_21rocsparse_index_base_b
                                        ; -- End function
	.set _ZN9rocsparseL21csrmvn_general_kernelILj256ELj2Ell21rocsparse_complex_numIfES2_S2_S2_EEvbT2_NS_24const_host_device_scalarIT6_EEPKT1_S9_PKS3_PKT3_PKT4_S6_PT5_21rocsparse_index_base_b.num_vgpr, 30
	.set _ZN9rocsparseL21csrmvn_general_kernelILj256ELj2Ell21rocsparse_complex_numIfES2_S2_S2_EEvbT2_NS_24const_host_device_scalarIT6_EEPKT1_S9_PKS3_PKT3_PKT4_S6_PT5_21rocsparse_index_base_b.num_agpr, 0
	.set _ZN9rocsparseL21csrmvn_general_kernelILj256ELj2Ell21rocsparse_complex_numIfES2_S2_S2_EEvbT2_NS_24const_host_device_scalarIT6_EEPKT1_S9_PKS3_PKT3_PKT4_S6_PT5_21rocsparse_index_base_b.numbered_sgpr, 24
	.set _ZN9rocsparseL21csrmvn_general_kernelILj256ELj2Ell21rocsparse_complex_numIfES2_S2_S2_EEvbT2_NS_24const_host_device_scalarIT6_EEPKT1_S9_PKS3_PKT3_PKT4_S6_PT5_21rocsparse_index_base_b.num_named_barrier, 0
	.set _ZN9rocsparseL21csrmvn_general_kernelILj256ELj2Ell21rocsparse_complex_numIfES2_S2_S2_EEvbT2_NS_24const_host_device_scalarIT6_EEPKT1_S9_PKS3_PKT3_PKT4_S6_PT5_21rocsparse_index_base_b.private_seg_size, 0
	.set _ZN9rocsparseL21csrmvn_general_kernelILj256ELj2Ell21rocsparse_complex_numIfES2_S2_S2_EEvbT2_NS_24const_host_device_scalarIT6_EEPKT1_S9_PKS3_PKT3_PKT4_S6_PT5_21rocsparse_index_base_b.uses_vcc, 1
	.set _ZN9rocsparseL21csrmvn_general_kernelILj256ELj2Ell21rocsparse_complex_numIfES2_S2_S2_EEvbT2_NS_24const_host_device_scalarIT6_EEPKT1_S9_PKS3_PKT3_PKT4_S6_PT5_21rocsparse_index_base_b.uses_flat_scratch, 1
	.set _ZN9rocsparseL21csrmvn_general_kernelILj256ELj2Ell21rocsparse_complex_numIfES2_S2_S2_EEvbT2_NS_24const_host_device_scalarIT6_EEPKT1_S9_PKS3_PKT3_PKT4_S6_PT5_21rocsparse_index_base_b.has_dyn_sized_stack, 0
	.set _ZN9rocsparseL21csrmvn_general_kernelILj256ELj2Ell21rocsparse_complex_numIfES2_S2_S2_EEvbT2_NS_24const_host_device_scalarIT6_EEPKT1_S9_PKS3_PKT3_PKT4_S6_PT5_21rocsparse_index_base_b.has_recursion, 0
	.set _ZN9rocsparseL21csrmvn_general_kernelILj256ELj2Ell21rocsparse_complex_numIfES2_S2_S2_EEvbT2_NS_24const_host_device_scalarIT6_EEPKT1_S9_PKS3_PKT3_PKT4_S6_PT5_21rocsparse_index_base_b.has_indirect_call, 0
	.section	.AMDGPU.csdata,"",@progbits
; Kernel info:
; codeLenInByte = 860
; TotalNumSgprs: 26
; NumVgprs: 30
; ScratchSize: 0
; MemoryBound: 0
; FloatMode: 240
; IeeeMode: 1
; LDSByteSize: 0 bytes/workgroup (compile time only)
; SGPRBlocks: 0
; VGPRBlocks: 1
; NumSGPRsForWavesPerEU: 26
; NumVGPRsForWavesPerEU: 30
; NamedBarCnt: 0
; Occupancy: 16
; WaveLimiterHint : 1
; COMPUTE_PGM_RSRC2:SCRATCH_EN: 0
; COMPUTE_PGM_RSRC2:USER_SGPR: 2
; COMPUTE_PGM_RSRC2:TRAP_HANDLER: 0
; COMPUTE_PGM_RSRC2:TGID_X_EN: 1
; COMPUTE_PGM_RSRC2:TGID_Y_EN: 0
; COMPUTE_PGM_RSRC2:TGID_Z_EN: 0
; COMPUTE_PGM_RSRC2:TIDIG_COMP_CNT: 0
	.section	.text._ZN9rocsparseL21csrmvn_general_kernelILj256ELj4Ell21rocsparse_complex_numIfES2_S2_S2_EEvbT2_NS_24const_host_device_scalarIT6_EEPKT1_S9_PKS3_PKT3_PKT4_S6_PT5_21rocsparse_index_base_b,"axG",@progbits,_ZN9rocsparseL21csrmvn_general_kernelILj256ELj4Ell21rocsparse_complex_numIfES2_S2_S2_EEvbT2_NS_24const_host_device_scalarIT6_EEPKT1_S9_PKS3_PKT3_PKT4_S6_PT5_21rocsparse_index_base_b,comdat
	.globl	_ZN9rocsparseL21csrmvn_general_kernelILj256ELj4Ell21rocsparse_complex_numIfES2_S2_S2_EEvbT2_NS_24const_host_device_scalarIT6_EEPKT1_S9_PKS3_PKT3_PKT4_S6_PT5_21rocsparse_index_base_b ; -- Begin function _ZN9rocsparseL21csrmvn_general_kernelILj256ELj4Ell21rocsparse_complex_numIfES2_S2_S2_EEvbT2_NS_24const_host_device_scalarIT6_EEPKT1_S9_PKS3_PKT3_PKT4_S6_PT5_21rocsparse_index_base_b
	.p2align	8
	.type	_ZN9rocsparseL21csrmvn_general_kernelILj256ELj4Ell21rocsparse_complex_numIfES2_S2_S2_EEvbT2_NS_24const_host_device_scalarIT6_EEPKT1_S9_PKS3_PKT3_PKT4_S6_PT5_21rocsparse_index_base_b,@function
_ZN9rocsparseL21csrmvn_general_kernelILj256ELj4Ell21rocsparse_complex_numIfES2_S2_S2_EEvbT2_NS_24const_host_device_scalarIT6_EEPKT1_S9_PKS3_PKT3_PKT4_S6_PT5_21rocsparse_index_base_b: ; @_ZN9rocsparseL21csrmvn_general_kernelILj256ELj4Ell21rocsparse_complex_numIfES2_S2_S2_EEvbT2_NS_24const_host_device_scalarIT6_EEPKT1_S9_PKS3_PKT3_PKT4_S6_PT5_21rocsparse_index_base_b
; %bb.0:
	s_clause 0x2
	s_load_b64 s[16:17], s[0:1], 0x50
	s_load_b256 s[8:15], s[0:1], 0x8
	s_load_b64 s[2:3], s[0:1], 0x40
	v_mov_b32_e32 v3, 0
	s_add_nc_u64 s[4:5], s[0:1], 16
	s_add_nc_u64 s[6:7], s[0:1], 64
	s_wait_kmcnt 0x0
	s_bitcmp1_b32 s17, 0
	s_cselect_b32 s5, s5, s11
	s_cselect_b32 s4, s4, s10
	;; [unrolled: 1-line block ×4, first 2 shown]
	s_clause 0x1
	flat_load_b64 v[4:5], v3, s[4:5]
	flat_load_b64 v[6:7], v3, s[2:3]
	s_wait_loadcnt_dscnt 0x101
	v_cmp_neq_f32_e32 vcc_lo, 0, v4
	s_wait_xcnt 0x0
	v_cmp_neq_f32_e64 s2, 0, v5
	s_wait_loadcnt_dscnt 0x0
	v_cmp_neq_f32_e64 s3, 1.0, v6
	v_cmp_neq_f32_e64 s4, 0, v7
	s_or_b32 s2, vcc_lo, s2
	s_or_b32 s3, s3, s4
	s_delay_alu instid0(SALU_CYCLE_1) | instskip(NEXT) | instid1(SALU_CYCLE_1)
	s_or_b32 s2, s2, s3
	s_and_saveexec_b32 s3, s2
	s_cbranch_execz .LBB89_12
; %bb.1:
	s_bfe_u32 s2, ttmp6, 0x4000c
	s_and_b32 s3, ttmp6, 15
	s_add_co_i32 s2, s2, 1
	s_getreg_b32 s4, hwreg(HW_REG_IB_STS2, 6, 4)
	s_mul_i32 s2, ttmp9, s2
	s_delay_alu instid0(SALU_CYCLE_1) | instskip(SKIP_2) | instid1(SALU_CYCLE_1)
	s_add_co_i32 s3, s3, s2
	s_cmp_eq_u32 s4, 0
	s_cselect_b32 s2, ttmp9, s3
	v_lshl_or_b32 v1, s2, 8, v0
	s_delay_alu instid0(VALU_DEP_1) | instskip(NEXT) | instid1(VALU_DEP_1)
	v_lshrrev_b32_e32 v2, 2, v1
	v_cmp_gt_i64_e32 vcc_lo, s[8:9], v[2:3]
	s_and_b32 exec_lo, exec_lo, vcc_lo
	s_cbranch_execz .LBB89_12
; %bb.2:
	v_mbcnt_lo_u32_b32 v1, -1, 0
	v_dual_mov_b32 v11, 0 :: v_dual_bitop2_b32 v10, 3, v0 bitop3:0x40
	s_mov_b32 s11, 0
	s_clause 0x4
	s_load_b32 s10, s[0:1], 0x58
	s_load_b32 s20, s[0:1], 0x0
	s_load_b128 s[4:7], s[0:1], 0x28
	s_load_b64 s[2:3], s[0:1], 0x48
	s_load_b64 s[18:19], s[0:1], 0x38
	s_mov_b32 s17, s11
	s_wait_xcnt 0x0
	v_cmp_neq_f32_e64 s0, 0, v6
	v_sub_nc_u64_e64 v[8:9], v[10:11], s[16:17]
	v_xor_b32_e32 v11, 1, v1
	v_xor_b32_e32 v12, 2, v1
	v_cmp_neq_f32_e64 s1, 0, v7
	s_mov_b32 s22, s16
	v_xor_b32_e32 v0, 0x80000000, v5
	s_mov_b32 s21, s11
	v_cmp_gt_i32_e32 vcc_lo, 32, v12
	v_cndmask_b32_e32 v12, v1, v12, vcc_lo
	v_cmp_gt_i32_e32 vcc_lo, 32, v11
	s_wait_kmcnt 0x0
	s_lshl_b32 s10, s10, 6
	s_bitcmp1_b32 s20, 0
	s_add_nc_u64 s[6:7], s[6:7], 4
	s_cselect_b32 s20, -1, 0
	v_cndmask_b32_e32 v1, v1, v11, vcc_lo
	s_ashr_i32 s23, s16, 31
	v_lshlrev_b32_e32 v22, 2, v12
	v_cmp_eq_u32_e32 vcc_lo, 3, v10
	v_xor_b32_e32 v10, 0x80000000, v7
	v_dual_lshlrev_b32 v23, 2, v1 :: v_dual_mov_b32 v11, v6
	v_mov_b32_e32 v1, v4
	s_lshl_b64 s[22:23], s[22:23], 3
	s_or_b32 s1, s0, s1
	s_sub_nc_u64 s[18:19], s[18:19], s[22:23]
	s_branch .LBB89_5
.LBB89_3:                               ;   in Loop: Header=BB89_5 Depth=1
	s_wait_xcnt 0x0
	s_or_b32 exec_lo, exec_lo, s22
	global_store_b64 v[12:13], v[14:15], off
.LBB89_4:                               ;   in Loop: Header=BB89_5 Depth=1
	s_wait_xcnt 0x0
	s_or_b32 exec_lo, exec_lo, s0
	v_add_nc_u64_e32 v[2:3], s[10:11], v[2:3]
	s_delay_alu instid0(VALU_DEP_1) | instskip(SKIP_1) | instid1(SALU_CYCLE_1)
	v_cmp_le_i64_e64 s0, s[8:9], v[2:3]
	s_or_b32 s21, s0, s21
	s_and_not1_b32 exec_lo, exec_lo, s21
	s_cbranch_execz .LBB89_12
.LBB89_5:                               ; =>This Loop Header: Depth=1
                                        ;     Child Loop BB89_7 Depth 2
	v_lshlrev_b64_e32 v[12:13], 3, v[2:3]
	s_mov_b32 s22, exec_lo
	s_wait_dscnt 0x0
	s_delay_alu instid0(VALU_DEP_1)
	v_add_nc_u64_e32 v[14:15], s[14:15], v[12:13]
	v_add_nc_u64_e32 v[12:13], s[12:13], v[12:13]
	global_load_b64 v[16:17], v[14:15], off
	global_load_b64 v[18:19], v[12:13], off
	s_wait_xcnt 0x0
	v_dual_mov_b32 v13, 0 :: v_dual_mov_b32 v12, 0
	s_wait_loadcnt 0x1
	v_sub_nc_u64_e64 v[14:15], v[16:17], s[16:17]
	s_wait_loadcnt 0x0
	v_add_nc_u64_e32 v[16:17], v[18:19], v[8:9]
	s_delay_alu instid0(VALU_DEP_1)
	v_cmpx_lt_i64_e64 v[16:17], v[14:15]
	s_cbranch_execz .LBB89_9
; %bb.6:                                ;   in Loop: Header=BB89_5 Depth=1
	v_lshlrev_b64_e32 v[20:21], 3, v[16:17]
	v_mov_b32_e32 v12, 0
	s_mov_b32 s23, 0
	s_delay_alu instid0(VALU_DEP_1) | instskip(NEXT) | instid1(VALU_DEP_3)
	v_mov_b32_e32 v13, v12
	v_add_nc_u64_e32 v[18:19], s[6:7], v[20:21]
	v_add_nc_u64_e32 v[20:21], s[4:5], v[20:21]
.LBB89_7:                               ;   Parent Loop BB89_5 Depth=1
                                        ; =>  This Inner Loop Header: Depth=2
	global_load_b64 v[24:25], v[20:21], off
	global_load_b64 v[26:27], v[18:19], off offset:-4
	v_add_nc_u64_e32 v[16:17], 4, v[16:17]
	s_wait_xcnt 0x0
	v_add_nc_u64_e32 v[18:19], 32, v[18:19]
	v_add_nc_u64_e32 v[20:21], 32, v[20:21]
	s_delay_alu instid0(VALU_DEP_3)
	v_cmp_ge_i64_e64 s0, v[16:17], v[14:15]
	s_or_b32 s23, s0, s23
	s_wait_loadcnt 0x1
	v_lshl_add_u64 v[24:25], v[24:25], 3, s[18:19]
	s_wait_loadcnt 0x0
	v_cndmask_b32_e64 v28, v27, -v27, s20
	global_load_b64 v[24:25], v[24:25], off
	v_pk_mul_f32 v[28:29], v[28:29], v[0:1] op_sel_hi:[0,1]
	s_delay_alu instid0(VALU_DEP_1) | instskip(SKIP_1) | instid1(VALU_DEP_1)
	v_pk_fma_f32 v[26:27], v[4:5], v[26:27], v[28:29] op_sel_hi:[1,0,1]
	s_wait_loadcnt 0x0
	v_pk_fma_f32 v[12:13], v[26:27], v[24:25], v[12:13] op_sel_hi:[1,0,1]
	s_delay_alu instid0(VALU_DEP_1)
	v_pk_fma_f32 v[12:13], v[26:27], v[24:25], v[12:13] op_sel:[1,1,0] op_sel_hi:[0,1,1] neg_lo:[1,0,0]
	s_wait_xcnt 0x0
	s_and_not1_b32 exec_lo, exec_lo, s23
	s_cbranch_execnz .LBB89_7
; %bb.8:                                ;   in Loop: Header=BB89_5 Depth=1
	s_or_b32 exec_lo, exec_lo, s23
.LBB89_9:                               ;   in Loop: Header=BB89_5 Depth=1
	s_delay_alu instid0(SALU_CYCLE_1)
	s_or_b32 exec_lo, exec_lo, s22
	ds_bpermute_b32 v14, v22, v12
	ds_bpermute_b32 v15, v22, v13
	s_wait_dscnt 0x0
	v_pk_add_f32 v[12:13], v[12:13], v[14:15]
	ds_bpermute_b32 v14, v23, v12
	ds_bpermute_b32 v15, v23, v13
	s_and_saveexec_b32 s0, vcc_lo
	s_cbranch_execz .LBB89_4
; %bb.10:                               ;   in Loop: Header=BB89_5 Depth=1
	s_wait_dscnt 0x0
	v_pk_add_f32 v[14:15], v[12:13], v[14:15]
	v_lshl_add_u64 v[12:13], v[2:3], 3, s[2:3]
	s_and_saveexec_b32 s22, s1
	s_cbranch_execz .LBB89_3
; %bb.11:                               ;   in Loop: Header=BB89_5 Depth=1
	global_load_b64 v[16:17], v[12:13], off
	s_wait_loadcnt 0x0
	v_pk_fma_f32 v[14:15], v[6:7], v[16:17], v[14:15] op_sel_hi:[1,0,1]
	s_delay_alu instid0(VALU_DEP_1)
	v_pk_fma_f32 v[14:15], v[10:11], v[16:17], v[14:15] op_sel:[0,1,0]
	s_branch .LBB89_3
.LBB89_12:
	s_endpgm
	.section	.rodata,"a",@progbits
	.p2align	6, 0x0
	.amdhsa_kernel _ZN9rocsparseL21csrmvn_general_kernelILj256ELj4Ell21rocsparse_complex_numIfES2_S2_S2_EEvbT2_NS_24const_host_device_scalarIT6_EEPKT1_S9_PKS3_PKT3_PKT4_S6_PT5_21rocsparse_index_base_b
		.amdhsa_group_segment_fixed_size 0
		.amdhsa_private_segment_fixed_size 0
		.amdhsa_kernarg_size 344
		.amdhsa_user_sgpr_count 2
		.amdhsa_user_sgpr_dispatch_ptr 0
		.amdhsa_user_sgpr_queue_ptr 0
		.amdhsa_user_sgpr_kernarg_segment_ptr 1
		.amdhsa_user_sgpr_dispatch_id 0
		.amdhsa_user_sgpr_kernarg_preload_length 0
		.amdhsa_user_sgpr_kernarg_preload_offset 0
		.amdhsa_user_sgpr_private_segment_size 0
		.amdhsa_wavefront_size32 1
		.amdhsa_uses_dynamic_stack 0
		.amdhsa_enable_private_segment 0
		.amdhsa_system_sgpr_workgroup_id_x 1
		.amdhsa_system_sgpr_workgroup_id_y 0
		.amdhsa_system_sgpr_workgroup_id_z 0
		.amdhsa_system_sgpr_workgroup_info 0
		.amdhsa_system_vgpr_workitem_id 0
		.amdhsa_next_free_vgpr 30
		.amdhsa_next_free_sgpr 24
		.amdhsa_named_barrier_count 0
		.amdhsa_reserve_vcc 1
		.amdhsa_float_round_mode_32 0
		.amdhsa_float_round_mode_16_64 0
		.amdhsa_float_denorm_mode_32 3
		.amdhsa_float_denorm_mode_16_64 3
		.amdhsa_fp16_overflow 0
		.amdhsa_memory_ordered 1
		.amdhsa_forward_progress 1
		.amdhsa_inst_pref_size 8
		.amdhsa_round_robin_scheduling 0
		.amdhsa_exception_fp_ieee_invalid_op 0
		.amdhsa_exception_fp_denorm_src 0
		.amdhsa_exception_fp_ieee_div_zero 0
		.amdhsa_exception_fp_ieee_overflow 0
		.amdhsa_exception_fp_ieee_underflow 0
		.amdhsa_exception_fp_ieee_inexact 0
		.amdhsa_exception_int_div_zero 0
	.end_amdhsa_kernel
	.section	.text._ZN9rocsparseL21csrmvn_general_kernelILj256ELj4Ell21rocsparse_complex_numIfES2_S2_S2_EEvbT2_NS_24const_host_device_scalarIT6_EEPKT1_S9_PKS3_PKT3_PKT4_S6_PT5_21rocsparse_index_base_b,"axG",@progbits,_ZN9rocsparseL21csrmvn_general_kernelILj256ELj4Ell21rocsparse_complex_numIfES2_S2_S2_EEvbT2_NS_24const_host_device_scalarIT6_EEPKT1_S9_PKS3_PKT3_PKT4_S6_PT5_21rocsparse_index_base_b,comdat
.Lfunc_end89:
	.size	_ZN9rocsparseL21csrmvn_general_kernelILj256ELj4Ell21rocsparse_complex_numIfES2_S2_S2_EEvbT2_NS_24const_host_device_scalarIT6_EEPKT1_S9_PKS3_PKT3_PKT4_S6_PT5_21rocsparse_index_base_b, .Lfunc_end89-_ZN9rocsparseL21csrmvn_general_kernelILj256ELj4Ell21rocsparse_complex_numIfES2_S2_S2_EEvbT2_NS_24const_host_device_scalarIT6_EEPKT1_S9_PKS3_PKT3_PKT4_S6_PT5_21rocsparse_index_base_b
                                        ; -- End function
	.set _ZN9rocsparseL21csrmvn_general_kernelILj256ELj4Ell21rocsparse_complex_numIfES2_S2_S2_EEvbT2_NS_24const_host_device_scalarIT6_EEPKT1_S9_PKS3_PKT3_PKT4_S6_PT5_21rocsparse_index_base_b.num_vgpr, 30
	.set _ZN9rocsparseL21csrmvn_general_kernelILj256ELj4Ell21rocsparse_complex_numIfES2_S2_S2_EEvbT2_NS_24const_host_device_scalarIT6_EEPKT1_S9_PKS3_PKT3_PKT4_S6_PT5_21rocsparse_index_base_b.num_agpr, 0
	.set _ZN9rocsparseL21csrmvn_general_kernelILj256ELj4Ell21rocsparse_complex_numIfES2_S2_S2_EEvbT2_NS_24const_host_device_scalarIT6_EEPKT1_S9_PKS3_PKT3_PKT4_S6_PT5_21rocsparse_index_base_b.numbered_sgpr, 24
	.set _ZN9rocsparseL21csrmvn_general_kernelILj256ELj4Ell21rocsparse_complex_numIfES2_S2_S2_EEvbT2_NS_24const_host_device_scalarIT6_EEPKT1_S9_PKS3_PKT3_PKT4_S6_PT5_21rocsparse_index_base_b.num_named_barrier, 0
	.set _ZN9rocsparseL21csrmvn_general_kernelILj256ELj4Ell21rocsparse_complex_numIfES2_S2_S2_EEvbT2_NS_24const_host_device_scalarIT6_EEPKT1_S9_PKS3_PKT3_PKT4_S6_PT5_21rocsparse_index_base_b.private_seg_size, 0
	.set _ZN9rocsparseL21csrmvn_general_kernelILj256ELj4Ell21rocsparse_complex_numIfES2_S2_S2_EEvbT2_NS_24const_host_device_scalarIT6_EEPKT1_S9_PKS3_PKT3_PKT4_S6_PT5_21rocsparse_index_base_b.uses_vcc, 1
	.set _ZN9rocsparseL21csrmvn_general_kernelILj256ELj4Ell21rocsparse_complex_numIfES2_S2_S2_EEvbT2_NS_24const_host_device_scalarIT6_EEPKT1_S9_PKS3_PKT3_PKT4_S6_PT5_21rocsparse_index_base_b.uses_flat_scratch, 1
	.set _ZN9rocsparseL21csrmvn_general_kernelILj256ELj4Ell21rocsparse_complex_numIfES2_S2_S2_EEvbT2_NS_24const_host_device_scalarIT6_EEPKT1_S9_PKS3_PKT3_PKT4_S6_PT5_21rocsparse_index_base_b.has_dyn_sized_stack, 0
	.set _ZN9rocsparseL21csrmvn_general_kernelILj256ELj4Ell21rocsparse_complex_numIfES2_S2_S2_EEvbT2_NS_24const_host_device_scalarIT6_EEPKT1_S9_PKS3_PKT3_PKT4_S6_PT5_21rocsparse_index_base_b.has_recursion, 0
	.set _ZN9rocsparseL21csrmvn_general_kernelILj256ELj4Ell21rocsparse_complex_numIfES2_S2_S2_EEvbT2_NS_24const_host_device_scalarIT6_EEPKT1_S9_PKS3_PKT3_PKT4_S6_PT5_21rocsparse_index_base_b.has_indirect_call, 0
	.section	.AMDGPU.csdata,"",@progbits
; Kernel info:
; codeLenInByte = 900
; TotalNumSgprs: 26
; NumVgprs: 30
; ScratchSize: 0
; MemoryBound: 0
; FloatMode: 240
; IeeeMode: 1
; LDSByteSize: 0 bytes/workgroup (compile time only)
; SGPRBlocks: 0
; VGPRBlocks: 1
; NumSGPRsForWavesPerEU: 26
; NumVGPRsForWavesPerEU: 30
; NamedBarCnt: 0
; Occupancy: 16
; WaveLimiterHint : 1
; COMPUTE_PGM_RSRC2:SCRATCH_EN: 0
; COMPUTE_PGM_RSRC2:USER_SGPR: 2
; COMPUTE_PGM_RSRC2:TRAP_HANDLER: 0
; COMPUTE_PGM_RSRC2:TGID_X_EN: 1
; COMPUTE_PGM_RSRC2:TGID_Y_EN: 0
; COMPUTE_PGM_RSRC2:TGID_Z_EN: 0
; COMPUTE_PGM_RSRC2:TIDIG_COMP_CNT: 0
	.section	.text._ZN9rocsparseL21csrmvn_general_kernelILj256ELj8Ell21rocsparse_complex_numIfES2_S2_S2_EEvbT2_NS_24const_host_device_scalarIT6_EEPKT1_S9_PKS3_PKT3_PKT4_S6_PT5_21rocsparse_index_base_b,"axG",@progbits,_ZN9rocsparseL21csrmvn_general_kernelILj256ELj8Ell21rocsparse_complex_numIfES2_S2_S2_EEvbT2_NS_24const_host_device_scalarIT6_EEPKT1_S9_PKS3_PKT3_PKT4_S6_PT5_21rocsparse_index_base_b,comdat
	.globl	_ZN9rocsparseL21csrmvn_general_kernelILj256ELj8Ell21rocsparse_complex_numIfES2_S2_S2_EEvbT2_NS_24const_host_device_scalarIT6_EEPKT1_S9_PKS3_PKT3_PKT4_S6_PT5_21rocsparse_index_base_b ; -- Begin function _ZN9rocsparseL21csrmvn_general_kernelILj256ELj8Ell21rocsparse_complex_numIfES2_S2_S2_EEvbT2_NS_24const_host_device_scalarIT6_EEPKT1_S9_PKS3_PKT3_PKT4_S6_PT5_21rocsparse_index_base_b
	.p2align	8
	.type	_ZN9rocsparseL21csrmvn_general_kernelILj256ELj8Ell21rocsparse_complex_numIfES2_S2_S2_EEvbT2_NS_24const_host_device_scalarIT6_EEPKT1_S9_PKS3_PKT3_PKT4_S6_PT5_21rocsparse_index_base_b,@function
_ZN9rocsparseL21csrmvn_general_kernelILj256ELj8Ell21rocsparse_complex_numIfES2_S2_S2_EEvbT2_NS_24const_host_device_scalarIT6_EEPKT1_S9_PKS3_PKT3_PKT4_S6_PT5_21rocsparse_index_base_b: ; @_ZN9rocsparseL21csrmvn_general_kernelILj256ELj8Ell21rocsparse_complex_numIfES2_S2_S2_EEvbT2_NS_24const_host_device_scalarIT6_EEPKT1_S9_PKS3_PKT3_PKT4_S6_PT5_21rocsparse_index_base_b
; %bb.0:
	s_clause 0x2
	s_load_b64 s[16:17], s[0:1], 0x50
	s_load_b256 s[8:15], s[0:1], 0x8
	s_load_b64 s[2:3], s[0:1], 0x40
	v_mov_b32_e32 v3, 0
	s_add_nc_u64 s[4:5], s[0:1], 16
	s_add_nc_u64 s[6:7], s[0:1], 64
	s_wait_kmcnt 0x0
	s_bitcmp1_b32 s17, 0
	s_cselect_b32 s5, s5, s11
	s_cselect_b32 s4, s4, s10
	;; [unrolled: 1-line block ×4, first 2 shown]
	s_clause 0x1
	flat_load_b64 v[4:5], v3, s[4:5]
	flat_load_b64 v[6:7], v3, s[2:3]
	s_wait_loadcnt_dscnt 0x101
	v_cmp_neq_f32_e32 vcc_lo, 0, v4
	s_wait_xcnt 0x0
	v_cmp_neq_f32_e64 s2, 0, v5
	s_wait_loadcnt_dscnt 0x0
	v_cmp_neq_f32_e64 s3, 1.0, v6
	v_cmp_neq_f32_e64 s4, 0, v7
	s_or_b32 s2, vcc_lo, s2
	s_or_b32 s3, s3, s4
	s_delay_alu instid0(SALU_CYCLE_1) | instskip(NEXT) | instid1(SALU_CYCLE_1)
	s_or_b32 s2, s2, s3
	s_and_saveexec_b32 s3, s2
	s_cbranch_execz .LBB90_12
; %bb.1:
	s_bfe_u32 s2, ttmp6, 0x4000c
	s_and_b32 s3, ttmp6, 15
	s_add_co_i32 s2, s2, 1
	s_getreg_b32 s4, hwreg(HW_REG_IB_STS2, 6, 4)
	s_mul_i32 s2, ttmp9, s2
	s_delay_alu instid0(SALU_CYCLE_1) | instskip(SKIP_2) | instid1(SALU_CYCLE_1)
	s_add_co_i32 s3, s3, s2
	s_cmp_eq_u32 s4, 0
	s_cselect_b32 s2, ttmp9, s3
	v_lshl_or_b32 v1, s2, 8, v0
	s_delay_alu instid0(VALU_DEP_1) | instskip(NEXT) | instid1(VALU_DEP_1)
	v_lshrrev_b32_e32 v2, 3, v1
	v_cmp_gt_i64_e32 vcc_lo, s[8:9], v[2:3]
	s_and_b32 exec_lo, exec_lo, vcc_lo
	s_cbranch_execz .LBB90_12
; %bb.2:
	v_mbcnt_lo_u32_b32 v1, -1, 0
	s_clause 0x4
	s_load_b32 s10, s[0:1], 0x58
	s_load_b32 s20, s[0:1], 0x0
	s_load_b128 s[4:7], s[0:1], 0x28
	s_load_b64 s[2:3], s[0:1], 0x48
	s_load_b64 s[18:19], s[0:1], 0x38
	v_dual_mov_b32 v11, 0 :: v_dual_bitop2_b32 v10, 7, v0 bitop3:0x40
	s_mov_b32 s11, 0
	v_xor_b32_e32 v12, 1, v1
	v_xor_b32_e32 v8, 4, v1
	s_mov_b32 s17, s11
	s_wait_xcnt 0x0
	s_mov_b32 s0, s16
	v_xor_b32_e32 v0, 0x80000000, v5
	s_mov_b32 s21, s11
	v_cmp_gt_i32_e32 vcc_lo, 32, v8
	v_dual_cndmask_b32 v13, v1, v8, vcc_lo :: v_dual_bitop2_b32 v9, 2, v1 bitop3:0x14
	s_delay_alu instid0(VALU_DEP_1)
	v_cmp_gt_i32_e32 vcc_lo, 32, v9
	s_wait_kmcnt 0x0
	s_lshl_b32 s10, s10, 5
	s_bitcmp1_b32 s20, 0
	s_add_nc_u64 s[6:7], s[6:7], 4
	s_cselect_b32 s20, -1, 0
	v_cndmask_b32_e32 v14, v1, v9, vcc_lo
	v_sub_nc_u64_e64 v[8:9], v[10:11], s[16:17]
	v_mov_b32_e32 v11, v6
	s_ashr_i32 s1, s16, 31
	s_delay_alu instid0(VALU_DEP_3) | instskip(SKIP_2) | instid1(SALU_CYCLE_1)
	v_dual_lshlrev_b32 v22, 2, v13 :: v_dual_lshlrev_b32 v23, 2, v14
	v_cmp_gt_i32_e32 vcc_lo, 32, v12
	s_lshl_b64 s[0:1], s[0:1], 3
	s_sub_nc_u64 s[18:19], s[18:19], s[0:1]
	v_cmp_neq_f32_e64 s0, 0, v6
	v_cndmask_b32_e32 v1, v1, v12, vcc_lo
	v_cmp_neq_f32_e64 s1, 0, v7
	v_cmp_eq_u32_e32 vcc_lo, 7, v10
	v_xor_b32_e32 v10, 0x80000000, v7
	s_delay_alu instid0(VALU_DEP_4)
	v_dual_mov_b32 v1, v4 :: v_dual_lshlrev_b32 v24, 2, v1
	s_or_b32 s1, s0, s1
	s_branch .LBB90_5
.LBB90_3:                               ;   in Loop: Header=BB90_5 Depth=1
	s_wait_xcnt 0x0
	s_or_b32 exec_lo, exec_lo, s22
	global_store_b64 v[12:13], v[14:15], off
.LBB90_4:                               ;   in Loop: Header=BB90_5 Depth=1
	s_wait_xcnt 0x0
	s_or_b32 exec_lo, exec_lo, s0
	v_add_nc_u64_e32 v[2:3], s[10:11], v[2:3]
	s_delay_alu instid0(VALU_DEP_1) | instskip(SKIP_1) | instid1(SALU_CYCLE_1)
	v_cmp_le_i64_e64 s0, s[8:9], v[2:3]
	s_or_b32 s21, s0, s21
	s_and_not1_b32 exec_lo, exec_lo, s21
	s_cbranch_execz .LBB90_12
.LBB90_5:                               ; =>This Loop Header: Depth=1
                                        ;     Child Loop BB90_7 Depth 2
	v_lshlrev_b64_e32 v[12:13], 3, v[2:3]
	s_mov_b32 s22, exec_lo
	s_wait_dscnt 0x0
	s_delay_alu instid0(VALU_DEP_1)
	v_add_nc_u64_e32 v[14:15], s[14:15], v[12:13]
	v_add_nc_u64_e32 v[12:13], s[12:13], v[12:13]
	global_load_b64 v[16:17], v[14:15], off
	global_load_b64 v[18:19], v[12:13], off
	s_wait_xcnt 0x0
	v_dual_mov_b32 v13, 0 :: v_dual_mov_b32 v12, 0
	s_wait_loadcnt 0x1
	v_sub_nc_u64_e64 v[14:15], v[16:17], s[16:17]
	s_wait_loadcnt 0x0
	v_add_nc_u64_e32 v[16:17], v[18:19], v[8:9]
	s_delay_alu instid0(VALU_DEP_1)
	v_cmpx_lt_i64_e64 v[16:17], v[14:15]
	s_cbranch_execz .LBB90_9
; %bb.6:                                ;   in Loop: Header=BB90_5 Depth=1
	v_lshlrev_b64_e32 v[20:21], 3, v[16:17]
	v_mov_b32_e32 v12, 0
	s_mov_b32 s23, 0
	s_delay_alu instid0(VALU_DEP_1) | instskip(NEXT) | instid1(VALU_DEP_3)
	v_mov_b32_e32 v13, v12
	v_add_nc_u64_e32 v[18:19], s[6:7], v[20:21]
	v_add_nc_u64_e32 v[20:21], s[4:5], v[20:21]
.LBB90_7:                               ;   Parent Loop BB90_5 Depth=1
                                        ; =>  This Inner Loop Header: Depth=2
	global_load_b64 v[26:27], v[20:21], off
	global_load_b64 v[28:29], v[18:19], off offset:-4
	v_add_nc_u64_e32 v[16:17], 8, v[16:17]
	s_wait_xcnt 0x0
	v_add_nc_u64_e32 v[18:19], 64, v[18:19]
	v_add_nc_u64_e32 v[20:21], 64, v[20:21]
	s_delay_alu instid0(VALU_DEP_3)
	v_cmp_ge_i64_e64 s0, v[16:17], v[14:15]
	s_or_b32 s23, s0, s23
	s_wait_loadcnt 0x1
	v_lshl_add_u64 v[26:27], v[26:27], 3, s[18:19]
	s_wait_loadcnt 0x0
	v_cndmask_b32_e64 v30, v29, -v29, s20
	global_load_b64 v[26:27], v[26:27], off
	v_pk_mul_f32 v[30:31], v[30:31], v[0:1] op_sel_hi:[0,1]
	s_delay_alu instid0(VALU_DEP_1) | instskip(SKIP_1) | instid1(VALU_DEP_1)
	v_pk_fma_f32 v[28:29], v[4:5], v[28:29], v[30:31] op_sel_hi:[1,0,1]
	s_wait_loadcnt 0x0
	v_pk_fma_f32 v[12:13], v[28:29], v[26:27], v[12:13] op_sel_hi:[1,0,1]
	s_delay_alu instid0(VALU_DEP_1)
	v_pk_fma_f32 v[12:13], v[28:29], v[26:27], v[12:13] op_sel:[1,1,0] op_sel_hi:[0,1,1] neg_lo:[1,0,0]
	s_wait_xcnt 0x0
	s_and_not1_b32 exec_lo, exec_lo, s23
	s_cbranch_execnz .LBB90_7
; %bb.8:                                ;   in Loop: Header=BB90_5 Depth=1
	s_or_b32 exec_lo, exec_lo, s23
.LBB90_9:                               ;   in Loop: Header=BB90_5 Depth=1
	s_delay_alu instid0(SALU_CYCLE_1)
	s_or_b32 exec_lo, exec_lo, s22
	ds_bpermute_b32 v14, v22, v12
	ds_bpermute_b32 v15, v22, v13
	s_wait_dscnt 0x0
	v_pk_add_f32 v[12:13], v[12:13], v[14:15]
	ds_bpermute_b32 v14, v23, v12
	ds_bpermute_b32 v15, v23, v13
	s_wait_dscnt 0x0
	v_pk_add_f32 v[12:13], v[12:13], v[14:15]
	ds_bpermute_b32 v14, v24, v12
	ds_bpermute_b32 v15, v24, v13
	s_and_saveexec_b32 s0, vcc_lo
	s_cbranch_execz .LBB90_4
; %bb.10:                               ;   in Loop: Header=BB90_5 Depth=1
	s_wait_dscnt 0x0
	v_pk_add_f32 v[14:15], v[12:13], v[14:15]
	v_lshl_add_u64 v[12:13], v[2:3], 3, s[2:3]
	s_and_saveexec_b32 s22, s1
	s_cbranch_execz .LBB90_3
; %bb.11:                               ;   in Loop: Header=BB90_5 Depth=1
	global_load_b64 v[16:17], v[12:13], off
	s_wait_loadcnt 0x0
	v_pk_fma_f32 v[14:15], v[6:7], v[16:17], v[14:15] op_sel_hi:[1,0,1]
	s_delay_alu instid0(VALU_DEP_1)
	v_pk_fma_f32 v[14:15], v[10:11], v[16:17], v[14:15] op_sel:[0,1,0]
	s_branch .LBB90_3
.LBB90_12:
	s_endpgm
	.section	.rodata,"a",@progbits
	.p2align	6, 0x0
	.amdhsa_kernel _ZN9rocsparseL21csrmvn_general_kernelILj256ELj8Ell21rocsparse_complex_numIfES2_S2_S2_EEvbT2_NS_24const_host_device_scalarIT6_EEPKT1_S9_PKS3_PKT3_PKT4_S6_PT5_21rocsparse_index_base_b
		.amdhsa_group_segment_fixed_size 0
		.amdhsa_private_segment_fixed_size 0
		.amdhsa_kernarg_size 344
		.amdhsa_user_sgpr_count 2
		.amdhsa_user_sgpr_dispatch_ptr 0
		.amdhsa_user_sgpr_queue_ptr 0
		.amdhsa_user_sgpr_kernarg_segment_ptr 1
		.amdhsa_user_sgpr_dispatch_id 0
		.amdhsa_user_sgpr_kernarg_preload_length 0
		.amdhsa_user_sgpr_kernarg_preload_offset 0
		.amdhsa_user_sgpr_private_segment_size 0
		.amdhsa_wavefront_size32 1
		.amdhsa_uses_dynamic_stack 0
		.amdhsa_enable_private_segment 0
		.amdhsa_system_sgpr_workgroup_id_x 1
		.amdhsa_system_sgpr_workgroup_id_y 0
		.amdhsa_system_sgpr_workgroup_id_z 0
		.amdhsa_system_sgpr_workgroup_info 0
		.amdhsa_system_vgpr_workitem_id 0
		.amdhsa_next_free_vgpr 32
		.amdhsa_next_free_sgpr 24
		.amdhsa_named_barrier_count 0
		.amdhsa_reserve_vcc 1
		.amdhsa_float_round_mode_32 0
		.amdhsa_float_round_mode_16_64 0
		.amdhsa_float_denorm_mode_32 3
		.amdhsa_float_denorm_mode_16_64 3
		.amdhsa_fp16_overflow 0
		.amdhsa_memory_ordered 1
		.amdhsa_forward_progress 1
		.amdhsa_inst_pref_size 8
		.amdhsa_round_robin_scheduling 0
		.amdhsa_exception_fp_ieee_invalid_op 0
		.amdhsa_exception_fp_denorm_src 0
		.amdhsa_exception_fp_ieee_div_zero 0
		.amdhsa_exception_fp_ieee_overflow 0
		.amdhsa_exception_fp_ieee_underflow 0
		.amdhsa_exception_fp_ieee_inexact 0
		.amdhsa_exception_int_div_zero 0
	.end_amdhsa_kernel
	.section	.text._ZN9rocsparseL21csrmvn_general_kernelILj256ELj8Ell21rocsparse_complex_numIfES2_S2_S2_EEvbT2_NS_24const_host_device_scalarIT6_EEPKT1_S9_PKS3_PKT3_PKT4_S6_PT5_21rocsparse_index_base_b,"axG",@progbits,_ZN9rocsparseL21csrmvn_general_kernelILj256ELj8Ell21rocsparse_complex_numIfES2_S2_S2_EEvbT2_NS_24const_host_device_scalarIT6_EEPKT1_S9_PKS3_PKT3_PKT4_S6_PT5_21rocsparse_index_base_b,comdat
.Lfunc_end90:
	.size	_ZN9rocsparseL21csrmvn_general_kernelILj256ELj8Ell21rocsparse_complex_numIfES2_S2_S2_EEvbT2_NS_24const_host_device_scalarIT6_EEPKT1_S9_PKS3_PKT3_PKT4_S6_PT5_21rocsparse_index_base_b, .Lfunc_end90-_ZN9rocsparseL21csrmvn_general_kernelILj256ELj8Ell21rocsparse_complex_numIfES2_S2_S2_EEvbT2_NS_24const_host_device_scalarIT6_EEPKT1_S9_PKS3_PKT3_PKT4_S6_PT5_21rocsparse_index_base_b
                                        ; -- End function
	.set _ZN9rocsparseL21csrmvn_general_kernelILj256ELj8Ell21rocsparse_complex_numIfES2_S2_S2_EEvbT2_NS_24const_host_device_scalarIT6_EEPKT1_S9_PKS3_PKT3_PKT4_S6_PT5_21rocsparse_index_base_b.num_vgpr, 32
	.set _ZN9rocsparseL21csrmvn_general_kernelILj256ELj8Ell21rocsparse_complex_numIfES2_S2_S2_EEvbT2_NS_24const_host_device_scalarIT6_EEPKT1_S9_PKS3_PKT3_PKT4_S6_PT5_21rocsparse_index_base_b.num_agpr, 0
	.set _ZN9rocsparseL21csrmvn_general_kernelILj256ELj8Ell21rocsparse_complex_numIfES2_S2_S2_EEvbT2_NS_24const_host_device_scalarIT6_EEPKT1_S9_PKS3_PKT3_PKT4_S6_PT5_21rocsparse_index_base_b.numbered_sgpr, 24
	.set _ZN9rocsparseL21csrmvn_general_kernelILj256ELj8Ell21rocsparse_complex_numIfES2_S2_S2_EEvbT2_NS_24const_host_device_scalarIT6_EEPKT1_S9_PKS3_PKT3_PKT4_S6_PT5_21rocsparse_index_base_b.num_named_barrier, 0
	.set _ZN9rocsparseL21csrmvn_general_kernelILj256ELj8Ell21rocsparse_complex_numIfES2_S2_S2_EEvbT2_NS_24const_host_device_scalarIT6_EEPKT1_S9_PKS3_PKT3_PKT4_S6_PT5_21rocsparse_index_base_b.private_seg_size, 0
	.set _ZN9rocsparseL21csrmvn_general_kernelILj256ELj8Ell21rocsparse_complex_numIfES2_S2_S2_EEvbT2_NS_24const_host_device_scalarIT6_EEPKT1_S9_PKS3_PKT3_PKT4_S6_PT5_21rocsparse_index_base_b.uses_vcc, 1
	.set _ZN9rocsparseL21csrmvn_general_kernelILj256ELj8Ell21rocsparse_complex_numIfES2_S2_S2_EEvbT2_NS_24const_host_device_scalarIT6_EEPKT1_S9_PKS3_PKT3_PKT4_S6_PT5_21rocsparse_index_base_b.uses_flat_scratch, 1
	.set _ZN9rocsparseL21csrmvn_general_kernelILj256ELj8Ell21rocsparse_complex_numIfES2_S2_S2_EEvbT2_NS_24const_host_device_scalarIT6_EEPKT1_S9_PKS3_PKT3_PKT4_S6_PT5_21rocsparse_index_base_b.has_dyn_sized_stack, 0
	.set _ZN9rocsparseL21csrmvn_general_kernelILj256ELj8Ell21rocsparse_complex_numIfES2_S2_S2_EEvbT2_NS_24const_host_device_scalarIT6_EEPKT1_S9_PKS3_PKT3_PKT4_S6_PT5_21rocsparse_index_base_b.has_recursion, 0
	.set _ZN9rocsparseL21csrmvn_general_kernelILj256ELj8Ell21rocsparse_complex_numIfES2_S2_S2_EEvbT2_NS_24const_host_device_scalarIT6_EEPKT1_S9_PKS3_PKT3_PKT4_S6_PT5_21rocsparse_index_base_b.has_indirect_call, 0
	.section	.AMDGPU.csdata,"",@progbits
; Kernel info:
; codeLenInByte = 960
; TotalNumSgprs: 26
; NumVgprs: 32
; ScratchSize: 0
; MemoryBound: 0
; FloatMode: 240
; IeeeMode: 1
; LDSByteSize: 0 bytes/workgroup (compile time only)
; SGPRBlocks: 0
; VGPRBlocks: 1
; NumSGPRsForWavesPerEU: 26
; NumVGPRsForWavesPerEU: 32
; NamedBarCnt: 0
; Occupancy: 16
; WaveLimiterHint : 1
; COMPUTE_PGM_RSRC2:SCRATCH_EN: 0
; COMPUTE_PGM_RSRC2:USER_SGPR: 2
; COMPUTE_PGM_RSRC2:TRAP_HANDLER: 0
; COMPUTE_PGM_RSRC2:TGID_X_EN: 1
; COMPUTE_PGM_RSRC2:TGID_Y_EN: 0
; COMPUTE_PGM_RSRC2:TGID_Z_EN: 0
; COMPUTE_PGM_RSRC2:TIDIG_COMP_CNT: 0
	.section	.text._ZN9rocsparseL21csrmvn_general_kernelILj256ELj16Ell21rocsparse_complex_numIfES2_S2_S2_EEvbT2_NS_24const_host_device_scalarIT6_EEPKT1_S9_PKS3_PKT3_PKT4_S6_PT5_21rocsparse_index_base_b,"axG",@progbits,_ZN9rocsparseL21csrmvn_general_kernelILj256ELj16Ell21rocsparse_complex_numIfES2_S2_S2_EEvbT2_NS_24const_host_device_scalarIT6_EEPKT1_S9_PKS3_PKT3_PKT4_S6_PT5_21rocsparse_index_base_b,comdat
	.globl	_ZN9rocsparseL21csrmvn_general_kernelILj256ELj16Ell21rocsparse_complex_numIfES2_S2_S2_EEvbT2_NS_24const_host_device_scalarIT6_EEPKT1_S9_PKS3_PKT3_PKT4_S6_PT5_21rocsparse_index_base_b ; -- Begin function _ZN9rocsparseL21csrmvn_general_kernelILj256ELj16Ell21rocsparse_complex_numIfES2_S2_S2_EEvbT2_NS_24const_host_device_scalarIT6_EEPKT1_S9_PKS3_PKT3_PKT4_S6_PT5_21rocsparse_index_base_b
	.p2align	8
	.type	_ZN9rocsparseL21csrmvn_general_kernelILj256ELj16Ell21rocsparse_complex_numIfES2_S2_S2_EEvbT2_NS_24const_host_device_scalarIT6_EEPKT1_S9_PKS3_PKT3_PKT4_S6_PT5_21rocsparse_index_base_b,@function
_ZN9rocsparseL21csrmvn_general_kernelILj256ELj16Ell21rocsparse_complex_numIfES2_S2_S2_EEvbT2_NS_24const_host_device_scalarIT6_EEPKT1_S9_PKS3_PKT3_PKT4_S6_PT5_21rocsparse_index_base_b: ; @_ZN9rocsparseL21csrmvn_general_kernelILj256ELj16Ell21rocsparse_complex_numIfES2_S2_S2_EEvbT2_NS_24const_host_device_scalarIT6_EEPKT1_S9_PKS3_PKT3_PKT4_S6_PT5_21rocsparse_index_base_b
; %bb.0:
	s_clause 0x2
	s_load_b64 s[16:17], s[0:1], 0x50
	s_load_b256 s[8:15], s[0:1], 0x8
	s_load_b64 s[2:3], s[0:1], 0x40
	v_mov_b32_e32 v3, 0
	s_add_nc_u64 s[4:5], s[0:1], 16
	s_add_nc_u64 s[6:7], s[0:1], 64
	s_wait_kmcnt 0x0
	s_bitcmp1_b32 s17, 0
	s_cselect_b32 s5, s5, s11
	s_cselect_b32 s4, s4, s10
	;; [unrolled: 1-line block ×4, first 2 shown]
	s_clause 0x1
	flat_load_b64 v[4:5], v3, s[4:5]
	flat_load_b64 v[6:7], v3, s[2:3]
	s_wait_loadcnt_dscnt 0x101
	v_cmp_neq_f32_e32 vcc_lo, 0, v4
	s_wait_xcnt 0x0
	v_cmp_neq_f32_e64 s2, 0, v5
	s_wait_loadcnt_dscnt 0x0
	v_cmp_neq_f32_e64 s3, 1.0, v6
	v_cmp_neq_f32_e64 s4, 0, v7
	s_or_b32 s2, vcc_lo, s2
	s_or_b32 s3, s3, s4
	s_delay_alu instid0(SALU_CYCLE_1) | instskip(NEXT) | instid1(SALU_CYCLE_1)
	s_or_b32 s2, s2, s3
	s_and_saveexec_b32 s3, s2
	s_cbranch_execz .LBB91_12
; %bb.1:
	s_bfe_u32 s2, ttmp6, 0x4000c
	s_and_b32 s3, ttmp6, 15
	s_add_co_i32 s2, s2, 1
	s_getreg_b32 s4, hwreg(HW_REG_IB_STS2, 6, 4)
	s_mul_i32 s2, ttmp9, s2
	s_delay_alu instid0(SALU_CYCLE_1) | instskip(SKIP_2) | instid1(SALU_CYCLE_1)
	s_add_co_i32 s3, s3, s2
	s_cmp_eq_u32 s4, 0
	s_cselect_b32 s2, ttmp9, s3
	v_lshl_or_b32 v1, s2, 8, v0
	s_delay_alu instid0(VALU_DEP_1) | instskip(NEXT) | instid1(VALU_DEP_1)
	v_lshrrev_b32_e32 v2, 4, v1
	v_cmp_gt_i64_e32 vcc_lo, s[8:9], v[2:3]
	s_and_b32 exec_lo, exec_lo, vcc_lo
	s_cbranch_execz .LBB91_12
; %bb.2:
	v_dual_mov_b32 v11, 0 :: v_dual_bitop2_b32 v10, 15, v0 bitop3:0x40
	v_mbcnt_lo_u32_b32 v1, -1, 0
	s_mov_b32 s11, 0
	s_clause 0x4
	s_load_b32 s10, s[0:1], 0x58
	s_load_b32 s20, s[0:1], 0x0
	s_load_b128 s[4:7], s[0:1], 0x28
	s_load_b64 s[2:3], s[0:1], 0x48
	s_load_b64 s[18:19], s[0:1], 0x38
	s_mov_b32 s17, s11
	s_wait_xcnt 0x0
	s_mov_b32 s0, s16
	v_sub_nc_u64_e64 v[8:9], v[10:11], s[16:17]
	v_xor_b32_e32 v12, 4, v1
	v_xor_b32_e32 v11, 8, v1
	v_xor_b32_e32 v0, 0x80000000, v5
	s_mov_b32 s21, s11
	s_delay_alu instid0(VALU_DEP_2)
	v_cmp_gt_i32_e32 vcc_lo, 32, v11
	v_dual_cndmask_b32 v11, v1, v11, vcc_lo :: v_dual_bitop2_b32 v14, 1, v1 bitop3:0x14
	v_cmp_gt_i32_e32 vcc_lo, 32, v12
	s_wait_kmcnt 0x0
	s_lshl_b32 s10, s10, 4
	s_bitcmp1_b32 s20, 0
	v_dual_lshlrev_b32 v22, 2, v11 :: v_dual_bitop2_b32 v13, 2, v1 bitop3:0x14
	v_cndmask_b32_e32 v12, v1, v12, vcc_lo
	s_cselect_b32 s20, -1, 0
	s_ashr_i32 s1, s16, 31
	s_add_nc_u64 s[6:7], s[6:7], 4
	v_cmp_gt_i32_e32 vcc_lo, 32, v13
	s_lshl_b64 s[0:1], s[0:1], 3
	v_lshlrev_b32_e32 v23, 2, v12
	s_sub_nc_u64 s[18:19], s[18:19], s[0:1]
	v_cmp_neq_f32_e64 s0, 0, v6
	v_cndmask_b32_e32 v13, v1, v13, vcc_lo
	v_cmp_gt_i32_e32 vcc_lo, 32, v14
	v_cmp_neq_f32_e64 s1, 0, v7
	s_delay_alu instid0(VALU_DEP_3) | instskip(SKIP_4) | instid1(VALU_DEP_3)
	v_dual_mov_b32 v11, v6 :: v_dual_lshlrev_b32 v24, 2, v13
	v_cndmask_b32_e32 v1, v1, v14, vcc_lo
	v_cmp_eq_u32_e32 vcc_lo, 15, v10
	v_xor_b32_e32 v10, 0x80000000, v7
	s_or_b32 s1, s0, s1
	v_dual_lshlrev_b32 v25, 2, v1 :: v_dual_mov_b32 v1, v4
	s_branch .LBB91_5
.LBB91_3:                               ;   in Loop: Header=BB91_5 Depth=1
	s_wait_xcnt 0x0
	s_or_b32 exec_lo, exec_lo, s22
	global_store_b64 v[12:13], v[14:15], off
.LBB91_4:                               ;   in Loop: Header=BB91_5 Depth=1
	s_wait_xcnt 0x0
	s_or_b32 exec_lo, exec_lo, s0
	v_add_nc_u64_e32 v[2:3], s[10:11], v[2:3]
	s_delay_alu instid0(VALU_DEP_1) | instskip(SKIP_1) | instid1(SALU_CYCLE_1)
	v_cmp_le_i64_e64 s0, s[8:9], v[2:3]
	s_or_b32 s21, s0, s21
	s_and_not1_b32 exec_lo, exec_lo, s21
	s_cbranch_execz .LBB91_12
.LBB91_5:                               ; =>This Loop Header: Depth=1
                                        ;     Child Loop BB91_7 Depth 2
	v_lshlrev_b64_e32 v[12:13], 3, v[2:3]
	s_mov_b32 s22, exec_lo
	s_wait_dscnt 0x0
	s_delay_alu instid0(VALU_DEP_1)
	v_add_nc_u64_e32 v[14:15], s[14:15], v[12:13]
	v_add_nc_u64_e32 v[12:13], s[12:13], v[12:13]
	global_load_b64 v[16:17], v[14:15], off
	global_load_b64 v[18:19], v[12:13], off
	s_wait_xcnt 0x0
	v_dual_mov_b32 v13, 0 :: v_dual_mov_b32 v12, 0
	s_wait_loadcnt 0x1
	v_sub_nc_u64_e64 v[14:15], v[16:17], s[16:17]
	s_wait_loadcnt 0x0
	v_add_nc_u64_e32 v[16:17], v[18:19], v[8:9]
	s_delay_alu instid0(VALU_DEP_1)
	v_cmpx_lt_i64_e64 v[16:17], v[14:15]
	s_cbranch_execz .LBB91_9
; %bb.6:                                ;   in Loop: Header=BB91_5 Depth=1
	v_lshlrev_b64_e32 v[20:21], 3, v[16:17]
	v_mov_b32_e32 v12, 0
	s_mov_b32 s23, 0
	s_delay_alu instid0(VALU_DEP_1) | instskip(NEXT) | instid1(VALU_DEP_3)
	v_mov_b32_e32 v13, v12
	v_add_nc_u64_e32 v[18:19], s[6:7], v[20:21]
	v_add_nc_u64_e32 v[20:21], s[4:5], v[20:21]
.LBB91_7:                               ;   Parent Loop BB91_5 Depth=1
                                        ; =>  This Inner Loop Header: Depth=2
	global_load_b64 v[26:27], v[20:21], off
	global_load_b64 v[28:29], v[18:19], off offset:-4
	v_add_nc_u64_e32 v[16:17], 16, v[16:17]
	s_wait_xcnt 0x0
	v_add_nc_u64_e32 v[18:19], 0x80, v[18:19]
	v_add_nc_u64_e32 v[20:21], 0x80, v[20:21]
	s_delay_alu instid0(VALU_DEP_3)
	v_cmp_ge_i64_e64 s0, v[16:17], v[14:15]
	s_or_b32 s23, s0, s23
	s_wait_loadcnt 0x1
	v_lshl_add_u64 v[26:27], v[26:27], 3, s[18:19]
	s_wait_loadcnt 0x0
	v_cndmask_b32_e64 v30, v29, -v29, s20
	global_load_b64 v[26:27], v[26:27], off
	v_pk_mul_f32 v[30:31], v[30:31], v[0:1] op_sel_hi:[0,1]
	s_delay_alu instid0(VALU_DEP_1) | instskip(SKIP_1) | instid1(VALU_DEP_1)
	v_pk_fma_f32 v[28:29], v[4:5], v[28:29], v[30:31] op_sel_hi:[1,0,1]
	s_wait_loadcnt 0x0
	v_pk_fma_f32 v[12:13], v[28:29], v[26:27], v[12:13] op_sel_hi:[1,0,1]
	s_delay_alu instid0(VALU_DEP_1)
	v_pk_fma_f32 v[12:13], v[28:29], v[26:27], v[12:13] op_sel:[1,1,0] op_sel_hi:[0,1,1] neg_lo:[1,0,0]
	s_wait_xcnt 0x0
	s_and_not1_b32 exec_lo, exec_lo, s23
	s_cbranch_execnz .LBB91_7
; %bb.8:                                ;   in Loop: Header=BB91_5 Depth=1
	s_or_b32 exec_lo, exec_lo, s23
.LBB91_9:                               ;   in Loop: Header=BB91_5 Depth=1
	s_delay_alu instid0(SALU_CYCLE_1)
	s_or_b32 exec_lo, exec_lo, s22
	ds_bpermute_b32 v14, v22, v12
	ds_bpermute_b32 v15, v22, v13
	s_wait_dscnt 0x0
	v_pk_add_f32 v[12:13], v[12:13], v[14:15]
	ds_bpermute_b32 v14, v23, v12
	ds_bpermute_b32 v15, v23, v13
	s_wait_dscnt 0x0
	v_pk_add_f32 v[12:13], v[12:13], v[14:15]
	;; [unrolled: 4-line block ×3, first 2 shown]
	ds_bpermute_b32 v14, v25, v12
	ds_bpermute_b32 v15, v25, v13
	s_and_saveexec_b32 s0, vcc_lo
	s_cbranch_execz .LBB91_4
; %bb.10:                               ;   in Loop: Header=BB91_5 Depth=1
	s_wait_dscnt 0x0
	v_pk_add_f32 v[14:15], v[12:13], v[14:15]
	v_lshl_add_u64 v[12:13], v[2:3], 3, s[2:3]
	s_and_saveexec_b32 s22, s1
	s_cbranch_execz .LBB91_3
; %bb.11:                               ;   in Loop: Header=BB91_5 Depth=1
	global_load_b64 v[16:17], v[12:13], off
	s_wait_loadcnt 0x0
	v_pk_fma_f32 v[14:15], v[6:7], v[16:17], v[14:15] op_sel_hi:[1,0,1]
	s_delay_alu instid0(VALU_DEP_1)
	v_pk_fma_f32 v[14:15], v[10:11], v[16:17], v[14:15] op_sel:[0,1,0]
	s_branch .LBB91_3
.LBB91_12:
	s_endpgm
	.section	.rodata,"a",@progbits
	.p2align	6, 0x0
	.amdhsa_kernel _ZN9rocsparseL21csrmvn_general_kernelILj256ELj16Ell21rocsparse_complex_numIfES2_S2_S2_EEvbT2_NS_24const_host_device_scalarIT6_EEPKT1_S9_PKS3_PKT3_PKT4_S6_PT5_21rocsparse_index_base_b
		.amdhsa_group_segment_fixed_size 0
		.amdhsa_private_segment_fixed_size 0
		.amdhsa_kernarg_size 344
		.amdhsa_user_sgpr_count 2
		.amdhsa_user_sgpr_dispatch_ptr 0
		.amdhsa_user_sgpr_queue_ptr 0
		.amdhsa_user_sgpr_kernarg_segment_ptr 1
		.amdhsa_user_sgpr_dispatch_id 0
		.amdhsa_user_sgpr_kernarg_preload_length 0
		.amdhsa_user_sgpr_kernarg_preload_offset 0
		.amdhsa_user_sgpr_private_segment_size 0
		.amdhsa_wavefront_size32 1
		.amdhsa_uses_dynamic_stack 0
		.amdhsa_enable_private_segment 0
		.amdhsa_system_sgpr_workgroup_id_x 1
		.amdhsa_system_sgpr_workgroup_id_y 0
		.amdhsa_system_sgpr_workgroup_id_z 0
		.amdhsa_system_sgpr_workgroup_info 0
		.amdhsa_system_vgpr_workitem_id 0
		.amdhsa_next_free_vgpr 32
		.amdhsa_next_free_sgpr 24
		.amdhsa_named_barrier_count 0
		.amdhsa_reserve_vcc 1
		.amdhsa_float_round_mode_32 0
		.amdhsa_float_round_mode_16_64 0
		.amdhsa_float_denorm_mode_32 3
		.amdhsa_float_denorm_mode_16_64 3
		.amdhsa_fp16_overflow 0
		.amdhsa_memory_ordered 1
		.amdhsa_forward_progress 1
		.amdhsa_inst_pref_size 8
		.amdhsa_round_robin_scheduling 0
		.amdhsa_exception_fp_ieee_invalid_op 0
		.amdhsa_exception_fp_denorm_src 0
		.amdhsa_exception_fp_ieee_div_zero 0
		.amdhsa_exception_fp_ieee_overflow 0
		.amdhsa_exception_fp_ieee_underflow 0
		.amdhsa_exception_fp_ieee_inexact 0
		.amdhsa_exception_int_div_zero 0
	.end_amdhsa_kernel
	.section	.text._ZN9rocsparseL21csrmvn_general_kernelILj256ELj16Ell21rocsparse_complex_numIfES2_S2_S2_EEvbT2_NS_24const_host_device_scalarIT6_EEPKT1_S9_PKS3_PKT3_PKT4_S6_PT5_21rocsparse_index_base_b,"axG",@progbits,_ZN9rocsparseL21csrmvn_general_kernelILj256ELj16Ell21rocsparse_complex_numIfES2_S2_S2_EEvbT2_NS_24const_host_device_scalarIT6_EEPKT1_S9_PKS3_PKT3_PKT4_S6_PT5_21rocsparse_index_base_b,comdat
.Lfunc_end91:
	.size	_ZN9rocsparseL21csrmvn_general_kernelILj256ELj16Ell21rocsparse_complex_numIfES2_S2_S2_EEvbT2_NS_24const_host_device_scalarIT6_EEPKT1_S9_PKS3_PKT3_PKT4_S6_PT5_21rocsparse_index_base_b, .Lfunc_end91-_ZN9rocsparseL21csrmvn_general_kernelILj256ELj16Ell21rocsparse_complex_numIfES2_S2_S2_EEvbT2_NS_24const_host_device_scalarIT6_EEPKT1_S9_PKS3_PKT3_PKT4_S6_PT5_21rocsparse_index_base_b
                                        ; -- End function
	.set _ZN9rocsparseL21csrmvn_general_kernelILj256ELj16Ell21rocsparse_complex_numIfES2_S2_S2_EEvbT2_NS_24const_host_device_scalarIT6_EEPKT1_S9_PKS3_PKT3_PKT4_S6_PT5_21rocsparse_index_base_b.num_vgpr, 32
	.set _ZN9rocsparseL21csrmvn_general_kernelILj256ELj16Ell21rocsparse_complex_numIfES2_S2_S2_EEvbT2_NS_24const_host_device_scalarIT6_EEPKT1_S9_PKS3_PKT3_PKT4_S6_PT5_21rocsparse_index_base_b.num_agpr, 0
	.set _ZN9rocsparseL21csrmvn_general_kernelILj256ELj16Ell21rocsparse_complex_numIfES2_S2_S2_EEvbT2_NS_24const_host_device_scalarIT6_EEPKT1_S9_PKS3_PKT3_PKT4_S6_PT5_21rocsparse_index_base_b.numbered_sgpr, 24
	.set _ZN9rocsparseL21csrmvn_general_kernelILj256ELj16Ell21rocsparse_complex_numIfES2_S2_S2_EEvbT2_NS_24const_host_device_scalarIT6_EEPKT1_S9_PKS3_PKT3_PKT4_S6_PT5_21rocsparse_index_base_b.num_named_barrier, 0
	.set _ZN9rocsparseL21csrmvn_general_kernelILj256ELj16Ell21rocsparse_complex_numIfES2_S2_S2_EEvbT2_NS_24const_host_device_scalarIT6_EEPKT1_S9_PKS3_PKT3_PKT4_S6_PT5_21rocsparse_index_base_b.private_seg_size, 0
	.set _ZN9rocsparseL21csrmvn_general_kernelILj256ELj16Ell21rocsparse_complex_numIfES2_S2_S2_EEvbT2_NS_24const_host_device_scalarIT6_EEPKT1_S9_PKS3_PKT3_PKT4_S6_PT5_21rocsparse_index_base_b.uses_vcc, 1
	.set _ZN9rocsparseL21csrmvn_general_kernelILj256ELj16Ell21rocsparse_complex_numIfES2_S2_S2_EEvbT2_NS_24const_host_device_scalarIT6_EEPKT1_S9_PKS3_PKT3_PKT4_S6_PT5_21rocsparse_index_base_b.uses_flat_scratch, 1
	.set _ZN9rocsparseL21csrmvn_general_kernelILj256ELj16Ell21rocsparse_complex_numIfES2_S2_S2_EEvbT2_NS_24const_host_device_scalarIT6_EEPKT1_S9_PKS3_PKT3_PKT4_S6_PT5_21rocsparse_index_base_b.has_dyn_sized_stack, 0
	.set _ZN9rocsparseL21csrmvn_general_kernelILj256ELj16Ell21rocsparse_complex_numIfES2_S2_S2_EEvbT2_NS_24const_host_device_scalarIT6_EEPKT1_S9_PKS3_PKT3_PKT4_S6_PT5_21rocsparse_index_base_b.has_recursion, 0
	.set _ZN9rocsparseL21csrmvn_general_kernelILj256ELj16Ell21rocsparse_complex_numIfES2_S2_S2_EEvbT2_NS_24const_host_device_scalarIT6_EEPKT1_S9_PKS3_PKT3_PKT4_S6_PT5_21rocsparse_index_base_b.has_indirect_call, 0
	.section	.AMDGPU.csdata,"",@progbits
; Kernel info:
; codeLenInByte = 1012
; TotalNumSgprs: 26
; NumVgprs: 32
; ScratchSize: 0
; MemoryBound: 0
; FloatMode: 240
; IeeeMode: 1
; LDSByteSize: 0 bytes/workgroup (compile time only)
; SGPRBlocks: 0
; VGPRBlocks: 1
; NumSGPRsForWavesPerEU: 26
; NumVGPRsForWavesPerEU: 32
; NamedBarCnt: 0
; Occupancy: 16
; WaveLimiterHint : 1
; COMPUTE_PGM_RSRC2:SCRATCH_EN: 0
; COMPUTE_PGM_RSRC2:USER_SGPR: 2
; COMPUTE_PGM_RSRC2:TRAP_HANDLER: 0
; COMPUTE_PGM_RSRC2:TGID_X_EN: 1
; COMPUTE_PGM_RSRC2:TGID_Y_EN: 0
; COMPUTE_PGM_RSRC2:TGID_Z_EN: 0
; COMPUTE_PGM_RSRC2:TIDIG_COMP_CNT: 0
	.section	.text._ZN9rocsparseL21csrmvn_general_kernelILj256ELj32Ell21rocsparse_complex_numIfES2_S2_S2_EEvbT2_NS_24const_host_device_scalarIT6_EEPKT1_S9_PKS3_PKT3_PKT4_S6_PT5_21rocsparse_index_base_b,"axG",@progbits,_ZN9rocsparseL21csrmvn_general_kernelILj256ELj32Ell21rocsparse_complex_numIfES2_S2_S2_EEvbT2_NS_24const_host_device_scalarIT6_EEPKT1_S9_PKS3_PKT3_PKT4_S6_PT5_21rocsparse_index_base_b,comdat
	.globl	_ZN9rocsparseL21csrmvn_general_kernelILj256ELj32Ell21rocsparse_complex_numIfES2_S2_S2_EEvbT2_NS_24const_host_device_scalarIT6_EEPKT1_S9_PKS3_PKT3_PKT4_S6_PT5_21rocsparse_index_base_b ; -- Begin function _ZN9rocsparseL21csrmvn_general_kernelILj256ELj32Ell21rocsparse_complex_numIfES2_S2_S2_EEvbT2_NS_24const_host_device_scalarIT6_EEPKT1_S9_PKS3_PKT3_PKT4_S6_PT5_21rocsparse_index_base_b
	.p2align	8
	.type	_ZN9rocsparseL21csrmvn_general_kernelILj256ELj32Ell21rocsparse_complex_numIfES2_S2_S2_EEvbT2_NS_24const_host_device_scalarIT6_EEPKT1_S9_PKS3_PKT3_PKT4_S6_PT5_21rocsparse_index_base_b,@function
_ZN9rocsparseL21csrmvn_general_kernelILj256ELj32Ell21rocsparse_complex_numIfES2_S2_S2_EEvbT2_NS_24const_host_device_scalarIT6_EEPKT1_S9_PKS3_PKT3_PKT4_S6_PT5_21rocsparse_index_base_b: ; @_ZN9rocsparseL21csrmvn_general_kernelILj256ELj32Ell21rocsparse_complex_numIfES2_S2_S2_EEvbT2_NS_24const_host_device_scalarIT6_EEPKT1_S9_PKS3_PKT3_PKT4_S6_PT5_21rocsparse_index_base_b
; %bb.0:
	s_clause 0x2
	s_load_b64 s[16:17], s[0:1], 0x50
	s_load_b256 s[8:15], s[0:1], 0x8
	s_load_b64 s[2:3], s[0:1], 0x40
	v_mov_b32_e32 v3, 0
	s_add_nc_u64 s[4:5], s[0:1], 16
	s_add_nc_u64 s[6:7], s[0:1], 64
	s_wait_kmcnt 0x0
	s_bitcmp1_b32 s17, 0
	s_cselect_b32 s5, s5, s11
	s_cselect_b32 s4, s4, s10
	;; [unrolled: 1-line block ×4, first 2 shown]
	s_clause 0x1
	flat_load_b64 v[4:5], v3, s[4:5]
	flat_load_b64 v[6:7], v3, s[2:3]
	s_wait_loadcnt_dscnt 0x101
	v_cmp_neq_f32_e32 vcc_lo, 0, v4
	s_wait_xcnt 0x0
	v_cmp_neq_f32_e64 s2, 0, v5
	s_wait_loadcnt_dscnt 0x0
	v_cmp_neq_f32_e64 s3, 1.0, v6
	v_cmp_neq_f32_e64 s4, 0, v7
	s_or_b32 s2, vcc_lo, s2
	s_or_b32 s3, s3, s4
	s_delay_alu instid0(SALU_CYCLE_1) | instskip(NEXT) | instid1(SALU_CYCLE_1)
	s_or_b32 s2, s2, s3
	s_and_saveexec_b32 s3, s2
	s_cbranch_execz .LBB92_12
; %bb.1:
	s_bfe_u32 s2, ttmp6, 0x4000c
	s_and_b32 s3, ttmp6, 15
	s_add_co_i32 s2, s2, 1
	s_getreg_b32 s4, hwreg(HW_REG_IB_STS2, 6, 4)
	s_mul_i32 s2, ttmp9, s2
	s_delay_alu instid0(SALU_CYCLE_1) | instskip(SKIP_2) | instid1(SALU_CYCLE_1)
	s_add_co_i32 s3, s3, s2
	s_cmp_eq_u32 s4, 0
	s_cselect_b32 s2, ttmp9, s3
	v_lshl_or_b32 v1, s2, 8, v0
	s_delay_alu instid0(VALU_DEP_1) | instskip(NEXT) | instid1(VALU_DEP_1)
	v_lshrrev_b32_e32 v2, 5, v1
	v_cmp_gt_i64_e32 vcc_lo, s[8:9], v[2:3]
	s_and_b32 exec_lo, exec_lo, vcc_lo
	s_cbranch_execz .LBB92_12
; %bb.2:
	v_dual_mov_b32 v11, 0 :: v_dual_bitop2_b32 v10, 31, v0 bitop3:0x40
	v_mbcnt_lo_u32_b32 v1, -1, 0
	s_mov_b32 s11, 0
	s_clause 0x4
	s_load_b32 s10, s[0:1], 0x58
	s_load_b32 s20, s[0:1], 0x0
	s_load_b128 s[4:7], s[0:1], 0x28
	s_load_b64 s[2:3], s[0:1], 0x48
	s_load_b64 s[18:19], s[0:1], 0x38
	s_mov_b32 s17, s11
	s_wait_xcnt 0x0
	s_mov_b32 s0, s16
	v_sub_nc_u64_e64 v[8:9], v[10:11], s[16:17]
	v_xor_b32_e32 v12, 8, v1
	v_xor_b32_e32 v11, 16, v1
	;; [unrolled: 1-line block ×3, first 2 shown]
	s_mov_b32 s21, s11
	s_delay_alu instid0(VALU_DEP_2)
	v_cmp_gt_i32_e32 vcc_lo, 32, v11
	v_dual_cndmask_b32 v11, v1, v11, vcc_lo :: v_dual_bitop2_b32 v15, 1, v1 bitop3:0x14
	v_cmp_gt_i32_e32 vcc_lo, 32, v12
	s_wait_kmcnt 0x0
	s_lshl_b32 s10, s10, 3
	s_bitcmp1_b32 s20, 0
	v_dual_lshlrev_b32 v22, 2, v11 :: v_dual_bitop2_b32 v14, 2, v1 bitop3:0x14
	v_dual_cndmask_b32 v12, v1, v12, vcc_lo :: v_dual_bitop2_b32 v13, 4, v1 bitop3:0x14
	s_cselect_b32 s20, -1, 0
	s_ashr_i32 s1, s16, 31
	s_add_nc_u64 s[6:7], s[6:7], 4
	s_delay_alu instid0(VALU_DEP_1)
	v_cmp_gt_i32_e32 vcc_lo, 32, v13
	s_lshl_b64 s[0:1], s[0:1], 3
	v_lshlrev_b32_e32 v23, 2, v12
	s_sub_nc_u64 s[18:19], s[18:19], s[0:1]
	v_cmp_neq_f32_e64 s0, 0, v6
	v_cndmask_b32_e32 v13, v1, v13, vcc_lo
	v_cmp_gt_i32_e32 vcc_lo, 32, v14
	v_cmp_neq_f32_e64 s1, 0, v7
	v_dual_mov_b32 v11, v6 :: v_dual_cndmask_b32 v14, v1, v14
	v_cmp_gt_i32_e32 vcc_lo, 32, v15
	v_lshlrev_b32_e32 v24, 2, v13
	s_or_b32 s1, s0, s1
	s_delay_alu instid0(VALU_DEP_3) | instskip(SKIP_2) | instid1(VALU_DEP_3)
	v_dual_lshlrev_b32 v25, 2, v14 :: v_dual_cndmask_b32 v1, v1, v15, vcc_lo
	v_cmp_eq_u32_e32 vcc_lo, 31, v10
	v_xor_b32_e32 v10, 0x80000000, v7
	v_dual_mov_b32 v1, v4 :: v_dual_lshlrev_b32 v26, 2, v1
	s_branch .LBB92_5
.LBB92_3:                               ;   in Loop: Header=BB92_5 Depth=1
	s_wait_xcnt 0x0
	s_or_b32 exec_lo, exec_lo, s22
	global_store_b64 v[12:13], v[14:15], off
.LBB92_4:                               ;   in Loop: Header=BB92_5 Depth=1
	s_wait_xcnt 0x0
	s_or_b32 exec_lo, exec_lo, s0
	v_add_nc_u64_e32 v[2:3], s[10:11], v[2:3]
	s_delay_alu instid0(VALU_DEP_1) | instskip(SKIP_1) | instid1(SALU_CYCLE_1)
	v_cmp_le_i64_e64 s0, s[8:9], v[2:3]
	s_or_b32 s21, s0, s21
	s_and_not1_b32 exec_lo, exec_lo, s21
	s_cbranch_execz .LBB92_12
.LBB92_5:                               ; =>This Loop Header: Depth=1
                                        ;     Child Loop BB92_7 Depth 2
	v_lshlrev_b64_e32 v[12:13], 3, v[2:3]
	s_mov_b32 s22, exec_lo
	s_wait_dscnt 0x0
	s_delay_alu instid0(VALU_DEP_1)
	v_add_nc_u64_e32 v[14:15], s[14:15], v[12:13]
	v_add_nc_u64_e32 v[12:13], s[12:13], v[12:13]
	global_load_b64 v[16:17], v[14:15], off
	global_load_b64 v[18:19], v[12:13], off
	s_wait_xcnt 0x0
	v_dual_mov_b32 v13, 0 :: v_dual_mov_b32 v12, 0
	s_wait_loadcnt 0x1
	v_sub_nc_u64_e64 v[14:15], v[16:17], s[16:17]
	s_wait_loadcnt 0x0
	v_add_nc_u64_e32 v[16:17], v[18:19], v[8:9]
	s_delay_alu instid0(VALU_DEP_1)
	v_cmpx_lt_i64_e64 v[16:17], v[14:15]
	s_cbranch_execz .LBB92_9
; %bb.6:                                ;   in Loop: Header=BB92_5 Depth=1
	v_lshlrev_b64_e32 v[20:21], 3, v[16:17]
	v_mov_b32_e32 v13, 0
	s_mov_b32 s23, 0
	s_delay_alu instid0(VALU_DEP_1) | instskip(NEXT) | instid1(VALU_DEP_3)
	v_mov_b32_e32 v12, v13
	v_add_nc_u64_e32 v[18:19], s[6:7], v[20:21]
	v_add_nc_u64_e32 v[20:21], s[4:5], v[20:21]
.LBB92_7:                               ;   Parent Loop BB92_5 Depth=1
                                        ; =>  This Inner Loop Header: Depth=2
	global_load_b64 v[28:29], v[20:21], off
	global_load_b64 v[30:31], v[18:19], off offset:-4
	v_add_nc_u64_e32 v[16:17], 32, v[16:17]
	s_wait_xcnt 0x0
	v_add_nc_u64_e32 v[18:19], 0x100, v[18:19]
	v_add_nc_u64_e32 v[20:21], 0x100, v[20:21]
	s_delay_alu instid0(VALU_DEP_3)
	v_cmp_ge_i64_e64 s0, v[16:17], v[14:15]
	s_or_b32 s23, s0, s23
	s_wait_loadcnt 0x1
	v_lshl_add_u64 v[28:29], v[28:29], 3, s[18:19]
	s_wait_loadcnt 0x0
	v_cndmask_b32_e64 v32, v31, -v31, s20
	global_load_b64 v[28:29], v[28:29], off
	v_pk_mul_f32 v[32:33], v[32:33], v[0:1] op_sel_hi:[0,1]
	s_delay_alu instid0(VALU_DEP_1) | instskip(SKIP_1) | instid1(VALU_DEP_1)
	v_pk_fma_f32 v[30:31], v[4:5], v[30:31], v[32:33] op_sel_hi:[1,0,1]
	s_wait_loadcnt 0x0
	v_pk_fma_f32 v[12:13], v[30:31], v[28:29], v[12:13] op_sel_hi:[1,0,1]
	s_delay_alu instid0(VALU_DEP_1)
	v_pk_fma_f32 v[12:13], v[30:31], v[28:29], v[12:13] op_sel:[1,1,0] op_sel_hi:[0,1,1] neg_lo:[1,0,0]
	s_wait_xcnt 0x0
	s_and_not1_b32 exec_lo, exec_lo, s23
	s_cbranch_execnz .LBB92_7
; %bb.8:                                ;   in Loop: Header=BB92_5 Depth=1
	s_or_b32 exec_lo, exec_lo, s23
.LBB92_9:                               ;   in Loop: Header=BB92_5 Depth=1
	s_delay_alu instid0(SALU_CYCLE_1)
	s_or_b32 exec_lo, exec_lo, s22
	ds_bpermute_b32 v14, v22, v12
	ds_bpermute_b32 v15, v22, v13
	s_wait_dscnt 0x0
	v_pk_add_f32 v[12:13], v[12:13], v[14:15]
	ds_bpermute_b32 v14, v23, v12
	ds_bpermute_b32 v15, v23, v13
	s_wait_dscnt 0x0
	v_pk_add_f32 v[12:13], v[12:13], v[14:15]
	;; [unrolled: 4-line block ×4, first 2 shown]
	ds_bpermute_b32 v14, v26, v12
	ds_bpermute_b32 v15, v26, v13
	s_and_saveexec_b32 s0, vcc_lo
	s_cbranch_execz .LBB92_4
; %bb.10:                               ;   in Loop: Header=BB92_5 Depth=1
	s_wait_dscnt 0x0
	v_pk_add_f32 v[14:15], v[12:13], v[14:15]
	v_lshl_add_u64 v[12:13], v[2:3], 3, s[2:3]
	s_and_saveexec_b32 s22, s1
	s_cbranch_execz .LBB92_3
; %bb.11:                               ;   in Loop: Header=BB92_5 Depth=1
	global_load_b64 v[16:17], v[12:13], off
	s_wait_loadcnt 0x0
	v_pk_fma_f32 v[14:15], v[6:7], v[16:17], v[14:15] op_sel_hi:[1,0,1]
	s_delay_alu instid0(VALU_DEP_1)
	v_pk_fma_f32 v[14:15], v[10:11], v[16:17], v[14:15] op_sel:[0,1,0]
	s_branch .LBB92_3
.LBB92_12:
	s_endpgm
	.section	.rodata,"a",@progbits
	.p2align	6, 0x0
	.amdhsa_kernel _ZN9rocsparseL21csrmvn_general_kernelILj256ELj32Ell21rocsparse_complex_numIfES2_S2_S2_EEvbT2_NS_24const_host_device_scalarIT6_EEPKT1_S9_PKS3_PKT3_PKT4_S6_PT5_21rocsparse_index_base_b
		.amdhsa_group_segment_fixed_size 0
		.amdhsa_private_segment_fixed_size 0
		.amdhsa_kernarg_size 344
		.amdhsa_user_sgpr_count 2
		.amdhsa_user_sgpr_dispatch_ptr 0
		.amdhsa_user_sgpr_queue_ptr 0
		.amdhsa_user_sgpr_kernarg_segment_ptr 1
		.amdhsa_user_sgpr_dispatch_id 0
		.amdhsa_user_sgpr_kernarg_preload_length 0
		.amdhsa_user_sgpr_kernarg_preload_offset 0
		.amdhsa_user_sgpr_private_segment_size 0
		.amdhsa_wavefront_size32 1
		.amdhsa_uses_dynamic_stack 0
		.amdhsa_enable_private_segment 0
		.amdhsa_system_sgpr_workgroup_id_x 1
		.amdhsa_system_sgpr_workgroup_id_y 0
		.amdhsa_system_sgpr_workgroup_id_z 0
		.amdhsa_system_sgpr_workgroup_info 0
		.amdhsa_system_vgpr_workitem_id 0
		.amdhsa_next_free_vgpr 34
		.amdhsa_next_free_sgpr 24
		.amdhsa_named_barrier_count 0
		.amdhsa_reserve_vcc 1
		.amdhsa_float_round_mode_32 0
		.amdhsa_float_round_mode_16_64 0
		.amdhsa_float_denorm_mode_32 3
		.amdhsa_float_denorm_mode_16_64 3
		.amdhsa_fp16_overflow 0
		.amdhsa_memory_ordered 1
		.amdhsa_forward_progress 1
		.amdhsa_inst_pref_size 9
		.amdhsa_round_robin_scheduling 0
		.amdhsa_exception_fp_ieee_invalid_op 0
		.amdhsa_exception_fp_denorm_src 0
		.amdhsa_exception_fp_ieee_div_zero 0
		.amdhsa_exception_fp_ieee_overflow 0
		.amdhsa_exception_fp_ieee_underflow 0
		.amdhsa_exception_fp_ieee_inexact 0
		.amdhsa_exception_int_div_zero 0
	.end_amdhsa_kernel
	.section	.text._ZN9rocsparseL21csrmvn_general_kernelILj256ELj32Ell21rocsparse_complex_numIfES2_S2_S2_EEvbT2_NS_24const_host_device_scalarIT6_EEPKT1_S9_PKS3_PKT3_PKT4_S6_PT5_21rocsparse_index_base_b,"axG",@progbits,_ZN9rocsparseL21csrmvn_general_kernelILj256ELj32Ell21rocsparse_complex_numIfES2_S2_S2_EEvbT2_NS_24const_host_device_scalarIT6_EEPKT1_S9_PKS3_PKT3_PKT4_S6_PT5_21rocsparse_index_base_b,comdat
.Lfunc_end92:
	.size	_ZN9rocsparseL21csrmvn_general_kernelILj256ELj32Ell21rocsparse_complex_numIfES2_S2_S2_EEvbT2_NS_24const_host_device_scalarIT6_EEPKT1_S9_PKS3_PKT3_PKT4_S6_PT5_21rocsparse_index_base_b, .Lfunc_end92-_ZN9rocsparseL21csrmvn_general_kernelILj256ELj32Ell21rocsparse_complex_numIfES2_S2_S2_EEvbT2_NS_24const_host_device_scalarIT6_EEPKT1_S9_PKS3_PKT3_PKT4_S6_PT5_21rocsparse_index_base_b
                                        ; -- End function
	.set _ZN9rocsparseL21csrmvn_general_kernelILj256ELj32Ell21rocsparse_complex_numIfES2_S2_S2_EEvbT2_NS_24const_host_device_scalarIT6_EEPKT1_S9_PKS3_PKT3_PKT4_S6_PT5_21rocsparse_index_base_b.num_vgpr, 34
	.set _ZN9rocsparseL21csrmvn_general_kernelILj256ELj32Ell21rocsparse_complex_numIfES2_S2_S2_EEvbT2_NS_24const_host_device_scalarIT6_EEPKT1_S9_PKS3_PKT3_PKT4_S6_PT5_21rocsparse_index_base_b.num_agpr, 0
	.set _ZN9rocsparseL21csrmvn_general_kernelILj256ELj32Ell21rocsparse_complex_numIfES2_S2_S2_EEvbT2_NS_24const_host_device_scalarIT6_EEPKT1_S9_PKS3_PKT3_PKT4_S6_PT5_21rocsparse_index_base_b.numbered_sgpr, 24
	.set _ZN9rocsparseL21csrmvn_general_kernelILj256ELj32Ell21rocsparse_complex_numIfES2_S2_S2_EEvbT2_NS_24const_host_device_scalarIT6_EEPKT1_S9_PKS3_PKT3_PKT4_S6_PT5_21rocsparse_index_base_b.num_named_barrier, 0
	.set _ZN9rocsparseL21csrmvn_general_kernelILj256ELj32Ell21rocsparse_complex_numIfES2_S2_S2_EEvbT2_NS_24const_host_device_scalarIT6_EEPKT1_S9_PKS3_PKT3_PKT4_S6_PT5_21rocsparse_index_base_b.private_seg_size, 0
	.set _ZN9rocsparseL21csrmvn_general_kernelILj256ELj32Ell21rocsparse_complex_numIfES2_S2_S2_EEvbT2_NS_24const_host_device_scalarIT6_EEPKT1_S9_PKS3_PKT3_PKT4_S6_PT5_21rocsparse_index_base_b.uses_vcc, 1
	.set _ZN9rocsparseL21csrmvn_general_kernelILj256ELj32Ell21rocsparse_complex_numIfES2_S2_S2_EEvbT2_NS_24const_host_device_scalarIT6_EEPKT1_S9_PKS3_PKT3_PKT4_S6_PT5_21rocsparse_index_base_b.uses_flat_scratch, 1
	.set _ZN9rocsparseL21csrmvn_general_kernelILj256ELj32Ell21rocsparse_complex_numIfES2_S2_S2_EEvbT2_NS_24const_host_device_scalarIT6_EEPKT1_S9_PKS3_PKT3_PKT4_S6_PT5_21rocsparse_index_base_b.has_dyn_sized_stack, 0
	.set _ZN9rocsparseL21csrmvn_general_kernelILj256ELj32Ell21rocsparse_complex_numIfES2_S2_S2_EEvbT2_NS_24const_host_device_scalarIT6_EEPKT1_S9_PKS3_PKT3_PKT4_S6_PT5_21rocsparse_index_base_b.has_recursion, 0
	.set _ZN9rocsparseL21csrmvn_general_kernelILj256ELj32Ell21rocsparse_complex_numIfES2_S2_S2_EEvbT2_NS_24const_host_device_scalarIT6_EEPKT1_S9_PKS3_PKT3_PKT4_S6_PT5_21rocsparse_index_base_b.has_indirect_call, 0
	.section	.AMDGPU.csdata,"",@progbits
; Kernel info:
; codeLenInByte = 1064
; TotalNumSgprs: 26
; NumVgprs: 34
; ScratchSize: 0
; MemoryBound: 0
; FloatMode: 240
; IeeeMode: 1
; LDSByteSize: 0 bytes/workgroup (compile time only)
; SGPRBlocks: 0
; VGPRBlocks: 2
; NumSGPRsForWavesPerEU: 26
; NumVGPRsForWavesPerEU: 34
; NamedBarCnt: 0
; Occupancy: 16
; WaveLimiterHint : 1
; COMPUTE_PGM_RSRC2:SCRATCH_EN: 0
; COMPUTE_PGM_RSRC2:USER_SGPR: 2
; COMPUTE_PGM_RSRC2:TRAP_HANDLER: 0
; COMPUTE_PGM_RSRC2:TGID_X_EN: 1
; COMPUTE_PGM_RSRC2:TGID_Y_EN: 0
; COMPUTE_PGM_RSRC2:TGID_Z_EN: 0
; COMPUTE_PGM_RSRC2:TIDIG_COMP_CNT: 0
	.section	.text._ZN9rocsparseL21csrmvn_general_kernelILj256ELj64Ell21rocsparse_complex_numIfES2_S2_S2_EEvbT2_NS_24const_host_device_scalarIT6_EEPKT1_S9_PKS3_PKT3_PKT4_S6_PT5_21rocsparse_index_base_b,"axG",@progbits,_ZN9rocsparseL21csrmvn_general_kernelILj256ELj64Ell21rocsparse_complex_numIfES2_S2_S2_EEvbT2_NS_24const_host_device_scalarIT6_EEPKT1_S9_PKS3_PKT3_PKT4_S6_PT5_21rocsparse_index_base_b,comdat
	.globl	_ZN9rocsparseL21csrmvn_general_kernelILj256ELj64Ell21rocsparse_complex_numIfES2_S2_S2_EEvbT2_NS_24const_host_device_scalarIT6_EEPKT1_S9_PKS3_PKT3_PKT4_S6_PT5_21rocsparse_index_base_b ; -- Begin function _ZN9rocsparseL21csrmvn_general_kernelILj256ELj64Ell21rocsparse_complex_numIfES2_S2_S2_EEvbT2_NS_24const_host_device_scalarIT6_EEPKT1_S9_PKS3_PKT3_PKT4_S6_PT5_21rocsparse_index_base_b
	.p2align	8
	.type	_ZN9rocsparseL21csrmvn_general_kernelILj256ELj64Ell21rocsparse_complex_numIfES2_S2_S2_EEvbT2_NS_24const_host_device_scalarIT6_EEPKT1_S9_PKS3_PKT3_PKT4_S6_PT5_21rocsparse_index_base_b,@function
_ZN9rocsparseL21csrmvn_general_kernelILj256ELj64Ell21rocsparse_complex_numIfES2_S2_S2_EEvbT2_NS_24const_host_device_scalarIT6_EEPKT1_S9_PKS3_PKT3_PKT4_S6_PT5_21rocsparse_index_base_b: ; @_ZN9rocsparseL21csrmvn_general_kernelILj256ELj64Ell21rocsparse_complex_numIfES2_S2_S2_EEvbT2_NS_24const_host_device_scalarIT6_EEPKT1_S9_PKS3_PKT3_PKT4_S6_PT5_21rocsparse_index_base_b
; %bb.0:
	s_clause 0x2
	s_load_b64 s[16:17], s[0:1], 0x50
	s_load_b256 s[8:15], s[0:1], 0x8
	s_load_b64 s[2:3], s[0:1], 0x40
	v_mov_b32_e32 v3, 0
	s_add_nc_u64 s[4:5], s[0:1], 16
	s_add_nc_u64 s[6:7], s[0:1], 64
	s_wait_kmcnt 0x0
	s_bitcmp1_b32 s17, 0
	s_cselect_b32 s5, s5, s11
	s_cselect_b32 s4, s4, s10
	;; [unrolled: 1-line block ×4, first 2 shown]
	s_clause 0x1
	flat_load_b64 v[4:5], v3, s[4:5]
	flat_load_b64 v[6:7], v3, s[2:3]
	s_wait_loadcnt_dscnt 0x101
	v_cmp_neq_f32_e32 vcc_lo, 0, v4
	s_wait_xcnt 0x0
	v_cmp_neq_f32_e64 s2, 0, v5
	s_wait_loadcnt_dscnt 0x0
	v_cmp_neq_f32_e64 s3, 1.0, v6
	v_cmp_neq_f32_e64 s4, 0, v7
	s_or_b32 s2, vcc_lo, s2
	s_or_b32 s3, s3, s4
	s_delay_alu instid0(SALU_CYCLE_1) | instskip(NEXT) | instid1(SALU_CYCLE_1)
	s_or_b32 s2, s2, s3
	s_and_saveexec_b32 s3, s2
	s_cbranch_execz .LBB93_12
; %bb.1:
	s_bfe_u32 s2, ttmp6, 0x4000c
	s_and_b32 s3, ttmp6, 15
	s_add_co_i32 s2, s2, 1
	s_getreg_b32 s4, hwreg(HW_REG_IB_STS2, 6, 4)
	s_mul_i32 s2, ttmp9, s2
	s_delay_alu instid0(SALU_CYCLE_1) | instskip(SKIP_2) | instid1(SALU_CYCLE_1)
	s_add_co_i32 s3, s3, s2
	s_cmp_eq_u32 s4, 0
	s_cselect_b32 s2, ttmp9, s3
	v_lshl_or_b32 v1, s2, 8, v0
	s_delay_alu instid0(VALU_DEP_1) | instskip(NEXT) | instid1(VALU_DEP_1)
	v_lshrrev_b32_e32 v2, 6, v1
	v_cmp_gt_i64_e32 vcc_lo, s[8:9], v[2:3]
	s_and_b32 exec_lo, exec_lo, vcc_lo
	s_cbranch_execz .LBB93_12
; %bb.2:
	v_dual_mov_b32 v11, 0 :: v_dual_bitop2_b32 v10, 63, v0 bitop3:0x40
	v_mbcnt_lo_u32_b32 v1, -1, 0
	s_mov_b32 s11, 0
	s_clause 0x4
	s_load_b32 s10, s[0:1], 0x58
	s_load_b32 s20, s[0:1], 0x0
	s_load_b128 s[4:7], s[0:1], 0x28
	s_load_b64 s[2:3], s[0:1], 0x48
	s_load_b64 s[18:19], s[0:1], 0x38
	s_mov_b32 s17, s11
	s_wait_xcnt 0x0
	s_mov_b32 s0, s16
	v_sub_nc_u64_e64 v[8:9], v[10:11], s[16:17]
	v_xor_b32_e32 v12, 16, v1
	v_or_b32_e32 v11, 32, v1
	v_xor_b32_e32 v0, 0x80000000, v5
	s_mov_b32 s21, s11
	s_delay_alu instid0(VALU_DEP_2)
	v_cmp_gt_i32_e32 vcc_lo, 32, v11
	v_dual_cndmask_b32 v11, v1, v11, vcc_lo :: v_dual_bitop2_b32 v13, 8, v1 bitop3:0x14
	v_cmp_gt_i32_e32 vcc_lo, 32, v12
	s_wait_kmcnt 0x0
	s_lshl_b32 s10, s10, 2
	s_bitcmp1_b32 s20, 0
	v_dual_lshlrev_b32 v22, 2, v11 :: v_dual_bitop2_b32 v11, 2, v1 bitop3:0x14
	v_dual_cndmask_b32 v12, v1, v12, vcc_lo :: v_dual_bitop2_b32 v14, 4, v1 bitop3:0x14
	v_cmp_gt_i32_e32 vcc_lo, 32, v13
	v_xor_b32_e32 v15, 1, v1
	s_cselect_b32 s20, -1, 0
	s_ashr_i32 s1, s16, 31
	v_dual_lshlrev_b32 v23, 2, v12 :: v_dual_cndmask_b32 v13, v1, v13, vcc_lo
	v_cmp_gt_i32_e32 vcc_lo, 32, v14
	s_lshl_b64 s[0:1], s[0:1], 3
	s_add_nc_u64 s[6:7], s[6:7], 4
	s_sub_nc_u64 s[18:19], s[18:19], s[0:1]
	v_cmp_neq_f32_e64 s0, 0, v6
	v_cndmask_b32_e32 v14, v1, v14, vcc_lo
	v_cmp_gt_i32_e32 vcc_lo, 32, v11
	v_cmp_neq_f32_e64 s1, 0, v7
	s_delay_alu instid0(VALU_DEP_3) | instskip(SKIP_3) | instid1(VALU_DEP_3)
	v_dual_lshlrev_b32 v25, 2, v14 :: v_dual_cndmask_b32 v11, v1, v11, vcc_lo
	v_cmp_gt_i32_e32 vcc_lo, 32, v15
	s_or_b32 s1, s0, s1
	v_dual_cndmask_b32 v1, v1, v15 :: v_dual_lshlrev_b32 v24, 2, v13
	v_lshlrev_b32_e32 v26, 2, v11
	v_cmp_eq_u32_e32 vcc_lo, 63, v10
	v_xor_b32_e32 v10, 0x80000000, v7
	s_delay_alu instid0(VALU_DEP_4)
	v_dual_lshlrev_b32 v27, 2, v1 :: v_dual_mov_b32 v11, v6
	v_mov_b32_e32 v1, v4
	s_branch .LBB93_5
.LBB93_3:                               ;   in Loop: Header=BB93_5 Depth=1
	s_wait_xcnt 0x0
	s_or_b32 exec_lo, exec_lo, s22
	global_store_b64 v[12:13], v[14:15], off
.LBB93_4:                               ;   in Loop: Header=BB93_5 Depth=1
	s_wait_xcnt 0x0
	s_or_b32 exec_lo, exec_lo, s0
	v_add_nc_u64_e32 v[2:3], s[10:11], v[2:3]
	s_delay_alu instid0(VALU_DEP_1) | instskip(SKIP_1) | instid1(SALU_CYCLE_1)
	v_cmp_le_i64_e64 s0, s[8:9], v[2:3]
	s_or_b32 s21, s0, s21
	s_and_not1_b32 exec_lo, exec_lo, s21
	s_cbranch_execz .LBB93_12
.LBB93_5:                               ; =>This Loop Header: Depth=1
                                        ;     Child Loop BB93_7 Depth 2
	v_lshlrev_b64_e32 v[12:13], 3, v[2:3]
	s_mov_b32 s22, exec_lo
	s_wait_dscnt 0x0
	s_delay_alu instid0(VALU_DEP_1)
	v_add_nc_u64_e32 v[14:15], s[14:15], v[12:13]
	v_add_nc_u64_e32 v[12:13], s[12:13], v[12:13]
	global_load_b64 v[16:17], v[14:15], off
	global_load_b64 v[18:19], v[12:13], off
	s_wait_xcnt 0x0
	v_dual_mov_b32 v13, 0 :: v_dual_mov_b32 v12, 0
	s_wait_loadcnt 0x1
	v_sub_nc_u64_e64 v[14:15], v[16:17], s[16:17]
	s_wait_loadcnt 0x0
	v_add_nc_u64_e32 v[16:17], v[18:19], v[8:9]
	s_delay_alu instid0(VALU_DEP_1)
	v_cmpx_lt_i64_e64 v[16:17], v[14:15]
	s_cbranch_execz .LBB93_9
; %bb.6:                                ;   in Loop: Header=BB93_5 Depth=1
	v_lshlrev_b64_e32 v[20:21], 3, v[16:17]
	v_mov_b32_e32 v12, 0
	s_mov_b32 s23, 0
	s_delay_alu instid0(VALU_DEP_1) | instskip(NEXT) | instid1(VALU_DEP_3)
	v_mov_b32_e32 v13, v12
	v_add_nc_u64_e32 v[18:19], s[6:7], v[20:21]
	v_add_nc_u64_e32 v[20:21], s[4:5], v[20:21]
.LBB93_7:                               ;   Parent Loop BB93_5 Depth=1
                                        ; =>  This Inner Loop Header: Depth=2
	global_load_b64 v[28:29], v[20:21], off
	global_load_b64 v[30:31], v[18:19], off offset:-4
	v_add_nc_u64_e32 v[16:17], 64, v[16:17]
	s_wait_xcnt 0x0
	v_add_nc_u64_e32 v[18:19], 0x200, v[18:19]
	v_add_nc_u64_e32 v[20:21], 0x200, v[20:21]
	s_delay_alu instid0(VALU_DEP_3)
	v_cmp_ge_i64_e64 s0, v[16:17], v[14:15]
	s_or_b32 s23, s0, s23
	s_wait_loadcnt 0x1
	v_lshl_add_u64 v[28:29], v[28:29], 3, s[18:19]
	s_wait_loadcnt 0x0
	v_cndmask_b32_e64 v32, v31, -v31, s20
	global_load_b64 v[28:29], v[28:29], off
	v_pk_mul_f32 v[32:33], v[32:33], v[0:1] op_sel_hi:[0,1]
	s_delay_alu instid0(VALU_DEP_1) | instskip(SKIP_1) | instid1(VALU_DEP_1)
	v_pk_fma_f32 v[30:31], v[4:5], v[30:31], v[32:33] op_sel_hi:[1,0,1]
	s_wait_loadcnt 0x0
	v_pk_fma_f32 v[12:13], v[30:31], v[28:29], v[12:13] op_sel_hi:[1,0,1]
	s_delay_alu instid0(VALU_DEP_1)
	v_pk_fma_f32 v[12:13], v[30:31], v[28:29], v[12:13] op_sel:[1,1,0] op_sel_hi:[0,1,1] neg_lo:[1,0,0]
	s_wait_xcnt 0x0
	s_and_not1_b32 exec_lo, exec_lo, s23
	s_cbranch_execnz .LBB93_7
; %bb.8:                                ;   in Loop: Header=BB93_5 Depth=1
	s_or_b32 exec_lo, exec_lo, s23
.LBB93_9:                               ;   in Loop: Header=BB93_5 Depth=1
	s_delay_alu instid0(SALU_CYCLE_1)
	s_or_b32 exec_lo, exec_lo, s22
	ds_bpermute_b32 v14, v22, v12
	ds_bpermute_b32 v15, v22, v13
	s_wait_dscnt 0x0
	v_pk_add_f32 v[12:13], v[12:13], v[14:15]
	ds_bpermute_b32 v14, v23, v12
	ds_bpermute_b32 v15, v23, v13
	s_wait_dscnt 0x0
	v_pk_add_f32 v[12:13], v[12:13], v[14:15]
	;; [unrolled: 4-line block ×5, first 2 shown]
	ds_bpermute_b32 v14, v27, v12
	ds_bpermute_b32 v15, v27, v13
	s_and_saveexec_b32 s0, vcc_lo
	s_cbranch_execz .LBB93_4
; %bb.10:                               ;   in Loop: Header=BB93_5 Depth=1
	s_wait_dscnt 0x0
	v_pk_add_f32 v[14:15], v[12:13], v[14:15]
	v_lshl_add_u64 v[12:13], v[2:3], 3, s[2:3]
	s_and_saveexec_b32 s22, s1
	s_cbranch_execz .LBB93_3
; %bb.11:                               ;   in Loop: Header=BB93_5 Depth=1
	global_load_b64 v[16:17], v[12:13], off
	s_wait_loadcnt 0x0
	v_pk_fma_f32 v[14:15], v[6:7], v[16:17], v[14:15] op_sel_hi:[1,0,1]
	s_delay_alu instid0(VALU_DEP_1)
	v_pk_fma_f32 v[14:15], v[10:11], v[16:17], v[14:15] op_sel:[0,1,0]
	s_branch .LBB93_3
.LBB93_12:
	s_endpgm
	.section	.rodata,"a",@progbits
	.p2align	6, 0x0
	.amdhsa_kernel _ZN9rocsparseL21csrmvn_general_kernelILj256ELj64Ell21rocsparse_complex_numIfES2_S2_S2_EEvbT2_NS_24const_host_device_scalarIT6_EEPKT1_S9_PKS3_PKT3_PKT4_S6_PT5_21rocsparse_index_base_b
		.amdhsa_group_segment_fixed_size 0
		.amdhsa_private_segment_fixed_size 0
		.amdhsa_kernarg_size 344
		.amdhsa_user_sgpr_count 2
		.amdhsa_user_sgpr_dispatch_ptr 0
		.amdhsa_user_sgpr_queue_ptr 0
		.amdhsa_user_sgpr_kernarg_segment_ptr 1
		.amdhsa_user_sgpr_dispatch_id 0
		.amdhsa_user_sgpr_kernarg_preload_length 0
		.amdhsa_user_sgpr_kernarg_preload_offset 0
		.amdhsa_user_sgpr_private_segment_size 0
		.amdhsa_wavefront_size32 1
		.amdhsa_uses_dynamic_stack 0
		.amdhsa_enable_private_segment 0
		.amdhsa_system_sgpr_workgroup_id_x 1
		.amdhsa_system_sgpr_workgroup_id_y 0
		.amdhsa_system_sgpr_workgroup_id_z 0
		.amdhsa_system_sgpr_workgroup_info 0
		.amdhsa_system_vgpr_workitem_id 0
		.amdhsa_next_free_vgpr 34
		.amdhsa_next_free_sgpr 24
		.amdhsa_named_barrier_count 0
		.amdhsa_reserve_vcc 1
		.amdhsa_float_round_mode_32 0
		.amdhsa_float_round_mode_16_64 0
		.amdhsa_float_denorm_mode_32 3
		.amdhsa_float_denorm_mode_16_64 3
		.amdhsa_fp16_overflow 0
		.amdhsa_memory_ordered 1
		.amdhsa_forward_progress 1
		.amdhsa_inst_pref_size 9
		.amdhsa_round_robin_scheduling 0
		.amdhsa_exception_fp_ieee_invalid_op 0
		.amdhsa_exception_fp_denorm_src 0
		.amdhsa_exception_fp_ieee_div_zero 0
		.amdhsa_exception_fp_ieee_overflow 0
		.amdhsa_exception_fp_ieee_underflow 0
		.amdhsa_exception_fp_ieee_inexact 0
		.amdhsa_exception_int_div_zero 0
	.end_amdhsa_kernel
	.section	.text._ZN9rocsparseL21csrmvn_general_kernelILj256ELj64Ell21rocsparse_complex_numIfES2_S2_S2_EEvbT2_NS_24const_host_device_scalarIT6_EEPKT1_S9_PKS3_PKT3_PKT4_S6_PT5_21rocsparse_index_base_b,"axG",@progbits,_ZN9rocsparseL21csrmvn_general_kernelILj256ELj64Ell21rocsparse_complex_numIfES2_S2_S2_EEvbT2_NS_24const_host_device_scalarIT6_EEPKT1_S9_PKS3_PKT3_PKT4_S6_PT5_21rocsparse_index_base_b,comdat
.Lfunc_end93:
	.size	_ZN9rocsparseL21csrmvn_general_kernelILj256ELj64Ell21rocsparse_complex_numIfES2_S2_S2_EEvbT2_NS_24const_host_device_scalarIT6_EEPKT1_S9_PKS3_PKT3_PKT4_S6_PT5_21rocsparse_index_base_b, .Lfunc_end93-_ZN9rocsparseL21csrmvn_general_kernelILj256ELj64Ell21rocsparse_complex_numIfES2_S2_S2_EEvbT2_NS_24const_host_device_scalarIT6_EEPKT1_S9_PKS3_PKT3_PKT4_S6_PT5_21rocsparse_index_base_b
                                        ; -- End function
	.set _ZN9rocsparseL21csrmvn_general_kernelILj256ELj64Ell21rocsparse_complex_numIfES2_S2_S2_EEvbT2_NS_24const_host_device_scalarIT6_EEPKT1_S9_PKS3_PKT3_PKT4_S6_PT5_21rocsparse_index_base_b.num_vgpr, 34
	.set _ZN9rocsparseL21csrmvn_general_kernelILj256ELj64Ell21rocsparse_complex_numIfES2_S2_S2_EEvbT2_NS_24const_host_device_scalarIT6_EEPKT1_S9_PKS3_PKT3_PKT4_S6_PT5_21rocsparse_index_base_b.num_agpr, 0
	.set _ZN9rocsparseL21csrmvn_general_kernelILj256ELj64Ell21rocsparse_complex_numIfES2_S2_S2_EEvbT2_NS_24const_host_device_scalarIT6_EEPKT1_S9_PKS3_PKT3_PKT4_S6_PT5_21rocsparse_index_base_b.numbered_sgpr, 24
	.set _ZN9rocsparseL21csrmvn_general_kernelILj256ELj64Ell21rocsparse_complex_numIfES2_S2_S2_EEvbT2_NS_24const_host_device_scalarIT6_EEPKT1_S9_PKS3_PKT3_PKT4_S6_PT5_21rocsparse_index_base_b.num_named_barrier, 0
	.set _ZN9rocsparseL21csrmvn_general_kernelILj256ELj64Ell21rocsparse_complex_numIfES2_S2_S2_EEvbT2_NS_24const_host_device_scalarIT6_EEPKT1_S9_PKS3_PKT3_PKT4_S6_PT5_21rocsparse_index_base_b.private_seg_size, 0
	.set _ZN9rocsparseL21csrmvn_general_kernelILj256ELj64Ell21rocsparse_complex_numIfES2_S2_S2_EEvbT2_NS_24const_host_device_scalarIT6_EEPKT1_S9_PKS3_PKT3_PKT4_S6_PT5_21rocsparse_index_base_b.uses_vcc, 1
	.set _ZN9rocsparseL21csrmvn_general_kernelILj256ELj64Ell21rocsparse_complex_numIfES2_S2_S2_EEvbT2_NS_24const_host_device_scalarIT6_EEPKT1_S9_PKS3_PKT3_PKT4_S6_PT5_21rocsparse_index_base_b.uses_flat_scratch, 1
	.set _ZN9rocsparseL21csrmvn_general_kernelILj256ELj64Ell21rocsparse_complex_numIfES2_S2_S2_EEvbT2_NS_24const_host_device_scalarIT6_EEPKT1_S9_PKS3_PKT3_PKT4_S6_PT5_21rocsparse_index_base_b.has_dyn_sized_stack, 0
	.set _ZN9rocsparseL21csrmvn_general_kernelILj256ELj64Ell21rocsparse_complex_numIfES2_S2_S2_EEvbT2_NS_24const_host_device_scalarIT6_EEPKT1_S9_PKS3_PKT3_PKT4_S6_PT5_21rocsparse_index_base_b.has_recursion, 0
	.set _ZN9rocsparseL21csrmvn_general_kernelILj256ELj64Ell21rocsparse_complex_numIfES2_S2_S2_EEvbT2_NS_24const_host_device_scalarIT6_EEPKT1_S9_PKS3_PKT3_PKT4_S6_PT5_21rocsparse_index_base_b.has_indirect_call, 0
	.section	.AMDGPU.csdata,"",@progbits
; Kernel info:
; codeLenInByte = 1116
; TotalNumSgprs: 26
; NumVgprs: 34
; ScratchSize: 0
; MemoryBound: 0
; FloatMode: 240
; IeeeMode: 1
; LDSByteSize: 0 bytes/workgroup (compile time only)
; SGPRBlocks: 0
; VGPRBlocks: 2
; NumSGPRsForWavesPerEU: 26
; NumVGPRsForWavesPerEU: 34
; NamedBarCnt: 0
; Occupancy: 16
; WaveLimiterHint : 1
; COMPUTE_PGM_RSRC2:SCRATCH_EN: 0
; COMPUTE_PGM_RSRC2:USER_SGPR: 2
; COMPUTE_PGM_RSRC2:TRAP_HANDLER: 0
; COMPUTE_PGM_RSRC2:TGID_X_EN: 1
; COMPUTE_PGM_RSRC2:TGID_Y_EN: 0
; COMPUTE_PGM_RSRC2:TGID_Z_EN: 0
; COMPUTE_PGM_RSRC2:TIDIG_COMP_CNT: 0
	.section	.text._ZN9rocsparseL21csrmvt_general_kernelILj256ELj4Ell21rocsparse_complex_numIfES2_S2_S2_EEvbbT2_NS_24const_host_device_scalarIT6_EEPKT1_S9_PKS3_PKT3_PKT4_PT5_21rocsparse_index_base_b,"axG",@progbits,_ZN9rocsparseL21csrmvt_general_kernelILj256ELj4Ell21rocsparse_complex_numIfES2_S2_S2_EEvbbT2_NS_24const_host_device_scalarIT6_EEPKT1_S9_PKS3_PKT3_PKT4_PT5_21rocsparse_index_base_b,comdat
	.globl	_ZN9rocsparseL21csrmvt_general_kernelILj256ELj4Ell21rocsparse_complex_numIfES2_S2_S2_EEvbbT2_NS_24const_host_device_scalarIT6_EEPKT1_S9_PKS3_PKT3_PKT4_PT5_21rocsparse_index_base_b ; -- Begin function _ZN9rocsparseL21csrmvt_general_kernelILj256ELj4Ell21rocsparse_complex_numIfES2_S2_S2_EEvbbT2_NS_24const_host_device_scalarIT6_EEPKT1_S9_PKS3_PKT3_PKT4_PT5_21rocsparse_index_base_b
	.p2align	8
	.type	_ZN9rocsparseL21csrmvt_general_kernelILj256ELj4Ell21rocsparse_complex_numIfES2_S2_S2_EEvbbT2_NS_24const_host_device_scalarIT6_EEPKT1_S9_PKS3_PKT3_PKT4_PT5_21rocsparse_index_base_b,@function
_ZN9rocsparseL21csrmvt_general_kernelILj256ELj4Ell21rocsparse_complex_numIfES2_S2_S2_EEvbbT2_NS_24const_host_device_scalarIT6_EEPKT1_S9_PKS3_PKT3_PKT4_PT5_21rocsparse_index_base_b: ; @_ZN9rocsparseL21csrmvt_general_kernelILj256ELj4Ell21rocsparse_complex_numIfES2_S2_S2_EEvbbT2_NS_24const_host_device_scalarIT6_EEPKT1_S9_PKS3_PKT3_PKT4_PT5_21rocsparse_index_base_b
; %bb.0:
	s_clause 0x1
	s_load_b64 s[20:21], s[0:1], 0x48
	s_load_b256 s[4:11], s[0:1], 0x8
	v_mov_b32_e32 v3, 0
	s_add_nc_u64 s[2:3], s[0:1], 16
	s_wait_kmcnt 0x0
	s_bitcmp1_b32 s21, 0
	s_cselect_b32 s3, s3, s7
	s_cselect_b32 s2, s2, s6
	flat_load_b64 v[4:5], v3, s[2:3]
	s_wait_xcnt 0x0
	s_mov_b32 s3, 0
	s_wait_loadcnt_dscnt 0x0
	v_cmp_neq_f32_e32 vcc_lo, 0, v4
	v_cmp_neq_f32_e64 s2, 0, v5
	s_or_b32 s2, vcc_lo, s2
	s_delay_alu instid0(SALU_CYCLE_1)
	s_and_saveexec_b32 s6, s2
	s_cbranch_execz .LBB94_18
; %bb.1:
	s_clause 0x1
	s_load_b32 s2, s[0:1], 0x0
	s_load_b32 s6, s[0:1], 0x50
	s_getreg_b32 s13, hwreg(HW_REG_IB_STS2, 6, 4)
	s_wait_kmcnt 0x0
	s_and_b32 s7, s2, 1
	s_bitcmp1_b32 s2, 8
	s_cselect_b32 s22, -1, 0
	s_bfe_u32 s12, ttmp6, 0x4000c
	s_lshl_b32 s2, s6, 6
	s_add_co_i32 s12, s12, 1
	s_and_b32 s6, ttmp6, 15
	s_mul_i32 s12, ttmp9, s12
	s_delay_alu instid0(SALU_CYCLE_1)
	s_add_co_i32 s6, s6, s12
	s_cmp_eq_u32 s13, 0
	s_load_b256 s[12:19], s[0:1], 0x28
	s_wait_xcnt 0x0
	s_cselect_b32 s0, ttmp9, s6
	s_cmp_eq_u32 s7, 0
	v_lshl_or_b32 v1, s0, 8, v0
	s_mov_b32 s1, -1
	s_delay_alu instid0(VALU_DEP_1) | instskip(NEXT) | instid1(VALU_DEP_1)
	v_dual_lshrrev_b32 v2, 2, v1 :: v_dual_bitop2_b32 v0, 3, v0 bitop3:0x40
	v_cmp_gt_i64_e64 s0, s[4:5], v[2:3]
	s_cbranch_scc0 .LBB94_9
; %bb.2:
	s_and_saveexec_b32 s1, s0
	s_cbranch_execz .LBB94_8
; %bb.3:
	v_mov_b32_e32 v1, 0
	s_mov_b32 s21, 0
	v_mov_b64_e32 v[8:9], v[2:3]
	s_wait_kmcnt 0x0
	s_add_nc_u64 s[6:7], s[14:15], 4
	s_mov_b32 s23, s21
	v_sub_nc_u64_e64 v[6:7], v[0:1], s[20:21]
	s_branch .LBB94_5
.LBB94_4:                               ;   in Loop: Header=BB94_5 Depth=1
	s_or_b32 exec_lo, exec_lo, s24
	v_add_nc_u64_e32 v[8:9], s[2:3], v[8:9]
	s_delay_alu instid0(VALU_DEP_1) | instskip(SKIP_1) | instid1(SALU_CYCLE_1)
	v_cmp_le_i64_e32 vcc_lo, s[4:5], v[8:9]
	s_or_b32 s23, vcc_lo, s23
	s_and_not1_b32 exec_lo, exec_lo, s23
	s_cbranch_execz .LBB94_8
.LBB94_5:                               ; =>This Loop Header: Depth=1
                                        ;     Child Loop BB94_7 Depth 2
	s_delay_alu instid0(VALU_DEP_2) | instskip(SKIP_1) | instid1(VALU_DEP_1)
	v_lshlrev_b64_e32 v[10:11], 3, v[8:9]
	s_mov_b32 s24, exec_lo
	v_add_nc_u64_e32 v[12:13], s[10:11], v[10:11]
	v_add_nc_u64_e32 v[10:11], s[8:9], v[10:11]
	global_load_b64 v[14:15], v[12:13], off
	global_load_b64 v[16:17], v[10:11], off
	s_wait_loadcnt 0x1
	s_wait_xcnt 0x0
	v_sub_nc_u64_e64 v[10:11], v[14:15], s[20:21]
	s_wait_loadcnt 0x0
	v_add_nc_u64_e32 v[12:13], v[16:17], v[6:7]
	s_delay_alu instid0(VALU_DEP_1)
	v_cmpx_lt_i64_e64 v[12:13], v[10:11]
	s_cbranch_execz .LBB94_4
; %bb.6:                                ;   in Loop: Header=BB94_5 Depth=1
	v_lshl_add_u64 v[14:15], v[8:9], 3, s[16:17]
	v_lshlrev_b64_e32 v[16:17], 3, v[12:13]
	s_mov_b32 s25, 0
	global_load_b64 v[20:21], v[14:15], off
	s_wait_xcnt 0x0
	v_add_nc_u64_e32 v[14:15], s[12:13], v[16:17]
	v_add_nc_u64_e32 v[16:17], s[6:7], v[16:17]
	s_wait_loadcnt 0x0
	v_mul_f32_e64 v1, v21, -v5
	s_delay_alu instid0(VALU_DEP_1) | instskip(NEXT) | instid1(VALU_DEP_1)
	v_dual_mul_f32 v18, v4, v21 :: v_dual_fmac_f32 v1, v4, v20
	v_fmac_f32_e32 v18, v5, v20
.LBB94_7:                               ;   Parent Loop BB94_5 Depth=1
                                        ; =>  This Inner Loop Header: Depth=2
	global_load_b64 v[20:21], v[16:17], off offset:-4
	global_load_b64 v[22:23], v[14:15], off
	v_add_nc_u64_e32 v[12:13], 4, v[12:13]
	s_wait_xcnt 0x0
	v_add_nc_u64_e32 v[14:15], 32, v[14:15]
	v_add_nc_u64_e32 v[16:17], 32, v[16:17]
	s_delay_alu instid0(VALU_DEP_3)
	v_cmp_ge_i64_e32 vcc_lo, v[12:13], v[10:11]
	s_or_b32 s25, vcc_lo, s25
	s_wait_loadcnt 0x1
	v_cndmask_b32_e64 v19, v21, -v21, s22
	s_wait_loadcnt 0x0
	v_sub_nc_u64_e64 v[22:23], v[22:23], s[20:21]
	s_delay_alu instid0(VALU_DEP_2) | instskip(NEXT) | instid1(VALU_DEP_2)
	v_dual_mul_f32 v21, v19, -v18 :: v_dual_mul_f32 v19, v1, v19
	v_lshl_add_u64 v[22:23], v[22:23], 3, s[18:19]
	s_delay_alu instid0(VALU_DEP_2)
	v_dual_fmac_f32 v21, v1, v20 :: v_dual_fmac_f32 v19, v18, v20
	global_atomic_add_f32 v[22:23], v21, off scope:SCOPE_DEV
	s_wait_xcnt 0x0
	global_atomic_add_f32 v[22:23], v19, off offset:4 scope:SCOPE_DEV
	s_wait_xcnt 0x0
	s_and_not1_b32 exec_lo, exec_lo, s25
	s_cbranch_execnz .LBB94_7
	s_branch .LBB94_4
.LBB94_8:
	s_or_b32 exec_lo, exec_lo, s1
	s_mov_b32 s1, 0
.LBB94_9:
	s_delay_alu instid0(SALU_CYCLE_1)
	s_and_not1_b32 vcc_lo, exec_lo, s1
	s_cbranch_vccnz .LBB94_18
; %bb.10:
	s_and_b32 exec_lo, exec_lo, s0
	s_cbranch_execz .LBB94_18
; %bb.11:
	v_mov_b32_e32 v1, 0
	s_mov_b32 s21, 0
	s_wait_kmcnt 0x0
	s_add_nc_u64 s[0:1], s[14:15], 4
	s_mov_b32 s6, s21
	v_sub_nc_u64_e64 v[0:1], v[0:1], s[20:21]
	s_branch .LBB94_13
.LBB94_12:                              ;   in Loop: Header=BB94_13 Depth=1
	s_or_b32 exec_lo, exec_lo, s7
	v_add_nc_u64_e32 v[2:3], s[2:3], v[2:3]
	s_delay_alu instid0(VALU_DEP_1) | instskip(SKIP_1) | instid1(SALU_CYCLE_1)
	v_cmp_le_i64_e32 vcc_lo, s[4:5], v[2:3]
	s_or_b32 s6, vcc_lo, s6
	s_and_not1_b32 exec_lo, exec_lo, s6
	s_cbranch_execz .LBB94_18
.LBB94_13:                              ; =>This Loop Header: Depth=1
                                        ;     Child Loop BB94_16 Depth 2
	v_lshlrev_b64_e32 v[6:7], 3, v[2:3]
	s_mov_b32 s7, exec_lo
	s_delay_alu instid0(VALU_DEP_1)
	v_add_nc_u64_e32 v[8:9], s[10:11], v[6:7]
	v_add_nc_u64_e32 v[6:7], s[8:9], v[6:7]
	global_load_b64 v[10:11], v[8:9], off
	global_load_b64 v[12:13], v[6:7], off
	s_wait_loadcnt 0x1
	s_wait_xcnt 0x0
	v_sub_nc_u64_e64 v[6:7], v[10:11], s[20:21]
	s_wait_loadcnt 0x0
	v_add_nc_u64_e32 v[8:9], v[12:13], v[0:1]
	s_delay_alu instid0(VALU_DEP_1)
	v_cmpx_lt_i64_e64 v[8:9], v[6:7]
	s_cbranch_execz .LBB94_12
; %bb.14:                               ;   in Loop: Header=BB94_13 Depth=1
	v_lshl_add_u64 v[10:11], v[2:3], 3, s[16:17]
	v_lshlrev_b64_e32 v[12:13], 3, v[8:9]
	s_mov_b32 s14, 0
	global_load_b64 v[14:15], v[10:11], off
	s_wait_xcnt 0x0
	v_add_nc_u64_e32 v[10:11], s[12:13], v[12:13]
	v_add_nc_u64_e32 v[12:13], s[0:1], v[12:13]
	s_wait_loadcnt 0x0
	v_dual_mul_f32 v16, v15, -v5 :: v_dual_mul_f32 v17, v4, v15
	s_delay_alu instid0(VALU_DEP_1)
	v_dual_fmac_f32 v16, v4, v14 :: v_dual_fmac_f32 v17, v5, v14
	s_branch .LBB94_16
.LBB94_15:                              ;   in Loop: Header=BB94_16 Depth=2
	s_wait_xcnt 0x0
	s_or_b32 exec_lo, exec_lo, s15
	v_add_nc_u64_e32 v[8:9], 4, v[8:9]
	v_add_nc_u64_e32 v[10:11], 32, v[10:11]
	;; [unrolled: 1-line block ×3, first 2 shown]
	s_delay_alu instid0(VALU_DEP_3) | instskip(SKIP_1) | instid1(SALU_CYCLE_1)
	v_cmp_ge_i64_e32 vcc_lo, v[8:9], v[6:7]
	s_or_b32 s14, vcc_lo, s14
	s_and_not1_b32 exec_lo, exec_lo, s14
	s_cbranch_execz .LBB94_12
.LBB94_16:                              ;   Parent Loop BB94_13 Depth=1
                                        ; =>  This Inner Loop Header: Depth=2
	global_load_b64 v[14:15], v[10:11], off
	s_mov_b32 s15, exec_lo
	s_wait_loadcnt 0x0
	v_sub_nc_u64_e64 v[14:15], v[14:15], s[20:21]
	s_wait_xcnt 0x0
	s_delay_alu instid0(VALU_DEP_1)
	v_cmpx_ne_u64_e64 v[14:15], v[2:3]
	s_cbranch_execz .LBB94_15
; %bb.17:                               ;   in Loop: Header=BB94_16 Depth=2
	global_load_b64 v[18:19], v[12:13], off offset:-4
	v_lshl_add_u64 v[14:15], v[14:15], 3, s[18:19]
	s_wait_loadcnt 0x0
	v_cndmask_b32_e64 v19, v19, -v19, s22
	s_delay_alu instid0(VALU_DEP_1) | instskip(NEXT) | instid1(VALU_DEP_1)
	v_mul_f32_e64 v20, v19, -v17
	v_dual_fmac_f32 v20, v16, v18 :: v_dual_mul_f32 v19, v16, v19
	s_delay_alu instid0(VALU_DEP_1)
	v_fmac_f32_e32 v19, v17, v18
	s_wait_xcnt 0x0
	global_atomic_add_f32 v[14:15], v20, off scope:SCOPE_DEV
	s_wait_xcnt 0x0
	global_atomic_add_f32 v[14:15], v19, off offset:4 scope:SCOPE_DEV
	s_branch .LBB94_15
.LBB94_18:
	s_endpgm
	.section	.rodata,"a",@progbits
	.p2align	6, 0x0
	.amdhsa_kernel _ZN9rocsparseL21csrmvt_general_kernelILj256ELj4Ell21rocsparse_complex_numIfES2_S2_S2_EEvbbT2_NS_24const_host_device_scalarIT6_EEPKT1_S9_PKS3_PKT3_PKT4_PT5_21rocsparse_index_base_b
		.amdhsa_group_segment_fixed_size 0
		.amdhsa_private_segment_fixed_size 0
		.amdhsa_kernarg_size 336
		.amdhsa_user_sgpr_count 2
		.amdhsa_user_sgpr_dispatch_ptr 0
		.amdhsa_user_sgpr_queue_ptr 0
		.amdhsa_user_sgpr_kernarg_segment_ptr 1
		.amdhsa_user_sgpr_dispatch_id 0
		.amdhsa_user_sgpr_kernarg_preload_length 0
		.amdhsa_user_sgpr_kernarg_preload_offset 0
		.amdhsa_user_sgpr_private_segment_size 0
		.amdhsa_wavefront_size32 1
		.amdhsa_uses_dynamic_stack 0
		.amdhsa_enable_private_segment 0
		.amdhsa_system_sgpr_workgroup_id_x 1
		.amdhsa_system_sgpr_workgroup_id_y 0
		.amdhsa_system_sgpr_workgroup_id_z 0
		.amdhsa_system_sgpr_workgroup_info 0
		.amdhsa_system_vgpr_workitem_id 0
		.amdhsa_next_free_vgpr 24
		.amdhsa_next_free_sgpr 26
		.amdhsa_named_barrier_count 0
		.amdhsa_reserve_vcc 1
		.amdhsa_float_round_mode_32 0
		.amdhsa_float_round_mode_16_64 0
		.amdhsa_float_denorm_mode_32 3
		.amdhsa_float_denorm_mode_16_64 3
		.amdhsa_fp16_overflow 0
		.amdhsa_memory_ordered 1
		.amdhsa_forward_progress 1
		.amdhsa_inst_pref_size 9
		.amdhsa_round_robin_scheduling 0
		.amdhsa_exception_fp_ieee_invalid_op 0
		.amdhsa_exception_fp_denorm_src 0
		.amdhsa_exception_fp_ieee_div_zero 0
		.amdhsa_exception_fp_ieee_overflow 0
		.amdhsa_exception_fp_ieee_underflow 0
		.amdhsa_exception_fp_ieee_inexact 0
		.amdhsa_exception_int_div_zero 0
	.end_amdhsa_kernel
	.section	.text._ZN9rocsparseL21csrmvt_general_kernelILj256ELj4Ell21rocsparse_complex_numIfES2_S2_S2_EEvbbT2_NS_24const_host_device_scalarIT6_EEPKT1_S9_PKS3_PKT3_PKT4_PT5_21rocsparse_index_base_b,"axG",@progbits,_ZN9rocsparseL21csrmvt_general_kernelILj256ELj4Ell21rocsparse_complex_numIfES2_S2_S2_EEvbbT2_NS_24const_host_device_scalarIT6_EEPKT1_S9_PKS3_PKT3_PKT4_PT5_21rocsparse_index_base_b,comdat
.Lfunc_end94:
	.size	_ZN9rocsparseL21csrmvt_general_kernelILj256ELj4Ell21rocsparse_complex_numIfES2_S2_S2_EEvbbT2_NS_24const_host_device_scalarIT6_EEPKT1_S9_PKS3_PKT3_PKT4_PT5_21rocsparse_index_base_b, .Lfunc_end94-_ZN9rocsparseL21csrmvt_general_kernelILj256ELj4Ell21rocsparse_complex_numIfES2_S2_S2_EEvbbT2_NS_24const_host_device_scalarIT6_EEPKT1_S9_PKS3_PKT3_PKT4_PT5_21rocsparse_index_base_b
                                        ; -- End function
	.set _ZN9rocsparseL21csrmvt_general_kernelILj256ELj4Ell21rocsparse_complex_numIfES2_S2_S2_EEvbbT2_NS_24const_host_device_scalarIT6_EEPKT1_S9_PKS3_PKT3_PKT4_PT5_21rocsparse_index_base_b.num_vgpr, 24
	.set _ZN9rocsparseL21csrmvt_general_kernelILj256ELj4Ell21rocsparse_complex_numIfES2_S2_S2_EEvbbT2_NS_24const_host_device_scalarIT6_EEPKT1_S9_PKS3_PKT3_PKT4_PT5_21rocsparse_index_base_b.num_agpr, 0
	.set _ZN9rocsparseL21csrmvt_general_kernelILj256ELj4Ell21rocsparse_complex_numIfES2_S2_S2_EEvbbT2_NS_24const_host_device_scalarIT6_EEPKT1_S9_PKS3_PKT3_PKT4_PT5_21rocsparse_index_base_b.numbered_sgpr, 26
	.set _ZN9rocsparseL21csrmvt_general_kernelILj256ELj4Ell21rocsparse_complex_numIfES2_S2_S2_EEvbbT2_NS_24const_host_device_scalarIT6_EEPKT1_S9_PKS3_PKT3_PKT4_PT5_21rocsparse_index_base_b.num_named_barrier, 0
	.set _ZN9rocsparseL21csrmvt_general_kernelILj256ELj4Ell21rocsparse_complex_numIfES2_S2_S2_EEvbbT2_NS_24const_host_device_scalarIT6_EEPKT1_S9_PKS3_PKT3_PKT4_PT5_21rocsparse_index_base_b.private_seg_size, 0
	.set _ZN9rocsparseL21csrmvt_general_kernelILj256ELj4Ell21rocsparse_complex_numIfES2_S2_S2_EEvbbT2_NS_24const_host_device_scalarIT6_EEPKT1_S9_PKS3_PKT3_PKT4_PT5_21rocsparse_index_base_b.uses_vcc, 1
	.set _ZN9rocsparseL21csrmvt_general_kernelILj256ELj4Ell21rocsparse_complex_numIfES2_S2_S2_EEvbbT2_NS_24const_host_device_scalarIT6_EEPKT1_S9_PKS3_PKT3_PKT4_PT5_21rocsparse_index_base_b.uses_flat_scratch, 0
	.set _ZN9rocsparseL21csrmvt_general_kernelILj256ELj4Ell21rocsparse_complex_numIfES2_S2_S2_EEvbbT2_NS_24const_host_device_scalarIT6_EEPKT1_S9_PKS3_PKT3_PKT4_PT5_21rocsparse_index_base_b.has_dyn_sized_stack, 0
	.set _ZN9rocsparseL21csrmvt_general_kernelILj256ELj4Ell21rocsparse_complex_numIfES2_S2_S2_EEvbbT2_NS_24const_host_device_scalarIT6_EEPKT1_S9_PKS3_PKT3_PKT4_PT5_21rocsparse_index_base_b.has_recursion, 0
	.set _ZN9rocsparseL21csrmvt_general_kernelILj256ELj4Ell21rocsparse_complex_numIfES2_S2_S2_EEvbbT2_NS_24const_host_device_scalarIT6_EEPKT1_S9_PKS3_PKT3_PKT4_PT5_21rocsparse_index_base_b.has_indirect_call, 0
	.section	.AMDGPU.csdata,"",@progbits
; Kernel info:
; codeLenInByte = 1048
; TotalNumSgprs: 28
; NumVgprs: 24
; ScratchSize: 0
; MemoryBound: 0
; FloatMode: 240
; IeeeMode: 1
; LDSByteSize: 0 bytes/workgroup (compile time only)
; SGPRBlocks: 0
; VGPRBlocks: 1
; NumSGPRsForWavesPerEU: 28
; NumVGPRsForWavesPerEU: 24
; NamedBarCnt: 0
; Occupancy: 16
; WaveLimiterHint : 1
; COMPUTE_PGM_RSRC2:SCRATCH_EN: 0
; COMPUTE_PGM_RSRC2:USER_SGPR: 2
; COMPUTE_PGM_RSRC2:TRAP_HANDLER: 0
; COMPUTE_PGM_RSRC2:TGID_X_EN: 1
; COMPUTE_PGM_RSRC2:TGID_Y_EN: 0
; COMPUTE_PGM_RSRC2:TGID_Z_EN: 0
; COMPUTE_PGM_RSRC2:TIDIG_COMP_CNT: 0
	.section	.text._ZN9rocsparseL21csrmvt_general_kernelILj256ELj8Ell21rocsparse_complex_numIfES2_S2_S2_EEvbbT2_NS_24const_host_device_scalarIT6_EEPKT1_S9_PKS3_PKT3_PKT4_PT5_21rocsparse_index_base_b,"axG",@progbits,_ZN9rocsparseL21csrmvt_general_kernelILj256ELj8Ell21rocsparse_complex_numIfES2_S2_S2_EEvbbT2_NS_24const_host_device_scalarIT6_EEPKT1_S9_PKS3_PKT3_PKT4_PT5_21rocsparse_index_base_b,comdat
	.globl	_ZN9rocsparseL21csrmvt_general_kernelILj256ELj8Ell21rocsparse_complex_numIfES2_S2_S2_EEvbbT2_NS_24const_host_device_scalarIT6_EEPKT1_S9_PKS3_PKT3_PKT4_PT5_21rocsparse_index_base_b ; -- Begin function _ZN9rocsparseL21csrmvt_general_kernelILj256ELj8Ell21rocsparse_complex_numIfES2_S2_S2_EEvbbT2_NS_24const_host_device_scalarIT6_EEPKT1_S9_PKS3_PKT3_PKT4_PT5_21rocsparse_index_base_b
	.p2align	8
	.type	_ZN9rocsparseL21csrmvt_general_kernelILj256ELj8Ell21rocsparse_complex_numIfES2_S2_S2_EEvbbT2_NS_24const_host_device_scalarIT6_EEPKT1_S9_PKS3_PKT3_PKT4_PT5_21rocsparse_index_base_b,@function
_ZN9rocsparseL21csrmvt_general_kernelILj256ELj8Ell21rocsparse_complex_numIfES2_S2_S2_EEvbbT2_NS_24const_host_device_scalarIT6_EEPKT1_S9_PKS3_PKT3_PKT4_PT5_21rocsparse_index_base_b: ; @_ZN9rocsparseL21csrmvt_general_kernelILj256ELj8Ell21rocsparse_complex_numIfES2_S2_S2_EEvbbT2_NS_24const_host_device_scalarIT6_EEPKT1_S9_PKS3_PKT3_PKT4_PT5_21rocsparse_index_base_b
; %bb.0:
	s_clause 0x1
	s_load_b64 s[20:21], s[0:1], 0x48
	s_load_b256 s[4:11], s[0:1], 0x8
	v_mov_b32_e32 v3, 0
	s_add_nc_u64 s[2:3], s[0:1], 16
	s_wait_kmcnt 0x0
	s_bitcmp1_b32 s21, 0
	s_cselect_b32 s3, s3, s7
	s_cselect_b32 s2, s2, s6
	flat_load_b64 v[4:5], v3, s[2:3]
	s_wait_xcnt 0x0
	s_mov_b32 s3, 0
	s_wait_loadcnt_dscnt 0x0
	v_cmp_neq_f32_e32 vcc_lo, 0, v4
	v_cmp_neq_f32_e64 s2, 0, v5
	s_or_b32 s2, vcc_lo, s2
	s_delay_alu instid0(SALU_CYCLE_1)
	s_and_saveexec_b32 s6, s2
	s_cbranch_execz .LBB95_18
; %bb.1:
	s_clause 0x1
	s_load_b32 s2, s[0:1], 0x0
	s_load_b32 s6, s[0:1], 0x50
	s_getreg_b32 s13, hwreg(HW_REG_IB_STS2, 6, 4)
	s_wait_kmcnt 0x0
	s_and_b32 s7, s2, 1
	s_bitcmp1_b32 s2, 8
	s_cselect_b32 s22, -1, 0
	s_bfe_u32 s12, ttmp6, 0x4000c
	s_lshl_b32 s2, s6, 5
	s_add_co_i32 s12, s12, 1
	s_and_b32 s6, ttmp6, 15
	s_mul_i32 s12, ttmp9, s12
	s_delay_alu instid0(SALU_CYCLE_1)
	s_add_co_i32 s6, s6, s12
	s_cmp_eq_u32 s13, 0
	s_load_b256 s[12:19], s[0:1], 0x28
	s_wait_xcnt 0x0
	s_cselect_b32 s0, ttmp9, s6
	s_cmp_eq_u32 s7, 0
	v_lshl_or_b32 v1, s0, 8, v0
	s_mov_b32 s1, -1
	s_delay_alu instid0(VALU_DEP_1) | instskip(NEXT) | instid1(VALU_DEP_1)
	v_dual_lshrrev_b32 v2, 3, v1 :: v_dual_bitop2_b32 v0, 7, v0 bitop3:0x40
	v_cmp_gt_i64_e64 s0, s[4:5], v[2:3]
	s_cbranch_scc0 .LBB95_9
; %bb.2:
	s_and_saveexec_b32 s1, s0
	s_cbranch_execz .LBB95_8
; %bb.3:
	v_mov_b32_e32 v1, 0
	s_mov_b32 s21, 0
	v_mov_b64_e32 v[8:9], v[2:3]
	s_wait_kmcnt 0x0
	s_add_nc_u64 s[6:7], s[14:15], 4
	s_mov_b32 s23, s21
	v_sub_nc_u64_e64 v[6:7], v[0:1], s[20:21]
	s_branch .LBB95_5
.LBB95_4:                               ;   in Loop: Header=BB95_5 Depth=1
	s_or_b32 exec_lo, exec_lo, s24
	v_add_nc_u64_e32 v[8:9], s[2:3], v[8:9]
	s_delay_alu instid0(VALU_DEP_1) | instskip(SKIP_1) | instid1(SALU_CYCLE_1)
	v_cmp_le_i64_e32 vcc_lo, s[4:5], v[8:9]
	s_or_b32 s23, vcc_lo, s23
	s_and_not1_b32 exec_lo, exec_lo, s23
	s_cbranch_execz .LBB95_8
.LBB95_5:                               ; =>This Loop Header: Depth=1
                                        ;     Child Loop BB95_7 Depth 2
	s_delay_alu instid0(VALU_DEP_2) | instskip(SKIP_1) | instid1(VALU_DEP_1)
	v_lshlrev_b64_e32 v[10:11], 3, v[8:9]
	s_mov_b32 s24, exec_lo
	v_add_nc_u64_e32 v[12:13], s[10:11], v[10:11]
	v_add_nc_u64_e32 v[10:11], s[8:9], v[10:11]
	global_load_b64 v[14:15], v[12:13], off
	global_load_b64 v[16:17], v[10:11], off
	s_wait_loadcnt 0x1
	s_wait_xcnt 0x0
	v_sub_nc_u64_e64 v[10:11], v[14:15], s[20:21]
	s_wait_loadcnt 0x0
	v_add_nc_u64_e32 v[12:13], v[16:17], v[6:7]
	s_delay_alu instid0(VALU_DEP_1)
	v_cmpx_lt_i64_e64 v[12:13], v[10:11]
	s_cbranch_execz .LBB95_4
; %bb.6:                                ;   in Loop: Header=BB95_5 Depth=1
	v_lshl_add_u64 v[14:15], v[8:9], 3, s[16:17]
	v_lshlrev_b64_e32 v[16:17], 3, v[12:13]
	s_mov_b32 s25, 0
	global_load_b64 v[20:21], v[14:15], off
	s_wait_xcnt 0x0
	v_add_nc_u64_e32 v[14:15], s[12:13], v[16:17]
	v_add_nc_u64_e32 v[16:17], s[6:7], v[16:17]
	s_wait_loadcnt 0x0
	v_mul_f32_e64 v1, v21, -v5
	s_delay_alu instid0(VALU_DEP_1) | instskip(NEXT) | instid1(VALU_DEP_1)
	v_dual_mul_f32 v18, v4, v21 :: v_dual_fmac_f32 v1, v4, v20
	v_fmac_f32_e32 v18, v5, v20
.LBB95_7:                               ;   Parent Loop BB95_5 Depth=1
                                        ; =>  This Inner Loop Header: Depth=2
	global_load_b64 v[20:21], v[16:17], off offset:-4
	global_load_b64 v[22:23], v[14:15], off
	v_add_nc_u64_e32 v[12:13], 8, v[12:13]
	s_wait_xcnt 0x0
	v_add_nc_u64_e32 v[14:15], 64, v[14:15]
	v_add_nc_u64_e32 v[16:17], 64, v[16:17]
	s_delay_alu instid0(VALU_DEP_3)
	v_cmp_ge_i64_e32 vcc_lo, v[12:13], v[10:11]
	s_or_b32 s25, vcc_lo, s25
	s_wait_loadcnt 0x1
	v_cndmask_b32_e64 v19, v21, -v21, s22
	s_wait_loadcnt 0x0
	v_sub_nc_u64_e64 v[22:23], v[22:23], s[20:21]
	s_delay_alu instid0(VALU_DEP_2) | instskip(NEXT) | instid1(VALU_DEP_2)
	v_dual_mul_f32 v21, v19, -v18 :: v_dual_mul_f32 v19, v1, v19
	v_lshl_add_u64 v[22:23], v[22:23], 3, s[18:19]
	s_delay_alu instid0(VALU_DEP_2)
	v_dual_fmac_f32 v21, v1, v20 :: v_dual_fmac_f32 v19, v18, v20
	global_atomic_add_f32 v[22:23], v21, off scope:SCOPE_DEV
	s_wait_xcnt 0x0
	global_atomic_add_f32 v[22:23], v19, off offset:4 scope:SCOPE_DEV
	s_wait_xcnt 0x0
	s_and_not1_b32 exec_lo, exec_lo, s25
	s_cbranch_execnz .LBB95_7
	s_branch .LBB95_4
.LBB95_8:
	s_or_b32 exec_lo, exec_lo, s1
	s_mov_b32 s1, 0
.LBB95_9:
	s_delay_alu instid0(SALU_CYCLE_1)
	s_and_not1_b32 vcc_lo, exec_lo, s1
	s_cbranch_vccnz .LBB95_18
; %bb.10:
	s_and_b32 exec_lo, exec_lo, s0
	s_cbranch_execz .LBB95_18
; %bb.11:
	v_mov_b32_e32 v1, 0
	s_mov_b32 s21, 0
	s_wait_kmcnt 0x0
	s_add_nc_u64 s[0:1], s[14:15], 4
	s_mov_b32 s6, s21
	v_sub_nc_u64_e64 v[0:1], v[0:1], s[20:21]
	s_branch .LBB95_13
.LBB95_12:                              ;   in Loop: Header=BB95_13 Depth=1
	s_or_b32 exec_lo, exec_lo, s7
	v_add_nc_u64_e32 v[2:3], s[2:3], v[2:3]
	s_delay_alu instid0(VALU_DEP_1) | instskip(SKIP_1) | instid1(SALU_CYCLE_1)
	v_cmp_le_i64_e32 vcc_lo, s[4:5], v[2:3]
	s_or_b32 s6, vcc_lo, s6
	s_and_not1_b32 exec_lo, exec_lo, s6
	s_cbranch_execz .LBB95_18
.LBB95_13:                              ; =>This Loop Header: Depth=1
                                        ;     Child Loop BB95_16 Depth 2
	v_lshlrev_b64_e32 v[6:7], 3, v[2:3]
	s_mov_b32 s7, exec_lo
	s_delay_alu instid0(VALU_DEP_1)
	v_add_nc_u64_e32 v[8:9], s[10:11], v[6:7]
	v_add_nc_u64_e32 v[6:7], s[8:9], v[6:7]
	global_load_b64 v[10:11], v[8:9], off
	global_load_b64 v[12:13], v[6:7], off
	s_wait_loadcnt 0x1
	s_wait_xcnt 0x0
	v_sub_nc_u64_e64 v[6:7], v[10:11], s[20:21]
	s_wait_loadcnt 0x0
	v_add_nc_u64_e32 v[8:9], v[12:13], v[0:1]
	s_delay_alu instid0(VALU_DEP_1)
	v_cmpx_lt_i64_e64 v[8:9], v[6:7]
	s_cbranch_execz .LBB95_12
; %bb.14:                               ;   in Loop: Header=BB95_13 Depth=1
	v_lshl_add_u64 v[10:11], v[2:3], 3, s[16:17]
	v_lshlrev_b64_e32 v[12:13], 3, v[8:9]
	s_mov_b32 s14, 0
	global_load_b64 v[14:15], v[10:11], off
	s_wait_xcnt 0x0
	v_add_nc_u64_e32 v[10:11], s[12:13], v[12:13]
	v_add_nc_u64_e32 v[12:13], s[0:1], v[12:13]
	s_wait_loadcnt 0x0
	v_dual_mul_f32 v16, v15, -v5 :: v_dual_mul_f32 v17, v4, v15
	s_delay_alu instid0(VALU_DEP_1)
	v_dual_fmac_f32 v16, v4, v14 :: v_dual_fmac_f32 v17, v5, v14
	s_branch .LBB95_16
.LBB95_15:                              ;   in Loop: Header=BB95_16 Depth=2
	s_wait_xcnt 0x0
	s_or_b32 exec_lo, exec_lo, s15
	v_add_nc_u64_e32 v[8:9], 8, v[8:9]
	v_add_nc_u64_e32 v[10:11], 64, v[10:11]
	;; [unrolled: 1-line block ×3, first 2 shown]
	s_delay_alu instid0(VALU_DEP_3) | instskip(SKIP_1) | instid1(SALU_CYCLE_1)
	v_cmp_ge_i64_e32 vcc_lo, v[8:9], v[6:7]
	s_or_b32 s14, vcc_lo, s14
	s_and_not1_b32 exec_lo, exec_lo, s14
	s_cbranch_execz .LBB95_12
.LBB95_16:                              ;   Parent Loop BB95_13 Depth=1
                                        ; =>  This Inner Loop Header: Depth=2
	global_load_b64 v[14:15], v[10:11], off
	s_mov_b32 s15, exec_lo
	s_wait_loadcnt 0x0
	v_sub_nc_u64_e64 v[14:15], v[14:15], s[20:21]
	s_wait_xcnt 0x0
	s_delay_alu instid0(VALU_DEP_1)
	v_cmpx_ne_u64_e64 v[14:15], v[2:3]
	s_cbranch_execz .LBB95_15
; %bb.17:                               ;   in Loop: Header=BB95_16 Depth=2
	global_load_b64 v[18:19], v[12:13], off offset:-4
	v_lshl_add_u64 v[14:15], v[14:15], 3, s[18:19]
	s_wait_loadcnt 0x0
	v_cndmask_b32_e64 v19, v19, -v19, s22
	s_delay_alu instid0(VALU_DEP_1) | instskip(NEXT) | instid1(VALU_DEP_1)
	v_mul_f32_e64 v20, v19, -v17
	v_dual_fmac_f32 v20, v16, v18 :: v_dual_mul_f32 v19, v16, v19
	s_delay_alu instid0(VALU_DEP_1)
	v_fmac_f32_e32 v19, v17, v18
	s_wait_xcnt 0x0
	global_atomic_add_f32 v[14:15], v20, off scope:SCOPE_DEV
	s_wait_xcnt 0x0
	global_atomic_add_f32 v[14:15], v19, off offset:4 scope:SCOPE_DEV
	s_branch .LBB95_15
.LBB95_18:
	s_endpgm
	.section	.rodata,"a",@progbits
	.p2align	6, 0x0
	.amdhsa_kernel _ZN9rocsparseL21csrmvt_general_kernelILj256ELj8Ell21rocsparse_complex_numIfES2_S2_S2_EEvbbT2_NS_24const_host_device_scalarIT6_EEPKT1_S9_PKS3_PKT3_PKT4_PT5_21rocsparse_index_base_b
		.amdhsa_group_segment_fixed_size 0
		.amdhsa_private_segment_fixed_size 0
		.amdhsa_kernarg_size 336
		.amdhsa_user_sgpr_count 2
		.amdhsa_user_sgpr_dispatch_ptr 0
		.amdhsa_user_sgpr_queue_ptr 0
		.amdhsa_user_sgpr_kernarg_segment_ptr 1
		.amdhsa_user_sgpr_dispatch_id 0
		.amdhsa_user_sgpr_kernarg_preload_length 0
		.amdhsa_user_sgpr_kernarg_preload_offset 0
		.amdhsa_user_sgpr_private_segment_size 0
		.amdhsa_wavefront_size32 1
		.amdhsa_uses_dynamic_stack 0
		.amdhsa_enable_private_segment 0
		.amdhsa_system_sgpr_workgroup_id_x 1
		.amdhsa_system_sgpr_workgroup_id_y 0
		.amdhsa_system_sgpr_workgroup_id_z 0
		.amdhsa_system_sgpr_workgroup_info 0
		.amdhsa_system_vgpr_workitem_id 0
		.amdhsa_next_free_vgpr 24
		.amdhsa_next_free_sgpr 26
		.amdhsa_named_barrier_count 0
		.amdhsa_reserve_vcc 1
		.amdhsa_float_round_mode_32 0
		.amdhsa_float_round_mode_16_64 0
		.amdhsa_float_denorm_mode_32 3
		.amdhsa_float_denorm_mode_16_64 3
		.amdhsa_fp16_overflow 0
		.amdhsa_memory_ordered 1
		.amdhsa_forward_progress 1
		.amdhsa_inst_pref_size 9
		.amdhsa_round_robin_scheduling 0
		.amdhsa_exception_fp_ieee_invalid_op 0
		.amdhsa_exception_fp_denorm_src 0
		.amdhsa_exception_fp_ieee_div_zero 0
		.amdhsa_exception_fp_ieee_overflow 0
		.amdhsa_exception_fp_ieee_underflow 0
		.amdhsa_exception_fp_ieee_inexact 0
		.amdhsa_exception_int_div_zero 0
	.end_amdhsa_kernel
	.section	.text._ZN9rocsparseL21csrmvt_general_kernelILj256ELj8Ell21rocsparse_complex_numIfES2_S2_S2_EEvbbT2_NS_24const_host_device_scalarIT6_EEPKT1_S9_PKS3_PKT3_PKT4_PT5_21rocsparse_index_base_b,"axG",@progbits,_ZN9rocsparseL21csrmvt_general_kernelILj256ELj8Ell21rocsparse_complex_numIfES2_S2_S2_EEvbbT2_NS_24const_host_device_scalarIT6_EEPKT1_S9_PKS3_PKT3_PKT4_PT5_21rocsparse_index_base_b,comdat
.Lfunc_end95:
	.size	_ZN9rocsparseL21csrmvt_general_kernelILj256ELj8Ell21rocsparse_complex_numIfES2_S2_S2_EEvbbT2_NS_24const_host_device_scalarIT6_EEPKT1_S9_PKS3_PKT3_PKT4_PT5_21rocsparse_index_base_b, .Lfunc_end95-_ZN9rocsparseL21csrmvt_general_kernelILj256ELj8Ell21rocsparse_complex_numIfES2_S2_S2_EEvbbT2_NS_24const_host_device_scalarIT6_EEPKT1_S9_PKS3_PKT3_PKT4_PT5_21rocsparse_index_base_b
                                        ; -- End function
	.set _ZN9rocsparseL21csrmvt_general_kernelILj256ELj8Ell21rocsparse_complex_numIfES2_S2_S2_EEvbbT2_NS_24const_host_device_scalarIT6_EEPKT1_S9_PKS3_PKT3_PKT4_PT5_21rocsparse_index_base_b.num_vgpr, 24
	.set _ZN9rocsparseL21csrmvt_general_kernelILj256ELj8Ell21rocsparse_complex_numIfES2_S2_S2_EEvbbT2_NS_24const_host_device_scalarIT6_EEPKT1_S9_PKS3_PKT3_PKT4_PT5_21rocsparse_index_base_b.num_agpr, 0
	.set _ZN9rocsparseL21csrmvt_general_kernelILj256ELj8Ell21rocsparse_complex_numIfES2_S2_S2_EEvbbT2_NS_24const_host_device_scalarIT6_EEPKT1_S9_PKS3_PKT3_PKT4_PT5_21rocsparse_index_base_b.numbered_sgpr, 26
	.set _ZN9rocsparseL21csrmvt_general_kernelILj256ELj8Ell21rocsparse_complex_numIfES2_S2_S2_EEvbbT2_NS_24const_host_device_scalarIT6_EEPKT1_S9_PKS3_PKT3_PKT4_PT5_21rocsparse_index_base_b.num_named_barrier, 0
	.set _ZN9rocsparseL21csrmvt_general_kernelILj256ELj8Ell21rocsparse_complex_numIfES2_S2_S2_EEvbbT2_NS_24const_host_device_scalarIT6_EEPKT1_S9_PKS3_PKT3_PKT4_PT5_21rocsparse_index_base_b.private_seg_size, 0
	.set _ZN9rocsparseL21csrmvt_general_kernelILj256ELj8Ell21rocsparse_complex_numIfES2_S2_S2_EEvbbT2_NS_24const_host_device_scalarIT6_EEPKT1_S9_PKS3_PKT3_PKT4_PT5_21rocsparse_index_base_b.uses_vcc, 1
	.set _ZN9rocsparseL21csrmvt_general_kernelILj256ELj8Ell21rocsparse_complex_numIfES2_S2_S2_EEvbbT2_NS_24const_host_device_scalarIT6_EEPKT1_S9_PKS3_PKT3_PKT4_PT5_21rocsparse_index_base_b.uses_flat_scratch, 0
	.set _ZN9rocsparseL21csrmvt_general_kernelILj256ELj8Ell21rocsparse_complex_numIfES2_S2_S2_EEvbbT2_NS_24const_host_device_scalarIT6_EEPKT1_S9_PKS3_PKT3_PKT4_PT5_21rocsparse_index_base_b.has_dyn_sized_stack, 0
	.set _ZN9rocsparseL21csrmvt_general_kernelILj256ELj8Ell21rocsparse_complex_numIfES2_S2_S2_EEvbbT2_NS_24const_host_device_scalarIT6_EEPKT1_S9_PKS3_PKT3_PKT4_PT5_21rocsparse_index_base_b.has_recursion, 0
	.set _ZN9rocsparseL21csrmvt_general_kernelILj256ELj8Ell21rocsparse_complex_numIfES2_S2_S2_EEvbbT2_NS_24const_host_device_scalarIT6_EEPKT1_S9_PKS3_PKT3_PKT4_PT5_21rocsparse_index_base_b.has_indirect_call, 0
	.section	.AMDGPU.csdata,"",@progbits
; Kernel info:
; codeLenInByte = 1048
; TotalNumSgprs: 28
; NumVgprs: 24
; ScratchSize: 0
; MemoryBound: 0
; FloatMode: 240
; IeeeMode: 1
; LDSByteSize: 0 bytes/workgroup (compile time only)
; SGPRBlocks: 0
; VGPRBlocks: 1
; NumSGPRsForWavesPerEU: 28
; NumVGPRsForWavesPerEU: 24
; NamedBarCnt: 0
; Occupancy: 16
; WaveLimiterHint : 1
; COMPUTE_PGM_RSRC2:SCRATCH_EN: 0
; COMPUTE_PGM_RSRC2:USER_SGPR: 2
; COMPUTE_PGM_RSRC2:TRAP_HANDLER: 0
; COMPUTE_PGM_RSRC2:TGID_X_EN: 1
; COMPUTE_PGM_RSRC2:TGID_Y_EN: 0
; COMPUTE_PGM_RSRC2:TGID_Z_EN: 0
; COMPUTE_PGM_RSRC2:TIDIG_COMP_CNT: 0
	.section	.text._ZN9rocsparseL21csrmvt_general_kernelILj256ELj16Ell21rocsparse_complex_numIfES2_S2_S2_EEvbbT2_NS_24const_host_device_scalarIT6_EEPKT1_S9_PKS3_PKT3_PKT4_PT5_21rocsparse_index_base_b,"axG",@progbits,_ZN9rocsparseL21csrmvt_general_kernelILj256ELj16Ell21rocsparse_complex_numIfES2_S2_S2_EEvbbT2_NS_24const_host_device_scalarIT6_EEPKT1_S9_PKS3_PKT3_PKT4_PT5_21rocsparse_index_base_b,comdat
	.globl	_ZN9rocsparseL21csrmvt_general_kernelILj256ELj16Ell21rocsparse_complex_numIfES2_S2_S2_EEvbbT2_NS_24const_host_device_scalarIT6_EEPKT1_S9_PKS3_PKT3_PKT4_PT5_21rocsparse_index_base_b ; -- Begin function _ZN9rocsparseL21csrmvt_general_kernelILj256ELj16Ell21rocsparse_complex_numIfES2_S2_S2_EEvbbT2_NS_24const_host_device_scalarIT6_EEPKT1_S9_PKS3_PKT3_PKT4_PT5_21rocsparse_index_base_b
	.p2align	8
	.type	_ZN9rocsparseL21csrmvt_general_kernelILj256ELj16Ell21rocsparse_complex_numIfES2_S2_S2_EEvbbT2_NS_24const_host_device_scalarIT6_EEPKT1_S9_PKS3_PKT3_PKT4_PT5_21rocsparse_index_base_b,@function
_ZN9rocsparseL21csrmvt_general_kernelILj256ELj16Ell21rocsparse_complex_numIfES2_S2_S2_EEvbbT2_NS_24const_host_device_scalarIT6_EEPKT1_S9_PKS3_PKT3_PKT4_PT5_21rocsparse_index_base_b: ; @_ZN9rocsparseL21csrmvt_general_kernelILj256ELj16Ell21rocsparse_complex_numIfES2_S2_S2_EEvbbT2_NS_24const_host_device_scalarIT6_EEPKT1_S9_PKS3_PKT3_PKT4_PT5_21rocsparse_index_base_b
; %bb.0:
	s_clause 0x1
	s_load_b64 s[20:21], s[0:1], 0x48
	s_load_b256 s[4:11], s[0:1], 0x8
	v_mov_b32_e32 v3, 0
	s_add_nc_u64 s[2:3], s[0:1], 16
	s_wait_kmcnt 0x0
	s_bitcmp1_b32 s21, 0
	s_cselect_b32 s3, s3, s7
	s_cselect_b32 s2, s2, s6
	flat_load_b64 v[4:5], v3, s[2:3]
	s_wait_xcnt 0x0
	s_mov_b32 s3, 0
	s_wait_loadcnt_dscnt 0x0
	v_cmp_neq_f32_e32 vcc_lo, 0, v4
	v_cmp_neq_f32_e64 s2, 0, v5
	s_or_b32 s2, vcc_lo, s2
	s_delay_alu instid0(SALU_CYCLE_1)
	s_and_saveexec_b32 s6, s2
	s_cbranch_execz .LBB96_18
; %bb.1:
	s_clause 0x1
	s_load_b32 s2, s[0:1], 0x0
	s_load_b32 s6, s[0:1], 0x50
	s_getreg_b32 s13, hwreg(HW_REG_IB_STS2, 6, 4)
	s_wait_kmcnt 0x0
	s_and_b32 s7, s2, 1
	s_bitcmp1_b32 s2, 8
	s_cselect_b32 s22, -1, 0
	s_bfe_u32 s12, ttmp6, 0x4000c
	s_lshl_b32 s2, s6, 4
	s_add_co_i32 s12, s12, 1
	s_and_b32 s6, ttmp6, 15
	s_mul_i32 s12, ttmp9, s12
	s_delay_alu instid0(SALU_CYCLE_1)
	s_add_co_i32 s6, s6, s12
	s_cmp_eq_u32 s13, 0
	s_load_b256 s[12:19], s[0:1], 0x28
	s_wait_xcnt 0x0
	s_cselect_b32 s0, ttmp9, s6
	s_cmp_eq_u32 s7, 0
	v_lshl_or_b32 v1, s0, 8, v0
	s_mov_b32 s1, -1
	s_delay_alu instid0(VALU_DEP_1) | instskip(NEXT) | instid1(VALU_DEP_1)
	v_dual_lshrrev_b32 v2, 4, v1 :: v_dual_bitop2_b32 v0, 15, v0 bitop3:0x40
	v_cmp_gt_i64_e64 s0, s[4:5], v[2:3]
	s_cbranch_scc0 .LBB96_9
; %bb.2:
	s_and_saveexec_b32 s1, s0
	s_cbranch_execz .LBB96_8
; %bb.3:
	v_mov_b32_e32 v1, 0
	s_mov_b32 s21, 0
	v_mov_b64_e32 v[8:9], v[2:3]
	s_wait_kmcnt 0x0
	s_add_nc_u64 s[6:7], s[14:15], 4
	s_mov_b32 s23, s21
	v_sub_nc_u64_e64 v[6:7], v[0:1], s[20:21]
	s_branch .LBB96_5
.LBB96_4:                               ;   in Loop: Header=BB96_5 Depth=1
	s_or_b32 exec_lo, exec_lo, s24
	v_add_nc_u64_e32 v[8:9], s[2:3], v[8:9]
	s_delay_alu instid0(VALU_DEP_1) | instskip(SKIP_1) | instid1(SALU_CYCLE_1)
	v_cmp_le_i64_e32 vcc_lo, s[4:5], v[8:9]
	s_or_b32 s23, vcc_lo, s23
	s_and_not1_b32 exec_lo, exec_lo, s23
	s_cbranch_execz .LBB96_8
.LBB96_5:                               ; =>This Loop Header: Depth=1
                                        ;     Child Loop BB96_7 Depth 2
	s_delay_alu instid0(VALU_DEP_2) | instskip(SKIP_1) | instid1(VALU_DEP_1)
	v_lshlrev_b64_e32 v[10:11], 3, v[8:9]
	s_mov_b32 s24, exec_lo
	v_add_nc_u64_e32 v[12:13], s[10:11], v[10:11]
	v_add_nc_u64_e32 v[10:11], s[8:9], v[10:11]
	global_load_b64 v[14:15], v[12:13], off
	global_load_b64 v[16:17], v[10:11], off
	s_wait_loadcnt 0x1
	s_wait_xcnt 0x0
	v_sub_nc_u64_e64 v[10:11], v[14:15], s[20:21]
	s_wait_loadcnt 0x0
	v_add_nc_u64_e32 v[12:13], v[16:17], v[6:7]
	s_delay_alu instid0(VALU_DEP_1)
	v_cmpx_lt_i64_e64 v[12:13], v[10:11]
	s_cbranch_execz .LBB96_4
; %bb.6:                                ;   in Loop: Header=BB96_5 Depth=1
	v_lshl_add_u64 v[14:15], v[8:9], 3, s[16:17]
	v_lshlrev_b64_e32 v[16:17], 3, v[12:13]
	s_mov_b32 s25, 0
	global_load_b64 v[20:21], v[14:15], off
	s_wait_xcnt 0x0
	v_add_nc_u64_e32 v[14:15], s[12:13], v[16:17]
	v_add_nc_u64_e32 v[16:17], s[6:7], v[16:17]
	s_wait_loadcnt 0x0
	v_mul_f32_e64 v1, v21, -v5
	s_delay_alu instid0(VALU_DEP_1) | instskip(NEXT) | instid1(VALU_DEP_1)
	v_dual_mul_f32 v18, v4, v21 :: v_dual_fmac_f32 v1, v4, v20
	v_fmac_f32_e32 v18, v5, v20
.LBB96_7:                               ;   Parent Loop BB96_5 Depth=1
                                        ; =>  This Inner Loop Header: Depth=2
	global_load_b64 v[20:21], v[16:17], off offset:-4
	global_load_b64 v[22:23], v[14:15], off
	v_add_nc_u64_e32 v[12:13], 16, v[12:13]
	s_wait_xcnt 0x0
	v_add_nc_u64_e32 v[14:15], 0x80, v[14:15]
	v_add_nc_u64_e32 v[16:17], 0x80, v[16:17]
	s_delay_alu instid0(VALU_DEP_3)
	v_cmp_ge_i64_e32 vcc_lo, v[12:13], v[10:11]
	s_or_b32 s25, vcc_lo, s25
	s_wait_loadcnt 0x1
	v_cndmask_b32_e64 v19, v21, -v21, s22
	s_wait_loadcnt 0x0
	v_sub_nc_u64_e64 v[22:23], v[22:23], s[20:21]
	s_delay_alu instid0(VALU_DEP_2) | instskip(NEXT) | instid1(VALU_DEP_2)
	v_dual_mul_f32 v21, v19, -v18 :: v_dual_mul_f32 v19, v1, v19
	v_lshl_add_u64 v[22:23], v[22:23], 3, s[18:19]
	s_delay_alu instid0(VALU_DEP_2)
	v_dual_fmac_f32 v21, v1, v20 :: v_dual_fmac_f32 v19, v18, v20
	global_atomic_add_f32 v[22:23], v21, off scope:SCOPE_DEV
	s_wait_xcnt 0x0
	global_atomic_add_f32 v[22:23], v19, off offset:4 scope:SCOPE_DEV
	s_wait_xcnt 0x0
	s_and_not1_b32 exec_lo, exec_lo, s25
	s_cbranch_execnz .LBB96_7
	s_branch .LBB96_4
.LBB96_8:
	s_or_b32 exec_lo, exec_lo, s1
	s_mov_b32 s1, 0
.LBB96_9:
	s_delay_alu instid0(SALU_CYCLE_1)
	s_and_not1_b32 vcc_lo, exec_lo, s1
	s_cbranch_vccnz .LBB96_18
; %bb.10:
	s_and_b32 exec_lo, exec_lo, s0
	s_cbranch_execz .LBB96_18
; %bb.11:
	v_mov_b32_e32 v1, 0
	s_mov_b32 s21, 0
	s_wait_kmcnt 0x0
	s_add_nc_u64 s[0:1], s[14:15], 4
	s_mov_b32 s6, s21
	v_sub_nc_u64_e64 v[0:1], v[0:1], s[20:21]
	s_branch .LBB96_13
.LBB96_12:                              ;   in Loop: Header=BB96_13 Depth=1
	s_or_b32 exec_lo, exec_lo, s7
	v_add_nc_u64_e32 v[2:3], s[2:3], v[2:3]
	s_delay_alu instid0(VALU_DEP_1) | instskip(SKIP_1) | instid1(SALU_CYCLE_1)
	v_cmp_le_i64_e32 vcc_lo, s[4:5], v[2:3]
	s_or_b32 s6, vcc_lo, s6
	s_and_not1_b32 exec_lo, exec_lo, s6
	s_cbranch_execz .LBB96_18
.LBB96_13:                              ; =>This Loop Header: Depth=1
                                        ;     Child Loop BB96_16 Depth 2
	v_lshlrev_b64_e32 v[6:7], 3, v[2:3]
	s_mov_b32 s7, exec_lo
	s_delay_alu instid0(VALU_DEP_1)
	v_add_nc_u64_e32 v[8:9], s[10:11], v[6:7]
	v_add_nc_u64_e32 v[6:7], s[8:9], v[6:7]
	global_load_b64 v[10:11], v[8:9], off
	global_load_b64 v[12:13], v[6:7], off
	s_wait_loadcnt 0x1
	s_wait_xcnt 0x0
	v_sub_nc_u64_e64 v[6:7], v[10:11], s[20:21]
	s_wait_loadcnt 0x0
	v_add_nc_u64_e32 v[8:9], v[12:13], v[0:1]
	s_delay_alu instid0(VALU_DEP_1)
	v_cmpx_lt_i64_e64 v[8:9], v[6:7]
	s_cbranch_execz .LBB96_12
; %bb.14:                               ;   in Loop: Header=BB96_13 Depth=1
	v_lshl_add_u64 v[10:11], v[2:3], 3, s[16:17]
	v_lshlrev_b64_e32 v[12:13], 3, v[8:9]
	s_mov_b32 s14, 0
	global_load_b64 v[14:15], v[10:11], off
	s_wait_xcnt 0x0
	v_add_nc_u64_e32 v[10:11], s[12:13], v[12:13]
	v_add_nc_u64_e32 v[12:13], s[0:1], v[12:13]
	s_wait_loadcnt 0x0
	v_dual_mul_f32 v16, v15, -v5 :: v_dual_mul_f32 v17, v4, v15
	s_delay_alu instid0(VALU_DEP_1)
	v_dual_fmac_f32 v16, v4, v14 :: v_dual_fmac_f32 v17, v5, v14
	s_branch .LBB96_16
.LBB96_15:                              ;   in Loop: Header=BB96_16 Depth=2
	s_wait_xcnt 0x0
	s_or_b32 exec_lo, exec_lo, s15
	v_add_nc_u64_e32 v[8:9], 16, v[8:9]
	v_add_nc_u64_e32 v[10:11], 0x80, v[10:11]
	;; [unrolled: 1-line block ×3, first 2 shown]
	s_delay_alu instid0(VALU_DEP_3) | instskip(SKIP_1) | instid1(SALU_CYCLE_1)
	v_cmp_ge_i64_e32 vcc_lo, v[8:9], v[6:7]
	s_or_b32 s14, vcc_lo, s14
	s_and_not1_b32 exec_lo, exec_lo, s14
	s_cbranch_execz .LBB96_12
.LBB96_16:                              ;   Parent Loop BB96_13 Depth=1
                                        ; =>  This Inner Loop Header: Depth=2
	global_load_b64 v[14:15], v[10:11], off
	s_mov_b32 s15, exec_lo
	s_wait_loadcnt 0x0
	v_sub_nc_u64_e64 v[14:15], v[14:15], s[20:21]
	s_wait_xcnt 0x0
	s_delay_alu instid0(VALU_DEP_1)
	v_cmpx_ne_u64_e64 v[14:15], v[2:3]
	s_cbranch_execz .LBB96_15
; %bb.17:                               ;   in Loop: Header=BB96_16 Depth=2
	global_load_b64 v[18:19], v[12:13], off offset:-4
	v_lshl_add_u64 v[14:15], v[14:15], 3, s[18:19]
	s_wait_loadcnt 0x0
	v_cndmask_b32_e64 v19, v19, -v19, s22
	s_delay_alu instid0(VALU_DEP_1) | instskip(NEXT) | instid1(VALU_DEP_1)
	v_mul_f32_e64 v20, v19, -v17
	v_dual_fmac_f32 v20, v16, v18 :: v_dual_mul_f32 v19, v16, v19
	s_delay_alu instid0(VALU_DEP_1)
	v_fmac_f32_e32 v19, v17, v18
	s_wait_xcnt 0x0
	global_atomic_add_f32 v[14:15], v20, off scope:SCOPE_DEV
	s_wait_xcnt 0x0
	global_atomic_add_f32 v[14:15], v19, off offset:4 scope:SCOPE_DEV
	s_branch .LBB96_15
.LBB96_18:
	s_endpgm
	.section	.rodata,"a",@progbits
	.p2align	6, 0x0
	.amdhsa_kernel _ZN9rocsparseL21csrmvt_general_kernelILj256ELj16Ell21rocsparse_complex_numIfES2_S2_S2_EEvbbT2_NS_24const_host_device_scalarIT6_EEPKT1_S9_PKS3_PKT3_PKT4_PT5_21rocsparse_index_base_b
		.amdhsa_group_segment_fixed_size 0
		.amdhsa_private_segment_fixed_size 0
		.amdhsa_kernarg_size 336
		.amdhsa_user_sgpr_count 2
		.amdhsa_user_sgpr_dispatch_ptr 0
		.amdhsa_user_sgpr_queue_ptr 0
		.amdhsa_user_sgpr_kernarg_segment_ptr 1
		.amdhsa_user_sgpr_dispatch_id 0
		.amdhsa_user_sgpr_kernarg_preload_length 0
		.amdhsa_user_sgpr_kernarg_preload_offset 0
		.amdhsa_user_sgpr_private_segment_size 0
		.amdhsa_wavefront_size32 1
		.amdhsa_uses_dynamic_stack 0
		.amdhsa_enable_private_segment 0
		.amdhsa_system_sgpr_workgroup_id_x 1
		.amdhsa_system_sgpr_workgroup_id_y 0
		.amdhsa_system_sgpr_workgroup_id_z 0
		.amdhsa_system_sgpr_workgroup_info 0
		.amdhsa_system_vgpr_workitem_id 0
		.amdhsa_next_free_vgpr 24
		.amdhsa_next_free_sgpr 26
		.amdhsa_named_barrier_count 0
		.amdhsa_reserve_vcc 1
		.amdhsa_float_round_mode_32 0
		.amdhsa_float_round_mode_16_64 0
		.amdhsa_float_denorm_mode_32 3
		.amdhsa_float_denorm_mode_16_64 3
		.amdhsa_fp16_overflow 0
		.amdhsa_memory_ordered 1
		.amdhsa_forward_progress 1
		.amdhsa_inst_pref_size 9
		.amdhsa_round_robin_scheduling 0
		.amdhsa_exception_fp_ieee_invalid_op 0
		.amdhsa_exception_fp_denorm_src 0
		.amdhsa_exception_fp_ieee_div_zero 0
		.amdhsa_exception_fp_ieee_overflow 0
		.amdhsa_exception_fp_ieee_underflow 0
		.amdhsa_exception_fp_ieee_inexact 0
		.amdhsa_exception_int_div_zero 0
	.end_amdhsa_kernel
	.section	.text._ZN9rocsparseL21csrmvt_general_kernelILj256ELj16Ell21rocsparse_complex_numIfES2_S2_S2_EEvbbT2_NS_24const_host_device_scalarIT6_EEPKT1_S9_PKS3_PKT3_PKT4_PT5_21rocsparse_index_base_b,"axG",@progbits,_ZN9rocsparseL21csrmvt_general_kernelILj256ELj16Ell21rocsparse_complex_numIfES2_S2_S2_EEvbbT2_NS_24const_host_device_scalarIT6_EEPKT1_S9_PKS3_PKT3_PKT4_PT5_21rocsparse_index_base_b,comdat
.Lfunc_end96:
	.size	_ZN9rocsparseL21csrmvt_general_kernelILj256ELj16Ell21rocsparse_complex_numIfES2_S2_S2_EEvbbT2_NS_24const_host_device_scalarIT6_EEPKT1_S9_PKS3_PKT3_PKT4_PT5_21rocsparse_index_base_b, .Lfunc_end96-_ZN9rocsparseL21csrmvt_general_kernelILj256ELj16Ell21rocsparse_complex_numIfES2_S2_S2_EEvbbT2_NS_24const_host_device_scalarIT6_EEPKT1_S9_PKS3_PKT3_PKT4_PT5_21rocsparse_index_base_b
                                        ; -- End function
	.set _ZN9rocsparseL21csrmvt_general_kernelILj256ELj16Ell21rocsparse_complex_numIfES2_S2_S2_EEvbbT2_NS_24const_host_device_scalarIT6_EEPKT1_S9_PKS3_PKT3_PKT4_PT5_21rocsparse_index_base_b.num_vgpr, 24
	.set _ZN9rocsparseL21csrmvt_general_kernelILj256ELj16Ell21rocsparse_complex_numIfES2_S2_S2_EEvbbT2_NS_24const_host_device_scalarIT6_EEPKT1_S9_PKS3_PKT3_PKT4_PT5_21rocsparse_index_base_b.num_agpr, 0
	.set _ZN9rocsparseL21csrmvt_general_kernelILj256ELj16Ell21rocsparse_complex_numIfES2_S2_S2_EEvbbT2_NS_24const_host_device_scalarIT6_EEPKT1_S9_PKS3_PKT3_PKT4_PT5_21rocsparse_index_base_b.numbered_sgpr, 26
	.set _ZN9rocsparseL21csrmvt_general_kernelILj256ELj16Ell21rocsparse_complex_numIfES2_S2_S2_EEvbbT2_NS_24const_host_device_scalarIT6_EEPKT1_S9_PKS3_PKT3_PKT4_PT5_21rocsparse_index_base_b.num_named_barrier, 0
	.set _ZN9rocsparseL21csrmvt_general_kernelILj256ELj16Ell21rocsparse_complex_numIfES2_S2_S2_EEvbbT2_NS_24const_host_device_scalarIT6_EEPKT1_S9_PKS3_PKT3_PKT4_PT5_21rocsparse_index_base_b.private_seg_size, 0
	.set _ZN9rocsparseL21csrmvt_general_kernelILj256ELj16Ell21rocsparse_complex_numIfES2_S2_S2_EEvbbT2_NS_24const_host_device_scalarIT6_EEPKT1_S9_PKS3_PKT3_PKT4_PT5_21rocsparse_index_base_b.uses_vcc, 1
	.set _ZN9rocsparseL21csrmvt_general_kernelILj256ELj16Ell21rocsparse_complex_numIfES2_S2_S2_EEvbbT2_NS_24const_host_device_scalarIT6_EEPKT1_S9_PKS3_PKT3_PKT4_PT5_21rocsparse_index_base_b.uses_flat_scratch, 0
	.set _ZN9rocsparseL21csrmvt_general_kernelILj256ELj16Ell21rocsparse_complex_numIfES2_S2_S2_EEvbbT2_NS_24const_host_device_scalarIT6_EEPKT1_S9_PKS3_PKT3_PKT4_PT5_21rocsparse_index_base_b.has_dyn_sized_stack, 0
	.set _ZN9rocsparseL21csrmvt_general_kernelILj256ELj16Ell21rocsparse_complex_numIfES2_S2_S2_EEvbbT2_NS_24const_host_device_scalarIT6_EEPKT1_S9_PKS3_PKT3_PKT4_PT5_21rocsparse_index_base_b.has_recursion, 0
	.set _ZN9rocsparseL21csrmvt_general_kernelILj256ELj16Ell21rocsparse_complex_numIfES2_S2_S2_EEvbbT2_NS_24const_host_device_scalarIT6_EEPKT1_S9_PKS3_PKT3_PKT4_PT5_21rocsparse_index_base_b.has_indirect_call, 0
	.section	.AMDGPU.csdata,"",@progbits
; Kernel info:
; codeLenInByte = 1064
; TotalNumSgprs: 28
; NumVgprs: 24
; ScratchSize: 0
; MemoryBound: 0
; FloatMode: 240
; IeeeMode: 1
; LDSByteSize: 0 bytes/workgroup (compile time only)
; SGPRBlocks: 0
; VGPRBlocks: 1
; NumSGPRsForWavesPerEU: 28
; NumVGPRsForWavesPerEU: 24
; NamedBarCnt: 0
; Occupancy: 16
; WaveLimiterHint : 1
; COMPUTE_PGM_RSRC2:SCRATCH_EN: 0
; COMPUTE_PGM_RSRC2:USER_SGPR: 2
; COMPUTE_PGM_RSRC2:TRAP_HANDLER: 0
; COMPUTE_PGM_RSRC2:TGID_X_EN: 1
; COMPUTE_PGM_RSRC2:TGID_Y_EN: 0
; COMPUTE_PGM_RSRC2:TGID_Z_EN: 0
; COMPUTE_PGM_RSRC2:TIDIG_COMP_CNT: 0
	.section	.text._ZN9rocsparseL21csrmvt_general_kernelILj256ELj32Ell21rocsparse_complex_numIfES2_S2_S2_EEvbbT2_NS_24const_host_device_scalarIT6_EEPKT1_S9_PKS3_PKT3_PKT4_PT5_21rocsparse_index_base_b,"axG",@progbits,_ZN9rocsparseL21csrmvt_general_kernelILj256ELj32Ell21rocsparse_complex_numIfES2_S2_S2_EEvbbT2_NS_24const_host_device_scalarIT6_EEPKT1_S9_PKS3_PKT3_PKT4_PT5_21rocsparse_index_base_b,comdat
	.globl	_ZN9rocsparseL21csrmvt_general_kernelILj256ELj32Ell21rocsparse_complex_numIfES2_S2_S2_EEvbbT2_NS_24const_host_device_scalarIT6_EEPKT1_S9_PKS3_PKT3_PKT4_PT5_21rocsparse_index_base_b ; -- Begin function _ZN9rocsparseL21csrmvt_general_kernelILj256ELj32Ell21rocsparse_complex_numIfES2_S2_S2_EEvbbT2_NS_24const_host_device_scalarIT6_EEPKT1_S9_PKS3_PKT3_PKT4_PT5_21rocsparse_index_base_b
	.p2align	8
	.type	_ZN9rocsparseL21csrmvt_general_kernelILj256ELj32Ell21rocsparse_complex_numIfES2_S2_S2_EEvbbT2_NS_24const_host_device_scalarIT6_EEPKT1_S9_PKS3_PKT3_PKT4_PT5_21rocsparse_index_base_b,@function
_ZN9rocsparseL21csrmvt_general_kernelILj256ELj32Ell21rocsparse_complex_numIfES2_S2_S2_EEvbbT2_NS_24const_host_device_scalarIT6_EEPKT1_S9_PKS3_PKT3_PKT4_PT5_21rocsparse_index_base_b: ; @_ZN9rocsparseL21csrmvt_general_kernelILj256ELj32Ell21rocsparse_complex_numIfES2_S2_S2_EEvbbT2_NS_24const_host_device_scalarIT6_EEPKT1_S9_PKS3_PKT3_PKT4_PT5_21rocsparse_index_base_b
; %bb.0:
	s_clause 0x1
	s_load_b64 s[20:21], s[0:1], 0x48
	s_load_b256 s[4:11], s[0:1], 0x8
	v_mov_b32_e32 v3, 0
	s_add_nc_u64 s[2:3], s[0:1], 16
	s_wait_kmcnt 0x0
	s_bitcmp1_b32 s21, 0
	s_cselect_b32 s3, s3, s7
	s_cselect_b32 s2, s2, s6
	flat_load_b64 v[4:5], v3, s[2:3]
	s_wait_xcnt 0x0
	s_mov_b32 s3, 0
	s_wait_loadcnt_dscnt 0x0
	v_cmp_neq_f32_e32 vcc_lo, 0, v4
	v_cmp_neq_f32_e64 s2, 0, v5
	s_or_b32 s2, vcc_lo, s2
	s_delay_alu instid0(SALU_CYCLE_1)
	s_and_saveexec_b32 s6, s2
	s_cbranch_execz .LBB97_18
; %bb.1:
	s_clause 0x1
	s_load_b32 s2, s[0:1], 0x0
	s_load_b32 s6, s[0:1], 0x50
	s_getreg_b32 s13, hwreg(HW_REG_IB_STS2, 6, 4)
	s_wait_kmcnt 0x0
	s_and_b32 s7, s2, 1
	s_bitcmp1_b32 s2, 8
	s_cselect_b32 s22, -1, 0
	s_bfe_u32 s12, ttmp6, 0x4000c
	s_lshl_b32 s2, s6, 3
	s_add_co_i32 s12, s12, 1
	s_and_b32 s6, ttmp6, 15
	s_mul_i32 s12, ttmp9, s12
	s_delay_alu instid0(SALU_CYCLE_1)
	s_add_co_i32 s6, s6, s12
	s_cmp_eq_u32 s13, 0
	s_load_b256 s[12:19], s[0:1], 0x28
	s_wait_xcnt 0x0
	s_cselect_b32 s0, ttmp9, s6
	s_cmp_eq_u32 s7, 0
	v_lshl_or_b32 v1, s0, 8, v0
	s_mov_b32 s1, -1
	s_delay_alu instid0(VALU_DEP_1) | instskip(NEXT) | instid1(VALU_DEP_1)
	v_dual_lshrrev_b32 v2, 5, v1 :: v_dual_bitop2_b32 v0, 31, v0 bitop3:0x40
	v_cmp_gt_i64_e64 s0, s[4:5], v[2:3]
	s_cbranch_scc0 .LBB97_9
; %bb.2:
	s_and_saveexec_b32 s1, s0
	s_cbranch_execz .LBB97_8
; %bb.3:
	v_mov_b32_e32 v1, 0
	s_mov_b32 s21, 0
	v_mov_b64_e32 v[8:9], v[2:3]
	s_wait_kmcnt 0x0
	s_add_nc_u64 s[6:7], s[14:15], 4
	s_mov_b32 s23, s21
	v_sub_nc_u64_e64 v[6:7], v[0:1], s[20:21]
	s_branch .LBB97_5
.LBB97_4:                               ;   in Loop: Header=BB97_5 Depth=1
	s_or_b32 exec_lo, exec_lo, s24
	v_add_nc_u64_e32 v[8:9], s[2:3], v[8:9]
	s_delay_alu instid0(VALU_DEP_1) | instskip(SKIP_1) | instid1(SALU_CYCLE_1)
	v_cmp_le_i64_e32 vcc_lo, s[4:5], v[8:9]
	s_or_b32 s23, vcc_lo, s23
	s_and_not1_b32 exec_lo, exec_lo, s23
	s_cbranch_execz .LBB97_8
.LBB97_5:                               ; =>This Loop Header: Depth=1
                                        ;     Child Loop BB97_7 Depth 2
	s_delay_alu instid0(VALU_DEP_2) | instskip(SKIP_1) | instid1(VALU_DEP_1)
	v_lshlrev_b64_e32 v[10:11], 3, v[8:9]
	s_mov_b32 s24, exec_lo
	v_add_nc_u64_e32 v[12:13], s[10:11], v[10:11]
	v_add_nc_u64_e32 v[10:11], s[8:9], v[10:11]
	global_load_b64 v[14:15], v[12:13], off
	global_load_b64 v[16:17], v[10:11], off
	s_wait_loadcnt 0x1
	s_wait_xcnt 0x0
	v_sub_nc_u64_e64 v[10:11], v[14:15], s[20:21]
	s_wait_loadcnt 0x0
	v_add_nc_u64_e32 v[12:13], v[16:17], v[6:7]
	s_delay_alu instid0(VALU_DEP_1)
	v_cmpx_lt_i64_e64 v[12:13], v[10:11]
	s_cbranch_execz .LBB97_4
; %bb.6:                                ;   in Loop: Header=BB97_5 Depth=1
	v_lshl_add_u64 v[14:15], v[8:9], 3, s[16:17]
	v_lshlrev_b64_e32 v[16:17], 3, v[12:13]
	s_mov_b32 s25, 0
	global_load_b64 v[20:21], v[14:15], off
	s_wait_xcnt 0x0
	v_add_nc_u64_e32 v[14:15], s[12:13], v[16:17]
	v_add_nc_u64_e32 v[16:17], s[6:7], v[16:17]
	s_wait_loadcnt 0x0
	v_mul_f32_e64 v1, v21, -v5
	s_delay_alu instid0(VALU_DEP_1) | instskip(NEXT) | instid1(VALU_DEP_1)
	v_dual_mul_f32 v18, v4, v21 :: v_dual_fmac_f32 v1, v4, v20
	v_fmac_f32_e32 v18, v5, v20
.LBB97_7:                               ;   Parent Loop BB97_5 Depth=1
                                        ; =>  This Inner Loop Header: Depth=2
	global_load_b64 v[20:21], v[16:17], off offset:-4
	global_load_b64 v[22:23], v[14:15], off
	v_add_nc_u64_e32 v[12:13], 32, v[12:13]
	s_wait_xcnt 0x0
	v_add_nc_u64_e32 v[14:15], 0x100, v[14:15]
	v_add_nc_u64_e32 v[16:17], 0x100, v[16:17]
	s_delay_alu instid0(VALU_DEP_3)
	v_cmp_ge_i64_e32 vcc_lo, v[12:13], v[10:11]
	s_or_b32 s25, vcc_lo, s25
	s_wait_loadcnt 0x1
	v_cndmask_b32_e64 v19, v21, -v21, s22
	s_wait_loadcnt 0x0
	v_sub_nc_u64_e64 v[22:23], v[22:23], s[20:21]
	s_delay_alu instid0(VALU_DEP_2) | instskip(NEXT) | instid1(VALU_DEP_2)
	v_dual_mul_f32 v21, v19, -v18 :: v_dual_mul_f32 v19, v1, v19
	v_lshl_add_u64 v[22:23], v[22:23], 3, s[18:19]
	s_delay_alu instid0(VALU_DEP_2)
	v_dual_fmac_f32 v21, v1, v20 :: v_dual_fmac_f32 v19, v18, v20
	global_atomic_add_f32 v[22:23], v21, off scope:SCOPE_DEV
	s_wait_xcnt 0x0
	global_atomic_add_f32 v[22:23], v19, off offset:4 scope:SCOPE_DEV
	s_wait_xcnt 0x0
	s_and_not1_b32 exec_lo, exec_lo, s25
	s_cbranch_execnz .LBB97_7
	s_branch .LBB97_4
.LBB97_8:
	s_or_b32 exec_lo, exec_lo, s1
	s_mov_b32 s1, 0
.LBB97_9:
	s_delay_alu instid0(SALU_CYCLE_1)
	s_and_not1_b32 vcc_lo, exec_lo, s1
	s_cbranch_vccnz .LBB97_18
; %bb.10:
	s_and_b32 exec_lo, exec_lo, s0
	s_cbranch_execz .LBB97_18
; %bb.11:
	v_mov_b32_e32 v1, 0
	s_mov_b32 s21, 0
	s_wait_kmcnt 0x0
	s_add_nc_u64 s[0:1], s[14:15], 4
	s_mov_b32 s6, s21
	v_sub_nc_u64_e64 v[0:1], v[0:1], s[20:21]
	s_branch .LBB97_13
.LBB97_12:                              ;   in Loop: Header=BB97_13 Depth=1
	s_or_b32 exec_lo, exec_lo, s7
	v_add_nc_u64_e32 v[2:3], s[2:3], v[2:3]
	s_delay_alu instid0(VALU_DEP_1) | instskip(SKIP_1) | instid1(SALU_CYCLE_1)
	v_cmp_le_i64_e32 vcc_lo, s[4:5], v[2:3]
	s_or_b32 s6, vcc_lo, s6
	s_and_not1_b32 exec_lo, exec_lo, s6
	s_cbranch_execz .LBB97_18
.LBB97_13:                              ; =>This Loop Header: Depth=1
                                        ;     Child Loop BB97_16 Depth 2
	v_lshlrev_b64_e32 v[6:7], 3, v[2:3]
	s_mov_b32 s7, exec_lo
	s_delay_alu instid0(VALU_DEP_1)
	v_add_nc_u64_e32 v[8:9], s[10:11], v[6:7]
	v_add_nc_u64_e32 v[6:7], s[8:9], v[6:7]
	global_load_b64 v[10:11], v[8:9], off
	global_load_b64 v[12:13], v[6:7], off
	s_wait_loadcnt 0x1
	s_wait_xcnt 0x0
	v_sub_nc_u64_e64 v[6:7], v[10:11], s[20:21]
	s_wait_loadcnt 0x0
	v_add_nc_u64_e32 v[8:9], v[12:13], v[0:1]
	s_delay_alu instid0(VALU_DEP_1)
	v_cmpx_lt_i64_e64 v[8:9], v[6:7]
	s_cbranch_execz .LBB97_12
; %bb.14:                               ;   in Loop: Header=BB97_13 Depth=1
	v_lshl_add_u64 v[10:11], v[2:3], 3, s[16:17]
	v_lshlrev_b64_e32 v[12:13], 3, v[8:9]
	s_mov_b32 s14, 0
	global_load_b64 v[14:15], v[10:11], off
	s_wait_xcnt 0x0
	v_add_nc_u64_e32 v[10:11], s[12:13], v[12:13]
	v_add_nc_u64_e32 v[12:13], s[0:1], v[12:13]
	s_wait_loadcnt 0x0
	v_dual_mul_f32 v16, v15, -v5 :: v_dual_mul_f32 v17, v4, v15
	s_delay_alu instid0(VALU_DEP_1)
	v_dual_fmac_f32 v16, v4, v14 :: v_dual_fmac_f32 v17, v5, v14
	s_branch .LBB97_16
.LBB97_15:                              ;   in Loop: Header=BB97_16 Depth=2
	s_wait_xcnt 0x0
	s_or_b32 exec_lo, exec_lo, s15
	v_add_nc_u64_e32 v[8:9], 32, v[8:9]
	v_add_nc_u64_e32 v[10:11], 0x100, v[10:11]
	;; [unrolled: 1-line block ×3, first 2 shown]
	s_delay_alu instid0(VALU_DEP_3) | instskip(SKIP_1) | instid1(SALU_CYCLE_1)
	v_cmp_ge_i64_e32 vcc_lo, v[8:9], v[6:7]
	s_or_b32 s14, vcc_lo, s14
	s_and_not1_b32 exec_lo, exec_lo, s14
	s_cbranch_execz .LBB97_12
.LBB97_16:                              ;   Parent Loop BB97_13 Depth=1
                                        ; =>  This Inner Loop Header: Depth=2
	global_load_b64 v[14:15], v[10:11], off
	s_mov_b32 s15, exec_lo
	s_wait_loadcnt 0x0
	v_sub_nc_u64_e64 v[14:15], v[14:15], s[20:21]
	s_wait_xcnt 0x0
	s_delay_alu instid0(VALU_DEP_1)
	v_cmpx_ne_u64_e64 v[14:15], v[2:3]
	s_cbranch_execz .LBB97_15
; %bb.17:                               ;   in Loop: Header=BB97_16 Depth=2
	global_load_b64 v[18:19], v[12:13], off offset:-4
	v_lshl_add_u64 v[14:15], v[14:15], 3, s[18:19]
	s_wait_loadcnt 0x0
	v_cndmask_b32_e64 v19, v19, -v19, s22
	s_delay_alu instid0(VALU_DEP_1) | instskip(NEXT) | instid1(VALU_DEP_1)
	v_mul_f32_e64 v20, v19, -v17
	v_dual_fmac_f32 v20, v16, v18 :: v_dual_mul_f32 v19, v16, v19
	s_delay_alu instid0(VALU_DEP_1)
	v_fmac_f32_e32 v19, v17, v18
	s_wait_xcnt 0x0
	global_atomic_add_f32 v[14:15], v20, off scope:SCOPE_DEV
	s_wait_xcnt 0x0
	global_atomic_add_f32 v[14:15], v19, off offset:4 scope:SCOPE_DEV
	s_branch .LBB97_15
.LBB97_18:
	s_endpgm
	.section	.rodata,"a",@progbits
	.p2align	6, 0x0
	.amdhsa_kernel _ZN9rocsparseL21csrmvt_general_kernelILj256ELj32Ell21rocsparse_complex_numIfES2_S2_S2_EEvbbT2_NS_24const_host_device_scalarIT6_EEPKT1_S9_PKS3_PKT3_PKT4_PT5_21rocsparse_index_base_b
		.amdhsa_group_segment_fixed_size 0
		.amdhsa_private_segment_fixed_size 0
		.amdhsa_kernarg_size 336
		.amdhsa_user_sgpr_count 2
		.amdhsa_user_sgpr_dispatch_ptr 0
		.amdhsa_user_sgpr_queue_ptr 0
		.amdhsa_user_sgpr_kernarg_segment_ptr 1
		.amdhsa_user_sgpr_dispatch_id 0
		.amdhsa_user_sgpr_kernarg_preload_length 0
		.amdhsa_user_sgpr_kernarg_preload_offset 0
		.amdhsa_user_sgpr_private_segment_size 0
		.amdhsa_wavefront_size32 1
		.amdhsa_uses_dynamic_stack 0
		.amdhsa_enable_private_segment 0
		.amdhsa_system_sgpr_workgroup_id_x 1
		.amdhsa_system_sgpr_workgroup_id_y 0
		.amdhsa_system_sgpr_workgroup_id_z 0
		.amdhsa_system_sgpr_workgroup_info 0
		.amdhsa_system_vgpr_workitem_id 0
		.amdhsa_next_free_vgpr 24
		.amdhsa_next_free_sgpr 26
		.amdhsa_named_barrier_count 0
		.amdhsa_reserve_vcc 1
		.amdhsa_float_round_mode_32 0
		.amdhsa_float_round_mode_16_64 0
		.amdhsa_float_denorm_mode_32 3
		.amdhsa_float_denorm_mode_16_64 3
		.amdhsa_fp16_overflow 0
		.amdhsa_memory_ordered 1
		.amdhsa_forward_progress 1
		.amdhsa_inst_pref_size 9
		.amdhsa_round_robin_scheduling 0
		.amdhsa_exception_fp_ieee_invalid_op 0
		.amdhsa_exception_fp_denorm_src 0
		.amdhsa_exception_fp_ieee_div_zero 0
		.amdhsa_exception_fp_ieee_overflow 0
		.amdhsa_exception_fp_ieee_underflow 0
		.amdhsa_exception_fp_ieee_inexact 0
		.amdhsa_exception_int_div_zero 0
	.end_amdhsa_kernel
	.section	.text._ZN9rocsparseL21csrmvt_general_kernelILj256ELj32Ell21rocsparse_complex_numIfES2_S2_S2_EEvbbT2_NS_24const_host_device_scalarIT6_EEPKT1_S9_PKS3_PKT3_PKT4_PT5_21rocsparse_index_base_b,"axG",@progbits,_ZN9rocsparseL21csrmvt_general_kernelILj256ELj32Ell21rocsparse_complex_numIfES2_S2_S2_EEvbbT2_NS_24const_host_device_scalarIT6_EEPKT1_S9_PKS3_PKT3_PKT4_PT5_21rocsparse_index_base_b,comdat
.Lfunc_end97:
	.size	_ZN9rocsparseL21csrmvt_general_kernelILj256ELj32Ell21rocsparse_complex_numIfES2_S2_S2_EEvbbT2_NS_24const_host_device_scalarIT6_EEPKT1_S9_PKS3_PKT3_PKT4_PT5_21rocsparse_index_base_b, .Lfunc_end97-_ZN9rocsparseL21csrmvt_general_kernelILj256ELj32Ell21rocsparse_complex_numIfES2_S2_S2_EEvbbT2_NS_24const_host_device_scalarIT6_EEPKT1_S9_PKS3_PKT3_PKT4_PT5_21rocsparse_index_base_b
                                        ; -- End function
	.set _ZN9rocsparseL21csrmvt_general_kernelILj256ELj32Ell21rocsparse_complex_numIfES2_S2_S2_EEvbbT2_NS_24const_host_device_scalarIT6_EEPKT1_S9_PKS3_PKT3_PKT4_PT5_21rocsparse_index_base_b.num_vgpr, 24
	.set _ZN9rocsparseL21csrmvt_general_kernelILj256ELj32Ell21rocsparse_complex_numIfES2_S2_S2_EEvbbT2_NS_24const_host_device_scalarIT6_EEPKT1_S9_PKS3_PKT3_PKT4_PT5_21rocsparse_index_base_b.num_agpr, 0
	.set _ZN9rocsparseL21csrmvt_general_kernelILj256ELj32Ell21rocsparse_complex_numIfES2_S2_S2_EEvbbT2_NS_24const_host_device_scalarIT6_EEPKT1_S9_PKS3_PKT3_PKT4_PT5_21rocsparse_index_base_b.numbered_sgpr, 26
	.set _ZN9rocsparseL21csrmvt_general_kernelILj256ELj32Ell21rocsparse_complex_numIfES2_S2_S2_EEvbbT2_NS_24const_host_device_scalarIT6_EEPKT1_S9_PKS3_PKT3_PKT4_PT5_21rocsparse_index_base_b.num_named_barrier, 0
	.set _ZN9rocsparseL21csrmvt_general_kernelILj256ELj32Ell21rocsparse_complex_numIfES2_S2_S2_EEvbbT2_NS_24const_host_device_scalarIT6_EEPKT1_S9_PKS3_PKT3_PKT4_PT5_21rocsparse_index_base_b.private_seg_size, 0
	.set _ZN9rocsparseL21csrmvt_general_kernelILj256ELj32Ell21rocsparse_complex_numIfES2_S2_S2_EEvbbT2_NS_24const_host_device_scalarIT6_EEPKT1_S9_PKS3_PKT3_PKT4_PT5_21rocsparse_index_base_b.uses_vcc, 1
	.set _ZN9rocsparseL21csrmvt_general_kernelILj256ELj32Ell21rocsparse_complex_numIfES2_S2_S2_EEvbbT2_NS_24const_host_device_scalarIT6_EEPKT1_S9_PKS3_PKT3_PKT4_PT5_21rocsparse_index_base_b.uses_flat_scratch, 0
	.set _ZN9rocsparseL21csrmvt_general_kernelILj256ELj32Ell21rocsparse_complex_numIfES2_S2_S2_EEvbbT2_NS_24const_host_device_scalarIT6_EEPKT1_S9_PKS3_PKT3_PKT4_PT5_21rocsparse_index_base_b.has_dyn_sized_stack, 0
	.set _ZN9rocsparseL21csrmvt_general_kernelILj256ELj32Ell21rocsparse_complex_numIfES2_S2_S2_EEvbbT2_NS_24const_host_device_scalarIT6_EEPKT1_S9_PKS3_PKT3_PKT4_PT5_21rocsparse_index_base_b.has_recursion, 0
	.set _ZN9rocsparseL21csrmvt_general_kernelILj256ELj32Ell21rocsparse_complex_numIfES2_S2_S2_EEvbbT2_NS_24const_host_device_scalarIT6_EEPKT1_S9_PKS3_PKT3_PKT4_PT5_21rocsparse_index_base_b.has_indirect_call, 0
	.section	.AMDGPU.csdata,"",@progbits
; Kernel info:
; codeLenInByte = 1064
; TotalNumSgprs: 28
; NumVgprs: 24
; ScratchSize: 0
; MemoryBound: 0
; FloatMode: 240
; IeeeMode: 1
; LDSByteSize: 0 bytes/workgroup (compile time only)
; SGPRBlocks: 0
; VGPRBlocks: 1
; NumSGPRsForWavesPerEU: 28
; NumVGPRsForWavesPerEU: 24
; NamedBarCnt: 0
; Occupancy: 16
; WaveLimiterHint : 1
; COMPUTE_PGM_RSRC2:SCRATCH_EN: 0
; COMPUTE_PGM_RSRC2:USER_SGPR: 2
; COMPUTE_PGM_RSRC2:TRAP_HANDLER: 0
; COMPUTE_PGM_RSRC2:TGID_X_EN: 1
; COMPUTE_PGM_RSRC2:TGID_Y_EN: 0
; COMPUTE_PGM_RSRC2:TGID_Z_EN: 0
; COMPUTE_PGM_RSRC2:TIDIG_COMP_CNT: 0
	.section	.text._ZN9rocsparseL21csrmvt_general_kernelILj256ELj64Ell21rocsparse_complex_numIfES2_S2_S2_EEvbbT2_NS_24const_host_device_scalarIT6_EEPKT1_S9_PKS3_PKT3_PKT4_PT5_21rocsparse_index_base_b,"axG",@progbits,_ZN9rocsparseL21csrmvt_general_kernelILj256ELj64Ell21rocsparse_complex_numIfES2_S2_S2_EEvbbT2_NS_24const_host_device_scalarIT6_EEPKT1_S9_PKS3_PKT3_PKT4_PT5_21rocsparse_index_base_b,comdat
	.globl	_ZN9rocsparseL21csrmvt_general_kernelILj256ELj64Ell21rocsparse_complex_numIfES2_S2_S2_EEvbbT2_NS_24const_host_device_scalarIT6_EEPKT1_S9_PKS3_PKT3_PKT4_PT5_21rocsparse_index_base_b ; -- Begin function _ZN9rocsparseL21csrmvt_general_kernelILj256ELj64Ell21rocsparse_complex_numIfES2_S2_S2_EEvbbT2_NS_24const_host_device_scalarIT6_EEPKT1_S9_PKS3_PKT3_PKT4_PT5_21rocsparse_index_base_b
	.p2align	8
	.type	_ZN9rocsparseL21csrmvt_general_kernelILj256ELj64Ell21rocsparse_complex_numIfES2_S2_S2_EEvbbT2_NS_24const_host_device_scalarIT6_EEPKT1_S9_PKS3_PKT3_PKT4_PT5_21rocsparse_index_base_b,@function
_ZN9rocsparseL21csrmvt_general_kernelILj256ELj64Ell21rocsparse_complex_numIfES2_S2_S2_EEvbbT2_NS_24const_host_device_scalarIT6_EEPKT1_S9_PKS3_PKT3_PKT4_PT5_21rocsparse_index_base_b: ; @_ZN9rocsparseL21csrmvt_general_kernelILj256ELj64Ell21rocsparse_complex_numIfES2_S2_S2_EEvbbT2_NS_24const_host_device_scalarIT6_EEPKT1_S9_PKS3_PKT3_PKT4_PT5_21rocsparse_index_base_b
; %bb.0:
	s_clause 0x1
	s_load_b64 s[20:21], s[0:1], 0x48
	s_load_b256 s[4:11], s[0:1], 0x8
	v_mov_b32_e32 v3, 0
	s_add_nc_u64 s[2:3], s[0:1], 16
	s_wait_kmcnt 0x0
	s_bitcmp1_b32 s21, 0
	s_cselect_b32 s3, s3, s7
	s_cselect_b32 s2, s2, s6
	flat_load_b64 v[4:5], v3, s[2:3]
	s_wait_xcnt 0x0
	s_mov_b32 s3, 0
	s_wait_loadcnt_dscnt 0x0
	v_cmp_neq_f32_e32 vcc_lo, 0, v4
	v_cmp_neq_f32_e64 s2, 0, v5
	s_or_b32 s2, vcc_lo, s2
	s_delay_alu instid0(SALU_CYCLE_1)
	s_and_saveexec_b32 s6, s2
	s_cbranch_execz .LBB98_18
; %bb.1:
	s_clause 0x1
	s_load_b32 s2, s[0:1], 0x0
	s_load_b32 s6, s[0:1], 0x50
	s_getreg_b32 s13, hwreg(HW_REG_IB_STS2, 6, 4)
	s_wait_kmcnt 0x0
	s_and_b32 s7, s2, 1
	s_bitcmp1_b32 s2, 8
	s_cselect_b32 s22, -1, 0
	s_bfe_u32 s12, ttmp6, 0x4000c
	s_lshl_b32 s2, s6, 2
	s_add_co_i32 s12, s12, 1
	s_and_b32 s6, ttmp6, 15
	s_mul_i32 s12, ttmp9, s12
	s_delay_alu instid0(SALU_CYCLE_1)
	s_add_co_i32 s6, s6, s12
	s_cmp_eq_u32 s13, 0
	s_load_b256 s[12:19], s[0:1], 0x28
	s_wait_xcnt 0x0
	s_cselect_b32 s0, ttmp9, s6
	s_cmp_eq_u32 s7, 0
	v_lshl_or_b32 v1, s0, 8, v0
	s_mov_b32 s1, -1
	s_delay_alu instid0(VALU_DEP_1) | instskip(NEXT) | instid1(VALU_DEP_1)
	v_dual_lshrrev_b32 v2, 6, v1 :: v_dual_bitop2_b32 v0, 63, v0 bitop3:0x40
	v_cmp_gt_i64_e64 s0, s[4:5], v[2:3]
	s_cbranch_scc0 .LBB98_9
; %bb.2:
	s_and_saveexec_b32 s1, s0
	s_cbranch_execz .LBB98_8
; %bb.3:
	v_mov_b32_e32 v1, 0
	s_mov_b32 s21, 0
	v_mov_b64_e32 v[8:9], v[2:3]
	s_wait_kmcnt 0x0
	s_add_nc_u64 s[6:7], s[14:15], 4
	s_mov_b32 s23, s21
	v_sub_nc_u64_e64 v[6:7], v[0:1], s[20:21]
	s_branch .LBB98_5
.LBB98_4:                               ;   in Loop: Header=BB98_5 Depth=1
	s_or_b32 exec_lo, exec_lo, s24
	v_add_nc_u64_e32 v[8:9], s[2:3], v[8:9]
	s_delay_alu instid0(VALU_DEP_1) | instskip(SKIP_1) | instid1(SALU_CYCLE_1)
	v_cmp_le_i64_e32 vcc_lo, s[4:5], v[8:9]
	s_or_b32 s23, vcc_lo, s23
	s_and_not1_b32 exec_lo, exec_lo, s23
	s_cbranch_execz .LBB98_8
.LBB98_5:                               ; =>This Loop Header: Depth=1
                                        ;     Child Loop BB98_7 Depth 2
	s_delay_alu instid0(VALU_DEP_2) | instskip(SKIP_1) | instid1(VALU_DEP_1)
	v_lshlrev_b64_e32 v[10:11], 3, v[8:9]
	s_mov_b32 s24, exec_lo
	v_add_nc_u64_e32 v[12:13], s[10:11], v[10:11]
	v_add_nc_u64_e32 v[10:11], s[8:9], v[10:11]
	global_load_b64 v[14:15], v[12:13], off
	global_load_b64 v[16:17], v[10:11], off
	s_wait_loadcnt 0x1
	s_wait_xcnt 0x0
	v_sub_nc_u64_e64 v[10:11], v[14:15], s[20:21]
	s_wait_loadcnt 0x0
	v_add_nc_u64_e32 v[12:13], v[16:17], v[6:7]
	s_delay_alu instid0(VALU_DEP_1)
	v_cmpx_lt_i64_e64 v[12:13], v[10:11]
	s_cbranch_execz .LBB98_4
; %bb.6:                                ;   in Loop: Header=BB98_5 Depth=1
	v_lshl_add_u64 v[14:15], v[8:9], 3, s[16:17]
	v_lshlrev_b64_e32 v[16:17], 3, v[12:13]
	s_mov_b32 s25, 0
	global_load_b64 v[20:21], v[14:15], off
	s_wait_xcnt 0x0
	v_add_nc_u64_e32 v[14:15], s[12:13], v[16:17]
	v_add_nc_u64_e32 v[16:17], s[6:7], v[16:17]
	s_wait_loadcnt 0x0
	v_mul_f32_e64 v1, v21, -v5
	s_delay_alu instid0(VALU_DEP_1) | instskip(NEXT) | instid1(VALU_DEP_1)
	v_dual_mul_f32 v18, v4, v21 :: v_dual_fmac_f32 v1, v4, v20
	v_fmac_f32_e32 v18, v5, v20
.LBB98_7:                               ;   Parent Loop BB98_5 Depth=1
                                        ; =>  This Inner Loop Header: Depth=2
	global_load_b64 v[20:21], v[16:17], off offset:-4
	global_load_b64 v[22:23], v[14:15], off
	v_add_nc_u64_e32 v[12:13], 64, v[12:13]
	s_wait_xcnt 0x0
	v_add_nc_u64_e32 v[14:15], 0x200, v[14:15]
	v_add_nc_u64_e32 v[16:17], 0x200, v[16:17]
	s_delay_alu instid0(VALU_DEP_3)
	v_cmp_ge_i64_e32 vcc_lo, v[12:13], v[10:11]
	s_or_b32 s25, vcc_lo, s25
	s_wait_loadcnt 0x1
	v_cndmask_b32_e64 v19, v21, -v21, s22
	s_wait_loadcnt 0x0
	v_sub_nc_u64_e64 v[22:23], v[22:23], s[20:21]
	s_delay_alu instid0(VALU_DEP_2) | instskip(NEXT) | instid1(VALU_DEP_2)
	v_dual_mul_f32 v21, v19, -v18 :: v_dual_mul_f32 v19, v1, v19
	v_lshl_add_u64 v[22:23], v[22:23], 3, s[18:19]
	s_delay_alu instid0(VALU_DEP_2)
	v_dual_fmac_f32 v21, v1, v20 :: v_dual_fmac_f32 v19, v18, v20
	global_atomic_add_f32 v[22:23], v21, off scope:SCOPE_DEV
	s_wait_xcnt 0x0
	global_atomic_add_f32 v[22:23], v19, off offset:4 scope:SCOPE_DEV
	s_wait_xcnt 0x0
	s_and_not1_b32 exec_lo, exec_lo, s25
	s_cbranch_execnz .LBB98_7
	s_branch .LBB98_4
.LBB98_8:
	s_or_b32 exec_lo, exec_lo, s1
	s_mov_b32 s1, 0
.LBB98_9:
	s_delay_alu instid0(SALU_CYCLE_1)
	s_and_not1_b32 vcc_lo, exec_lo, s1
	s_cbranch_vccnz .LBB98_18
; %bb.10:
	s_and_b32 exec_lo, exec_lo, s0
	s_cbranch_execz .LBB98_18
; %bb.11:
	v_mov_b32_e32 v1, 0
	s_mov_b32 s21, 0
	s_wait_kmcnt 0x0
	s_add_nc_u64 s[0:1], s[14:15], 4
	s_mov_b32 s6, s21
	v_sub_nc_u64_e64 v[0:1], v[0:1], s[20:21]
	s_branch .LBB98_13
.LBB98_12:                              ;   in Loop: Header=BB98_13 Depth=1
	s_or_b32 exec_lo, exec_lo, s7
	v_add_nc_u64_e32 v[2:3], s[2:3], v[2:3]
	s_delay_alu instid0(VALU_DEP_1) | instskip(SKIP_1) | instid1(SALU_CYCLE_1)
	v_cmp_le_i64_e32 vcc_lo, s[4:5], v[2:3]
	s_or_b32 s6, vcc_lo, s6
	s_and_not1_b32 exec_lo, exec_lo, s6
	s_cbranch_execz .LBB98_18
.LBB98_13:                              ; =>This Loop Header: Depth=1
                                        ;     Child Loop BB98_16 Depth 2
	v_lshlrev_b64_e32 v[6:7], 3, v[2:3]
	s_mov_b32 s7, exec_lo
	s_delay_alu instid0(VALU_DEP_1)
	v_add_nc_u64_e32 v[8:9], s[10:11], v[6:7]
	v_add_nc_u64_e32 v[6:7], s[8:9], v[6:7]
	global_load_b64 v[10:11], v[8:9], off
	global_load_b64 v[12:13], v[6:7], off
	s_wait_loadcnt 0x1
	s_wait_xcnt 0x0
	v_sub_nc_u64_e64 v[6:7], v[10:11], s[20:21]
	s_wait_loadcnt 0x0
	v_add_nc_u64_e32 v[8:9], v[12:13], v[0:1]
	s_delay_alu instid0(VALU_DEP_1)
	v_cmpx_lt_i64_e64 v[8:9], v[6:7]
	s_cbranch_execz .LBB98_12
; %bb.14:                               ;   in Loop: Header=BB98_13 Depth=1
	v_lshl_add_u64 v[10:11], v[2:3], 3, s[16:17]
	v_lshlrev_b64_e32 v[12:13], 3, v[8:9]
	s_mov_b32 s14, 0
	global_load_b64 v[14:15], v[10:11], off
	s_wait_xcnt 0x0
	v_add_nc_u64_e32 v[10:11], s[12:13], v[12:13]
	v_add_nc_u64_e32 v[12:13], s[0:1], v[12:13]
	s_wait_loadcnt 0x0
	v_dual_mul_f32 v16, v15, -v5 :: v_dual_mul_f32 v17, v4, v15
	s_delay_alu instid0(VALU_DEP_1)
	v_dual_fmac_f32 v16, v4, v14 :: v_dual_fmac_f32 v17, v5, v14
	s_branch .LBB98_16
.LBB98_15:                              ;   in Loop: Header=BB98_16 Depth=2
	s_wait_xcnt 0x0
	s_or_b32 exec_lo, exec_lo, s15
	v_add_nc_u64_e32 v[8:9], 64, v[8:9]
	v_add_nc_u64_e32 v[10:11], 0x200, v[10:11]
	;; [unrolled: 1-line block ×3, first 2 shown]
	s_delay_alu instid0(VALU_DEP_3) | instskip(SKIP_1) | instid1(SALU_CYCLE_1)
	v_cmp_ge_i64_e32 vcc_lo, v[8:9], v[6:7]
	s_or_b32 s14, vcc_lo, s14
	s_and_not1_b32 exec_lo, exec_lo, s14
	s_cbranch_execz .LBB98_12
.LBB98_16:                              ;   Parent Loop BB98_13 Depth=1
                                        ; =>  This Inner Loop Header: Depth=2
	global_load_b64 v[14:15], v[10:11], off
	s_mov_b32 s15, exec_lo
	s_wait_loadcnt 0x0
	v_sub_nc_u64_e64 v[14:15], v[14:15], s[20:21]
	s_wait_xcnt 0x0
	s_delay_alu instid0(VALU_DEP_1)
	v_cmpx_ne_u64_e64 v[14:15], v[2:3]
	s_cbranch_execz .LBB98_15
; %bb.17:                               ;   in Loop: Header=BB98_16 Depth=2
	global_load_b64 v[18:19], v[12:13], off offset:-4
	v_lshl_add_u64 v[14:15], v[14:15], 3, s[18:19]
	s_wait_loadcnt 0x0
	v_cndmask_b32_e64 v19, v19, -v19, s22
	s_delay_alu instid0(VALU_DEP_1) | instskip(NEXT) | instid1(VALU_DEP_1)
	v_mul_f32_e64 v20, v19, -v17
	v_dual_fmac_f32 v20, v16, v18 :: v_dual_mul_f32 v19, v16, v19
	s_delay_alu instid0(VALU_DEP_1)
	v_fmac_f32_e32 v19, v17, v18
	s_wait_xcnt 0x0
	global_atomic_add_f32 v[14:15], v20, off scope:SCOPE_DEV
	s_wait_xcnt 0x0
	global_atomic_add_f32 v[14:15], v19, off offset:4 scope:SCOPE_DEV
	s_branch .LBB98_15
.LBB98_18:
	s_endpgm
	.section	.rodata,"a",@progbits
	.p2align	6, 0x0
	.amdhsa_kernel _ZN9rocsparseL21csrmvt_general_kernelILj256ELj64Ell21rocsparse_complex_numIfES2_S2_S2_EEvbbT2_NS_24const_host_device_scalarIT6_EEPKT1_S9_PKS3_PKT3_PKT4_PT5_21rocsparse_index_base_b
		.amdhsa_group_segment_fixed_size 0
		.amdhsa_private_segment_fixed_size 0
		.amdhsa_kernarg_size 336
		.amdhsa_user_sgpr_count 2
		.amdhsa_user_sgpr_dispatch_ptr 0
		.amdhsa_user_sgpr_queue_ptr 0
		.amdhsa_user_sgpr_kernarg_segment_ptr 1
		.amdhsa_user_sgpr_dispatch_id 0
		.amdhsa_user_sgpr_kernarg_preload_length 0
		.amdhsa_user_sgpr_kernarg_preload_offset 0
		.amdhsa_user_sgpr_private_segment_size 0
		.amdhsa_wavefront_size32 1
		.amdhsa_uses_dynamic_stack 0
		.amdhsa_enable_private_segment 0
		.amdhsa_system_sgpr_workgroup_id_x 1
		.amdhsa_system_sgpr_workgroup_id_y 0
		.amdhsa_system_sgpr_workgroup_id_z 0
		.amdhsa_system_sgpr_workgroup_info 0
		.amdhsa_system_vgpr_workitem_id 0
		.amdhsa_next_free_vgpr 24
		.amdhsa_next_free_sgpr 26
		.amdhsa_named_barrier_count 0
		.amdhsa_reserve_vcc 1
		.amdhsa_float_round_mode_32 0
		.amdhsa_float_round_mode_16_64 0
		.amdhsa_float_denorm_mode_32 3
		.amdhsa_float_denorm_mode_16_64 3
		.amdhsa_fp16_overflow 0
		.amdhsa_memory_ordered 1
		.amdhsa_forward_progress 1
		.amdhsa_inst_pref_size 9
		.amdhsa_round_robin_scheduling 0
		.amdhsa_exception_fp_ieee_invalid_op 0
		.amdhsa_exception_fp_denorm_src 0
		.amdhsa_exception_fp_ieee_div_zero 0
		.amdhsa_exception_fp_ieee_overflow 0
		.amdhsa_exception_fp_ieee_underflow 0
		.amdhsa_exception_fp_ieee_inexact 0
		.amdhsa_exception_int_div_zero 0
	.end_amdhsa_kernel
	.section	.text._ZN9rocsparseL21csrmvt_general_kernelILj256ELj64Ell21rocsparse_complex_numIfES2_S2_S2_EEvbbT2_NS_24const_host_device_scalarIT6_EEPKT1_S9_PKS3_PKT3_PKT4_PT5_21rocsparse_index_base_b,"axG",@progbits,_ZN9rocsparseL21csrmvt_general_kernelILj256ELj64Ell21rocsparse_complex_numIfES2_S2_S2_EEvbbT2_NS_24const_host_device_scalarIT6_EEPKT1_S9_PKS3_PKT3_PKT4_PT5_21rocsparse_index_base_b,comdat
.Lfunc_end98:
	.size	_ZN9rocsparseL21csrmvt_general_kernelILj256ELj64Ell21rocsparse_complex_numIfES2_S2_S2_EEvbbT2_NS_24const_host_device_scalarIT6_EEPKT1_S9_PKS3_PKT3_PKT4_PT5_21rocsparse_index_base_b, .Lfunc_end98-_ZN9rocsparseL21csrmvt_general_kernelILj256ELj64Ell21rocsparse_complex_numIfES2_S2_S2_EEvbbT2_NS_24const_host_device_scalarIT6_EEPKT1_S9_PKS3_PKT3_PKT4_PT5_21rocsparse_index_base_b
                                        ; -- End function
	.set _ZN9rocsparseL21csrmvt_general_kernelILj256ELj64Ell21rocsparse_complex_numIfES2_S2_S2_EEvbbT2_NS_24const_host_device_scalarIT6_EEPKT1_S9_PKS3_PKT3_PKT4_PT5_21rocsparse_index_base_b.num_vgpr, 24
	.set _ZN9rocsparseL21csrmvt_general_kernelILj256ELj64Ell21rocsparse_complex_numIfES2_S2_S2_EEvbbT2_NS_24const_host_device_scalarIT6_EEPKT1_S9_PKS3_PKT3_PKT4_PT5_21rocsparse_index_base_b.num_agpr, 0
	.set _ZN9rocsparseL21csrmvt_general_kernelILj256ELj64Ell21rocsparse_complex_numIfES2_S2_S2_EEvbbT2_NS_24const_host_device_scalarIT6_EEPKT1_S9_PKS3_PKT3_PKT4_PT5_21rocsparse_index_base_b.numbered_sgpr, 26
	.set _ZN9rocsparseL21csrmvt_general_kernelILj256ELj64Ell21rocsparse_complex_numIfES2_S2_S2_EEvbbT2_NS_24const_host_device_scalarIT6_EEPKT1_S9_PKS3_PKT3_PKT4_PT5_21rocsparse_index_base_b.num_named_barrier, 0
	.set _ZN9rocsparseL21csrmvt_general_kernelILj256ELj64Ell21rocsparse_complex_numIfES2_S2_S2_EEvbbT2_NS_24const_host_device_scalarIT6_EEPKT1_S9_PKS3_PKT3_PKT4_PT5_21rocsparse_index_base_b.private_seg_size, 0
	.set _ZN9rocsparseL21csrmvt_general_kernelILj256ELj64Ell21rocsparse_complex_numIfES2_S2_S2_EEvbbT2_NS_24const_host_device_scalarIT6_EEPKT1_S9_PKS3_PKT3_PKT4_PT5_21rocsparse_index_base_b.uses_vcc, 1
	.set _ZN9rocsparseL21csrmvt_general_kernelILj256ELj64Ell21rocsparse_complex_numIfES2_S2_S2_EEvbbT2_NS_24const_host_device_scalarIT6_EEPKT1_S9_PKS3_PKT3_PKT4_PT5_21rocsparse_index_base_b.uses_flat_scratch, 0
	.set _ZN9rocsparseL21csrmvt_general_kernelILj256ELj64Ell21rocsparse_complex_numIfES2_S2_S2_EEvbbT2_NS_24const_host_device_scalarIT6_EEPKT1_S9_PKS3_PKT3_PKT4_PT5_21rocsparse_index_base_b.has_dyn_sized_stack, 0
	.set _ZN9rocsparseL21csrmvt_general_kernelILj256ELj64Ell21rocsparse_complex_numIfES2_S2_S2_EEvbbT2_NS_24const_host_device_scalarIT6_EEPKT1_S9_PKS3_PKT3_PKT4_PT5_21rocsparse_index_base_b.has_recursion, 0
	.set _ZN9rocsparseL21csrmvt_general_kernelILj256ELj64Ell21rocsparse_complex_numIfES2_S2_S2_EEvbbT2_NS_24const_host_device_scalarIT6_EEPKT1_S9_PKS3_PKT3_PKT4_PT5_21rocsparse_index_base_b.has_indirect_call, 0
	.section	.AMDGPU.csdata,"",@progbits
; Kernel info:
; codeLenInByte = 1064
; TotalNumSgprs: 28
; NumVgprs: 24
; ScratchSize: 0
; MemoryBound: 0
; FloatMode: 240
; IeeeMode: 1
; LDSByteSize: 0 bytes/workgroup (compile time only)
; SGPRBlocks: 0
; VGPRBlocks: 1
; NumSGPRsForWavesPerEU: 28
; NumVGPRsForWavesPerEU: 24
; NamedBarCnt: 0
; Occupancy: 16
; WaveLimiterHint : 1
; COMPUTE_PGM_RSRC2:SCRATCH_EN: 0
; COMPUTE_PGM_RSRC2:USER_SGPR: 2
; COMPUTE_PGM_RSRC2:TRAP_HANDLER: 0
; COMPUTE_PGM_RSRC2:TGID_X_EN: 1
; COMPUTE_PGM_RSRC2:TGID_Y_EN: 0
; COMPUTE_PGM_RSRC2:TGID_Z_EN: 0
; COMPUTE_PGM_RSRC2:TIDIG_COMP_CNT: 0
	.section	.text._ZN9rocsparseL21csrmvn_general_kernelILj256ELj2Eii21rocsparse_complex_numIdES2_S2_S2_EEvbT2_NS_24const_host_device_scalarIT6_EEPKT1_S9_PKS3_PKT3_PKT4_S6_PT5_21rocsparse_index_base_b,"axG",@progbits,_ZN9rocsparseL21csrmvn_general_kernelILj256ELj2Eii21rocsparse_complex_numIdES2_S2_S2_EEvbT2_NS_24const_host_device_scalarIT6_EEPKT1_S9_PKS3_PKT3_PKT4_S6_PT5_21rocsparse_index_base_b,comdat
	.globl	_ZN9rocsparseL21csrmvn_general_kernelILj256ELj2Eii21rocsparse_complex_numIdES2_S2_S2_EEvbT2_NS_24const_host_device_scalarIT6_EEPKT1_S9_PKS3_PKT3_PKT4_S6_PT5_21rocsparse_index_base_b ; -- Begin function _ZN9rocsparseL21csrmvn_general_kernelILj256ELj2Eii21rocsparse_complex_numIdES2_S2_S2_EEvbT2_NS_24const_host_device_scalarIT6_EEPKT1_S9_PKS3_PKT3_PKT4_S6_PT5_21rocsparse_index_base_b
	.p2align	8
	.type	_ZN9rocsparseL21csrmvn_general_kernelILj256ELj2Eii21rocsparse_complex_numIdES2_S2_S2_EEvbT2_NS_24const_host_device_scalarIT6_EEPKT1_S9_PKS3_PKT3_PKT4_S6_PT5_21rocsparse_index_base_b,@function
_ZN9rocsparseL21csrmvn_general_kernelILj256ELj2Eii21rocsparse_complex_numIdES2_S2_S2_EEvbT2_NS_24const_host_device_scalarIT6_EEPKT1_S9_PKS3_PKT3_PKT4_S6_PT5_21rocsparse_index_base_b: ; @_ZN9rocsparseL21csrmvn_general_kernelILj256ELj2Eii21rocsparse_complex_numIdES2_S2_S2_EEvbT2_NS_24const_host_device_scalarIT6_EEPKT1_S9_PKS3_PKT3_PKT4_S6_PT5_21rocsparse_index_base_b
; %bb.0:
	s_clause 0x1
	s_load_b64 s[12:13], s[0:1], 0x58
	s_load_b64 s[2:3], s[0:1], 0x8
	v_mov_b32_e32 v1, 0
	s_add_nc_u64 s[4:5], s[0:1], 8
	s_load_b64 s[6:7], s[0:1], 0x40
	s_wait_kmcnt 0x0
	s_bitcmp1_b32 s13, 0
	s_cselect_b32 s3, s5, s3
	s_cselect_b32 s2, s4, s2
	flat_load_b128 v[2:5], v1, s[2:3]
	s_wait_xcnt 0x0
	s_add_nc_u64 s[2:3], s[0:1], 64
	s_delay_alu instid0(SALU_CYCLE_1)
	s_cselect_b32 s3, s3, s7
	s_cselect_b32 s2, s2, s6
	flat_load_b128 v[6:9], v1, s[2:3]
	s_wait_loadcnt_dscnt 0x101
	v_cmp_eq_f64_e32 vcc_lo, 0, v[2:3]
	s_wait_xcnt 0x0
	v_cmp_eq_f64_e64 s2, 0, v[4:5]
	s_and_b32 s4, vcc_lo, s2
	s_mov_b32 s2, -1
	s_and_saveexec_b32 s3, s4
	s_cbranch_execz .LBB99_2
; %bb.1:
	s_wait_loadcnt_dscnt 0x0
	v_cmp_neq_f64_e32 vcc_lo, 1.0, v[6:7]
	v_cmp_neq_f64_e64 s2, 0, v[8:9]
	s_or_b32 s2, vcc_lo, s2
	s_delay_alu instid0(SALU_CYCLE_1)
	s_or_not1_b32 s2, s2, exec_lo
.LBB99_2:
	s_or_b32 exec_lo, exec_lo, s3
	s_and_saveexec_b32 s3, s2
	s_cbranch_execz .LBB99_14
; %bb.3:
	s_bfe_u32 s2, ttmp6, 0x4000c
	s_load_b64 s[14:15], s[0:1], 0x0
	s_add_co_i32 s2, s2, 1
	s_and_b32 s3, ttmp6, 15
	s_mul_i32 s2, ttmp9, s2
	s_getreg_b32 s4, hwreg(HW_REG_IB_STS2, 6, 4)
	s_add_co_i32 s3, s3, s2
	s_cmp_eq_u32 s4, 0
	s_mov_b32 s20, 0
	s_cselect_b32 s2, ttmp9, s3
	s_delay_alu instid0(SALU_CYCLE_1) | instskip(NEXT) | instid1(VALU_DEP_1)
	v_lshl_or_b32 v1, s2, 8, v0
	v_lshrrev_b32_e32 v14, 1, v1
	s_wait_kmcnt 0x0
	s_delay_alu instid0(VALU_DEP_1)
	v_cmp_gt_i32_e32 vcc_lo, s15, v14
	s_and_b32 exec_lo, exec_lo, vcc_lo
	s_cbranch_execz .LBB99_14
; %bb.4:
	s_wait_loadcnt_dscnt 0x0
	v_cmp_neq_f64_e64 s2, 0, v[6:7]
	v_cmp_neq_f64_e64 s3, 0, v[8:9]
	s_clause 0x1
	s_load_b32 s13, s[0:1], 0x60
	s_load_b64 s[18:19], s[0:1], 0x38
	v_mbcnt_lo_u32_b32 v1, -1, 0
	s_clause 0x1
	s_load_b64 s[16:17], s[0:1], 0x50
	s_load_b256 s[4:11], s[0:1], 0x18
	s_delay_alu instid0(VALU_DEP_1) | instskip(NEXT) | instid1(VALU_DEP_1)
	v_xor_b32_e32 v10, 1, v1
	v_cmp_gt_i32_e32 vcc_lo, 32, v10
	v_dual_cndmask_b32 v1, v1, v10, vcc_lo :: v_dual_bitop2_b32 v0, 1, v0 bitop3:0x40
	s_delay_alu instid0(VALU_DEP_1)
	v_subrev_nc_u32_e32 v18, s12, v0
	s_wait_xcnt 0x0
	v_cmp_eq_u32_e64 s0, 1, v0
	s_wait_kmcnt 0x0
	s_lshl_b32 s21, s13, 7
	s_bitcmp1_b32 s14, 0
	v_lshlrev_b32_e32 v19, 2, v1
	s_cselect_b32 vcc_lo, -1, 0
	s_ashr_i32 s13, s12, 31
	s_delay_alu instid0(SALU_CYCLE_1) | instskip(NEXT) | instid1(SALU_CYCLE_1)
	s_lshl_b64 s[22:23], s[12:13], 4
	s_sub_nc_u64 s[18:19], s[18:19], s[22:23]
	s_or_b32 s2, s2, s3
	s_branch .LBB99_7
.LBB99_5:                               ;   in Loop: Header=BB99_7 Depth=1
	s_wait_xcnt 0x0
	s_or_b32 exec_lo, exec_lo, s3
	global_store_b128 v[0:1], v[10:13], off
.LBB99_6:                               ;   in Loop: Header=BB99_7 Depth=1
	s_wait_xcnt 0x0
	s_or_b32 exec_lo, exec_lo, s1
	v_add_nc_u32_e32 v14, s21, v14
	s_delay_alu instid0(VALU_DEP_1) | instskip(SKIP_1) | instid1(SALU_CYCLE_1)
	v_cmp_le_i32_e64 s1, s15, v14
	s_or_b32 s20, s1, s20
	s_and_not1_b32 exec_lo, exec_lo, s20
	s_cbranch_execz .LBB99_14
.LBB99_7:                               ; =>This Loop Header: Depth=1
                                        ;     Child Loop BB99_9 Depth 2
	s_clause 0x1
	global_load_b32 v0, v14, s[6:7] scale_offset
	global_load_b32 v1, v14, s[4:5] scale_offset
	v_mov_b64_e32 v[10:11], 0
	s_mov_b32 s3, exec_lo
	s_wait_loadcnt_dscnt 0x101
	v_subrev_nc_u32_e32 v12, s12, v0
	s_wait_loadcnt_dscnt 0x0
	v_add_nc_u32_e32 v13, v1, v18
	v_mov_b64_e32 v[0:1], 0
	s_wait_xcnt 0x0
	s_delay_alu instid0(VALU_DEP_2)
	v_cmpx_lt_i32_e64 v13, v12
	s_cbranch_execz .LBB99_11
; %bb.8:                                ;   in Loop: Header=BB99_7 Depth=1
	v_mov_b64_e32 v[0:1], 0
	v_mov_b64_e32 v[10:11], 0
	s_mov_b32 s13, 0
.LBB99_9:                               ;   Parent Loop BB99_7 Depth=1
                                        ; =>  This Inner Loop Header: Depth=2
	s_clause 0x1
	global_load_b32 v15, v13, s[8:9] scale_offset
	global_load_b128 v[20:23], v13, s[10:11] scale_offset
	s_wait_xcnt 0x0
	v_add_nc_u32_e32 v13, 2, v13
	s_delay_alu instid0(VALU_DEP_1)
	v_cmp_ge_i32_e64 s1, v13, v12
	s_or_b32 s13, s1, s13
	s_wait_loadcnt 0x1
	global_load_b128 v[24:27], v15, s[18:19] scale_offset
	s_wait_loadcnt 0x1
	s_wait_xcnt 0x0
	v_xor_b32_e32 v15, 0x80000000, v23
	s_delay_alu instid0(VALU_DEP_1) | instskip(NEXT) | instid1(VALU_DEP_1)
	v_cndmask_b32_e32 v23, v23, v15, vcc_lo
	v_mul_f64_e64 v[16:17], v[22:23], -v[4:5]
	v_mul_f64_e32 v[22:23], v[2:3], v[22:23]
	s_delay_alu instid0(VALU_DEP_2) | instskip(NEXT) | instid1(VALU_DEP_2)
	v_fmac_f64_e32 v[16:17], v[2:3], v[20:21]
	v_fmac_f64_e32 v[22:23], v[4:5], v[20:21]
	s_wait_loadcnt 0x0
	s_delay_alu instid0(VALU_DEP_2) | instskip(NEXT) | instid1(VALU_DEP_2)
	v_fmac_f64_e32 v[10:11], v[16:17], v[24:25]
	v_fmac_f64_e32 v[0:1], v[22:23], v[24:25]
	s_delay_alu instid0(VALU_DEP_2) | instskip(NEXT) | instid1(VALU_DEP_2)
	v_fma_f64 v[10:11], -v[22:23], v[26:27], v[10:11]
	v_fmac_f64_e32 v[0:1], v[16:17], v[26:27]
	s_and_not1_b32 exec_lo, exec_lo, s13
	s_cbranch_execnz .LBB99_9
; %bb.10:                               ;   in Loop: Header=BB99_7 Depth=1
	s_or_b32 exec_lo, exec_lo, s13
.LBB99_11:                              ;   in Loop: Header=BB99_7 Depth=1
	s_delay_alu instid0(SALU_CYCLE_1)
	s_or_b32 exec_lo, exec_lo, s3
	ds_bpermute_b32 v16, v19, v10
	ds_bpermute_b32 v17, v19, v11
	;; [unrolled: 1-line block ×4, first 2 shown]
	v_ashrrev_i32_e32 v15, 31, v14
	s_and_saveexec_b32 s1, s0
	s_cbranch_execz .LBB99_6
; %bb.12:                               ;   in Loop: Header=BB99_7 Depth=1
	s_wait_dscnt 0x2
	v_add_f64_e32 v[10:11], v[10:11], v[16:17]
	s_wait_dscnt 0x0
	v_add_f64_e32 v[12:13], v[0:1], v[12:13]
	v_lshl_add_u64 v[0:1], v[14:15], 4, s[16:17]
	s_and_saveexec_b32 s3, s2
	s_cbranch_execz .LBB99_5
; %bb.13:                               ;   in Loop: Header=BB99_7 Depth=1
	global_load_b128 v[20:23], v[0:1], off
	s_wait_loadcnt 0x0
	v_fmac_f64_e32 v[10:11], v[6:7], v[20:21]
	v_fmac_f64_e32 v[12:13], v[8:9], v[20:21]
	s_delay_alu instid0(VALU_DEP_2) | instskip(NEXT) | instid1(VALU_DEP_2)
	v_fma_f64 v[10:11], -v[8:9], v[22:23], v[10:11]
	v_fmac_f64_e32 v[12:13], v[6:7], v[22:23]
	s_branch .LBB99_5
.LBB99_14:
	s_endpgm
	.section	.rodata,"a",@progbits
	.p2align	6, 0x0
	.amdhsa_kernel _ZN9rocsparseL21csrmvn_general_kernelILj256ELj2Eii21rocsparse_complex_numIdES2_S2_S2_EEvbT2_NS_24const_host_device_scalarIT6_EEPKT1_S9_PKS3_PKT3_PKT4_S6_PT5_21rocsparse_index_base_b
		.amdhsa_group_segment_fixed_size 0
		.amdhsa_private_segment_fixed_size 0
		.amdhsa_kernarg_size 352
		.amdhsa_user_sgpr_count 2
		.amdhsa_user_sgpr_dispatch_ptr 0
		.amdhsa_user_sgpr_queue_ptr 0
		.amdhsa_user_sgpr_kernarg_segment_ptr 1
		.amdhsa_user_sgpr_dispatch_id 0
		.amdhsa_user_sgpr_kernarg_preload_length 0
		.amdhsa_user_sgpr_kernarg_preload_offset 0
		.amdhsa_user_sgpr_private_segment_size 0
		.amdhsa_wavefront_size32 1
		.amdhsa_uses_dynamic_stack 0
		.amdhsa_enable_private_segment 0
		.amdhsa_system_sgpr_workgroup_id_x 1
		.amdhsa_system_sgpr_workgroup_id_y 0
		.amdhsa_system_sgpr_workgroup_id_z 0
		.amdhsa_system_sgpr_workgroup_info 0
		.amdhsa_system_vgpr_workitem_id 0
		.amdhsa_next_free_vgpr 28
		.amdhsa_next_free_sgpr 24
		.amdhsa_named_barrier_count 0
		.amdhsa_reserve_vcc 1
		.amdhsa_float_round_mode_32 0
		.amdhsa_float_round_mode_16_64 0
		.amdhsa_float_denorm_mode_32 3
		.amdhsa_float_denorm_mode_16_64 3
		.amdhsa_fp16_overflow 0
		.amdhsa_memory_ordered 1
		.amdhsa_forward_progress 1
		.amdhsa_inst_pref_size 7
		.amdhsa_round_robin_scheduling 0
		.amdhsa_exception_fp_ieee_invalid_op 0
		.amdhsa_exception_fp_denorm_src 0
		.amdhsa_exception_fp_ieee_div_zero 0
		.amdhsa_exception_fp_ieee_overflow 0
		.amdhsa_exception_fp_ieee_underflow 0
		.amdhsa_exception_fp_ieee_inexact 0
		.amdhsa_exception_int_div_zero 0
	.end_amdhsa_kernel
	.section	.text._ZN9rocsparseL21csrmvn_general_kernelILj256ELj2Eii21rocsparse_complex_numIdES2_S2_S2_EEvbT2_NS_24const_host_device_scalarIT6_EEPKT1_S9_PKS3_PKT3_PKT4_S6_PT5_21rocsparse_index_base_b,"axG",@progbits,_ZN9rocsparseL21csrmvn_general_kernelILj256ELj2Eii21rocsparse_complex_numIdES2_S2_S2_EEvbT2_NS_24const_host_device_scalarIT6_EEPKT1_S9_PKS3_PKT3_PKT4_S6_PT5_21rocsparse_index_base_b,comdat
.Lfunc_end99:
	.size	_ZN9rocsparseL21csrmvn_general_kernelILj256ELj2Eii21rocsparse_complex_numIdES2_S2_S2_EEvbT2_NS_24const_host_device_scalarIT6_EEPKT1_S9_PKS3_PKT3_PKT4_S6_PT5_21rocsparse_index_base_b, .Lfunc_end99-_ZN9rocsparseL21csrmvn_general_kernelILj256ELj2Eii21rocsparse_complex_numIdES2_S2_S2_EEvbT2_NS_24const_host_device_scalarIT6_EEPKT1_S9_PKS3_PKT3_PKT4_S6_PT5_21rocsparse_index_base_b
                                        ; -- End function
	.set _ZN9rocsparseL21csrmvn_general_kernelILj256ELj2Eii21rocsparse_complex_numIdES2_S2_S2_EEvbT2_NS_24const_host_device_scalarIT6_EEPKT1_S9_PKS3_PKT3_PKT4_S6_PT5_21rocsparse_index_base_b.num_vgpr, 28
	.set _ZN9rocsparseL21csrmvn_general_kernelILj256ELj2Eii21rocsparse_complex_numIdES2_S2_S2_EEvbT2_NS_24const_host_device_scalarIT6_EEPKT1_S9_PKS3_PKT3_PKT4_S6_PT5_21rocsparse_index_base_b.num_agpr, 0
	.set _ZN9rocsparseL21csrmvn_general_kernelILj256ELj2Eii21rocsparse_complex_numIdES2_S2_S2_EEvbT2_NS_24const_host_device_scalarIT6_EEPKT1_S9_PKS3_PKT3_PKT4_S6_PT5_21rocsparse_index_base_b.numbered_sgpr, 24
	.set _ZN9rocsparseL21csrmvn_general_kernelILj256ELj2Eii21rocsparse_complex_numIdES2_S2_S2_EEvbT2_NS_24const_host_device_scalarIT6_EEPKT1_S9_PKS3_PKT3_PKT4_S6_PT5_21rocsparse_index_base_b.num_named_barrier, 0
	.set _ZN9rocsparseL21csrmvn_general_kernelILj256ELj2Eii21rocsparse_complex_numIdES2_S2_S2_EEvbT2_NS_24const_host_device_scalarIT6_EEPKT1_S9_PKS3_PKT3_PKT4_S6_PT5_21rocsparse_index_base_b.private_seg_size, 0
	.set _ZN9rocsparseL21csrmvn_general_kernelILj256ELj2Eii21rocsparse_complex_numIdES2_S2_S2_EEvbT2_NS_24const_host_device_scalarIT6_EEPKT1_S9_PKS3_PKT3_PKT4_S6_PT5_21rocsparse_index_base_b.uses_vcc, 1
	.set _ZN9rocsparseL21csrmvn_general_kernelILj256ELj2Eii21rocsparse_complex_numIdES2_S2_S2_EEvbT2_NS_24const_host_device_scalarIT6_EEPKT1_S9_PKS3_PKT3_PKT4_S6_PT5_21rocsparse_index_base_b.uses_flat_scratch, 0
	.set _ZN9rocsparseL21csrmvn_general_kernelILj256ELj2Eii21rocsparse_complex_numIdES2_S2_S2_EEvbT2_NS_24const_host_device_scalarIT6_EEPKT1_S9_PKS3_PKT3_PKT4_S6_PT5_21rocsparse_index_base_b.has_dyn_sized_stack, 0
	.set _ZN9rocsparseL21csrmvn_general_kernelILj256ELj2Eii21rocsparse_complex_numIdES2_S2_S2_EEvbT2_NS_24const_host_device_scalarIT6_EEPKT1_S9_PKS3_PKT3_PKT4_S6_PT5_21rocsparse_index_base_b.has_recursion, 0
	.set _ZN9rocsparseL21csrmvn_general_kernelILj256ELj2Eii21rocsparse_complex_numIdES2_S2_S2_EEvbT2_NS_24const_host_device_scalarIT6_EEPKT1_S9_PKS3_PKT3_PKT4_S6_PT5_21rocsparse_index_base_b.has_indirect_call, 0
	.section	.AMDGPU.csdata,"",@progbits
; Kernel info:
; codeLenInByte = 848
; TotalNumSgprs: 26
; NumVgprs: 28
; ScratchSize: 0
; MemoryBound: 0
; FloatMode: 240
; IeeeMode: 1
; LDSByteSize: 0 bytes/workgroup (compile time only)
; SGPRBlocks: 0
; VGPRBlocks: 1
; NumSGPRsForWavesPerEU: 26
; NumVGPRsForWavesPerEU: 28
; NamedBarCnt: 0
; Occupancy: 16
; WaveLimiterHint : 1
; COMPUTE_PGM_RSRC2:SCRATCH_EN: 0
; COMPUTE_PGM_RSRC2:USER_SGPR: 2
; COMPUTE_PGM_RSRC2:TRAP_HANDLER: 0
; COMPUTE_PGM_RSRC2:TGID_X_EN: 1
; COMPUTE_PGM_RSRC2:TGID_Y_EN: 0
; COMPUTE_PGM_RSRC2:TGID_Z_EN: 0
; COMPUTE_PGM_RSRC2:TIDIG_COMP_CNT: 0
	.section	.text._ZN9rocsparseL21csrmvn_general_kernelILj256ELj4Eii21rocsparse_complex_numIdES2_S2_S2_EEvbT2_NS_24const_host_device_scalarIT6_EEPKT1_S9_PKS3_PKT3_PKT4_S6_PT5_21rocsparse_index_base_b,"axG",@progbits,_ZN9rocsparseL21csrmvn_general_kernelILj256ELj4Eii21rocsparse_complex_numIdES2_S2_S2_EEvbT2_NS_24const_host_device_scalarIT6_EEPKT1_S9_PKS3_PKT3_PKT4_S6_PT5_21rocsparse_index_base_b,comdat
	.globl	_ZN9rocsparseL21csrmvn_general_kernelILj256ELj4Eii21rocsparse_complex_numIdES2_S2_S2_EEvbT2_NS_24const_host_device_scalarIT6_EEPKT1_S9_PKS3_PKT3_PKT4_S6_PT5_21rocsparse_index_base_b ; -- Begin function _ZN9rocsparseL21csrmvn_general_kernelILj256ELj4Eii21rocsparse_complex_numIdES2_S2_S2_EEvbT2_NS_24const_host_device_scalarIT6_EEPKT1_S9_PKS3_PKT3_PKT4_S6_PT5_21rocsparse_index_base_b
	.p2align	8
	.type	_ZN9rocsparseL21csrmvn_general_kernelILj256ELj4Eii21rocsparse_complex_numIdES2_S2_S2_EEvbT2_NS_24const_host_device_scalarIT6_EEPKT1_S9_PKS3_PKT3_PKT4_S6_PT5_21rocsparse_index_base_b,@function
_ZN9rocsparseL21csrmvn_general_kernelILj256ELj4Eii21rocsparse_complex_numIdES2_S2_S2_EEvbT2_NS_24const_host_device_scalarIT6_EEPKT1_S9_PKS3_PKT3_PKT4_S6_PT5_21rocsparse_index_base_b: ; @_ZN9rocsparseL21csrmvn_general_kernelILj256ELj4Eii21rocsparse_complex_numIdES2_S2_S2_EEvbT2_NS_24const_host_device_scalarIT6_EEPKT1_S9_PKS3_PKT3_PKT4_S6_PT5_21rocsparse_index_base_b
; %bb.0:
	s_clause 0x1
	s_load_b64 s[12:13], s[0:1], 0x58
	s_load_b64 s[2:3], s[0:1], 0x8
	v_mov_b32_e32 v1, 0
	s_add_nc_u64 s[4:5], s[0:1], 8
	s_load_b64 s[6:7], s[0:1], 0x40
	s_wait_kmcnt 0x0
	s_bitcmp1_b32 s13, 0
	s_cselect_b32 s3, s5, s3
	s_cselect_b32 s2, s4, s2
	flat_load_b128 v[2:5], v1, s[2:3]
	s_wait_xcnt 0x0
	s_add_nc_u64 s[2:3], s[0:1], 64
	s_delay_alu instid0(SALU_CYCLE_1)
	s_cselect_b32 s3, s3, s7
	s_cselect_b32 s2, s2, s6
	flat_load_b128 v[6:9], v1, s[2:3]
	s_wait_loadcnt_dscnt 0x101
	v_cmp_eq_f64_e32 vcc_lo, 0, v[2:3]
	s_wait_xcnt 0x0
	v_cmp_eq_f64_e64 s2, 0, v[4:5]
	s_and_b32 s4, vcc_lo, s2
	s_mov_b32 s2, -1
	s_and_saveexec_b32 s3, s4
	s_cbranch_execz .LBB100_2
; %bb.1:
	s_wait_loadcnt_dscnt 0x0
	v_cmp_neq_f64_e32 vcc_lo, 1.0, v[6:7]
	v_cmp_neq_f64_e64 s2, 0, v[8:9]
	s_or_b32 s2, vcc_lo, s2
	s_delay_alu instid0(SALU_CYCLE_1)
	s_or_not1_b32 s2, s2, exec_lo
.LBB100_2:
	s_or_b32 exec_lo, exec_lo, s3
	s_and_saveexec_b32 s3, s2
	s_cbranch_execz .LBB100_14
; %bb.3:
	s_bfe_u32 s2, ttmp6, 0x4000c
	s_load_b64 s[14:15], s[0:1], 0x0
	s_add_co_i32 s2, s2, 1
	s_and_b32 s3, ttmp6, 15
	s_mul_i32 s2, ttmp9, s2
	s_getreg_b32 s4, hwreg(HW_REG_IB_STS2, 6, 4)
	s_add_co_i32 s3, s3, s2
	s_cmp_eq_u32 s4, 0
	s_mov_b32 s20, 0
	s_cselect_b32 s2, ttmp9, s3
	s_delay_alu instid0(SALU_CYCLE_1) | instskip(NEXT) | instid1(VALU_DEP_1)
	v_lshl_or_b32 v1, s2, 8, v0
	v_lshrrev_b32_e32 v14, 2, v1
	s_wait_kmcnt 0x0
	s_delay_alu instid0(VALU_DEP_1)
	v_cmp_gt_i32_e32 vcc_lo, s15, v14
	s_and_b32 exec_lo, exec_lo, vcc_lo
	s_cbranch_execz .LBB100_14
; %bb.4:
	v_mbcnt_lo_u32_b32 v1, -1, 0
	s_wait_loadcnt_dscnt 0x0
	v_cmp_neq_f64_e64 s2, 0, v[6:7]
	v_cmp_neq_f64_e64 s3, 0, v[8:9]
	s_clause 0x3
	s_load_b32 s13, s[0:1], 0x60
	s_load_b64 s[18:19], s[0:1], 0x38
	s_load_b64 s[16:17], s[0:1], 0x50
	s_load_b256 s[4:11], s[0:1], 0x18
	v_xor_b32_e32 v11, 1, v1
	s_wait_xcnt 0x0
	s_delay_alu instid0(VALU_DEP_1) | instskip(SKIP_1) | instid1(VALU_DEP_1)
	v_cmp_gt_i32_e64 s0, 32, v11
	v_xor_b32_e32 v10, 2, v1
	v_cmp_gt_i32_e32 vcc_lo, 32, v10
	v_dual_cndmask_b32 v10, v1, v10, vcc_lo :: v_dual_bitop2_b32 v0, 3, v0 bitop3:0x40
	s_delay_alu instid0(VALU_DEP_1)
	v_subrev_nc_u32_e32 v18, s12, v0
	s_wait_kmcnt 0x0
	s_lshl_b32 s21, s13, 6
	s_bitcmp1_b32 s14, 0
	v_dual_lshlrev_b32 v19, 2, v10 :: v_dual_cndmask_b32 v1, v1, v11, s0
	s_cselect_b32 vcc_lo, -1, 0
	s_ashr_i32 s13, s12, 31
	v_cmp_eq_u32_e64 s0, 3, v0
	s_lshl_b64 s[22:23], s[12:13], 4
	v_lshlrev_b32_e32 v20, 2, v1
	s_sub_nc_u64 s[18:19], s[18:19], s[22:23]
	s_or_b32 s2, s2, s3
	s_branch .LBB100_7
.LBB100_5:                              ;   in Loop: Header=BB100_7 Depth=1
	s_wait_xcnt 0x0
	s_or_b32 exec_lo, exec_lo, s3
	global_store_b128 v[0:1], v[10:13], off
.LBB100_6:                              ;   in Loop: Header=BB100_7 Depth=1
	s_wait_xcnt 0x0
	s_or_b32 exec_lo, exec_lo, s1
	v_add_nc_u32_e32 v14, s21, v14
	s_delay_alu instid0(VALU_DEP_1) | instskip(SKIP_1) | instid1(SALU_CYCLE_1)
	v_cmp_le_i32_e64 s1, s15, v14
	s_or_b32 s20, s1, s20
	s_and_not1_b32 exec_lo, exec_lo, s20
	s_cbranch_execz .LBB100_14
.LBB100_7:                              ; =>This Loop Header: Depth=1
                                        ;     Child Loop BB100_9 Depth 2
	s_clause 0x1
	global_load_b32 v0, v14, s[6:7] scale_offset
	global_load_b32 v1, v14, s[4:5] scale_offset
	v_mov_b64_e32 v[10:11], 0
	s_mov_b32 s3, exec_lo
	s_wait_loadcnt_dscnt 0x101
	v_subrev_nc_u32_e32 v12, s12, v0
	s_wait_loadcnt_dscnt 0x0
	v_add_nc_u32_e32 v13, v1, v18
	v_mov_b64_e32 v[0:1], 0
	s_wait_xcnt 0x0
	s_delay_alu instid0(VALU_DEP_2)
	v_cmpx_lt_i32_e64 v13, v12
	s_cbranch_execz .LBB100_11
; %bb.8:                                ;   in Loop: Header=BB100_7 Depth=1
	v_mov_b64_e32 v[0:1], 0
	v_mov_b64_e32 v[10:11], 0
	s_mov_b32 s13, 0
.LBB100_9:                              ;   Parent Loop BB100_7 Depth=1
                                        ; =>  This Inner Loop Header: Depth=2
	s_clause 0x1
	global_load_b32 v15, v13, s[8:9] scale_offset
	global_load_b128 v[22:25], v13, s[10:11] scale_offset
	s_wait_xcnt 0x0
	v_add_nc_u32_e32 v13, 4, v13
	s_delay_alu instid0(VALU_DEP_1)
	v_cmp_ge_i32_e64 s1, v13, v12
	s_or_b32 s13, s1, s13
	s_wait_loadcnt 0x1
	global_load_b128 v[26:29], v15, s[18:19] scale_offset
	s_wait_loadcnt 0x1
	s_wait_xcnt 0x0
	v_xor_b32_e32 v15, 0x80000000, v25
	s_delay_alu instid0(VALU_DEP_1) | instskip(NEXT) | instid1(VALU_DEP_1)
	v_cndmask_b32_e32 v25, v25, v15, vcc_lo
	v_mul_f64_e64 v[16:17], v[24:25], -v[4:5]
	v_mul_f64_e32 v[24:25], v[2:3], v[24:25]
	s_delay_alu instid0(VALU_DEP_2) | instskip(NEXT) | instid1(VALU_DEP_2)
	v_fmac_f64_e32 v[16:17], v[2:3], v[22:23]
	v_fmac_f64_e32 v[24:25], v[4:5], v[22:23]
	s_wait_loadcnt 0x0
	s_delay_alu instid0(VALU_DEP_2) | instskip(NEXT) | instid1(VALU_DEP_2)
	v_fmac_f64_e32 v[10:11], v[16:17], v[26:27]
	v_fmac_f64_e32 v[0:1], v[24:25], v[26:27]
	s_delay_alu instid0(VALU_DEP_2) | instskip(NEXT) | instid1(VALU_DEP_2)
	v_fma_f64 v[10:11], -v[24:25], v[28:29], v[10:11]
	v_fmac_f64_e32 v[0:1], v[16:17], v[28:29]
	s_and_not1_b32 exec_lo, exec_lo, s13
	s_cbranch_execnz .LBB100_9
; %bb.10:                               ;   in Loop: Header=BB100_7 Depth=1
	s_or_b32 exec_lo, exec_lo, s13
.LBB100_11:                             ;   in Loop: Header=BB100_7 Depth=1
	s_delay_alu instid0(SALU_CYCLE_1)
	s_or_b32 exec_lo, exec_lo, s3
	ds_bpermute_b32 v12, v19, v10
	ds_bpermute_b32 v13, v19, v11
	;; [unrolled: 1-line block ×4, first 2 shown]
	s_wait_dscnt 0x2
	v_dual_add_f64 v[10:11], v[10:11], v[12:13] :: v_dual_ashrrev_i32 v15, 31, v14
	s_wait_dscnt 0x0
	v_add_f64_e32 v[0:1], v[0:1], v[16:17]
	ds_bpermute_b32 v16, v20, v10
	ds_bpermute_b32 v17, v20, v11
	;; [unrolled: 1-line block ×4, first 2 shown]
	s_and_saveexec_b32 s1, s0
	s_cbranch_execz .LBB100_6
; %bb.12:                               ;   in Loop: Header=BB100_7 Depth=1
	s_wait_dscnt 0x2
	v_add_f64_e32 v[10:11], v[10:11], v[16:17]
	s_wait_dscnt 0x0
	v_add_f64_e32 v[12:13], v[0:1], v[12:13]
	v_lshl_add_u64 v[0:1], v[14:15], 4, s[16:17]
	s_and_saveexec_b32 s3, s2
	s_cbranch_execz .LBB100_5
; %bb.13:                               ;   in Loop: Header=BB100_7 Depth=1
	global_load_b128 v[22:25], v[0:1], off
	s_wait_loadcnt 0x0
	v_fmac_f64_e32 v[10:11], v[6:7], v[22:23]
	v_fmac_f64_e32 v[12:13], v[8:9], v[22:23]
	s_delay_alu instid0(VALU_DEP_2) | instskip(NEXT) | instid1(VALU_DEP_2)
	v_fma_f64 v[10:11], -v[8:9], v[24:25], v[10:11]
	v_fmac_f64_e32 v[12:13], v[6:7], v[24:25]
	s_branch .LBB100_5
.LBB100_14:
	s_endpgm
	.section	.rodata,"a",@progbits
	.p2align	6, 0x0
	.amdhsa_kernel _ZN9rocsparseL21csrmvn_general_kernelILj256ELj4Eii21rocsparse_complex_numIdES2_S2_S2_EEvbT2_NS_24const_host_device_scalarIT6_EEPKT1_S9_PKS3_PKT3_PKT4_S6_PT5_21rocsparse_index_base_b
		.amdhsa_group_segment_fixed_size 0
		.amdhsa_private_segment_fixed_size 0
		.amdhsa_kernarg_size 352
		.amdhsa_user_sgpr_count 2
		.amdhsa_user_sgpr_dispatch_ptr 0
		.amdhsa_user_sgpr_queue_ptr 0
		.amdhsa_user_sgpr_kernarg_segment_ptr 1
		.amdhsa_user_sgpr_dispatch_id 0
		.amdhsa_user_sgpr_kernarg_preload_length 0
		.amdhsa_user_sgpr_kernarg_preload_offset 0
		.amdhsa_user_sgpr_private_segment_size 0
		.amdhsa_wavefront_size32 1
		.amdhsa_uses_dynamic_stack 0
		.amdhsa_enable_private_segment 0
		.amdhsa_system_sgpr_workgroup_id_x 1
		.amdhsa_system_sgpr_workgroup_id_y 0
		.amdhsa_system_sgpr_workgroup_id_z 0
		.amdhsa_system_sgpr_workgroup_info 0
		.amdhsa_system_vgpr_workitem_id 0
		.amdhsa_next_free_vgpr 30
		.amdhsa_next_free_sgpr 24
		.amdhsa_named_barrier_count 0
		.amdhsa_reserve_vcc 1
		.amdhsa_float_round_mode_32 0
		.amdhsa_float_round_mode_16_64 0
		.amdhsa_float_denorm_mode_32 3
		.amdhsa_float_denorm_mode_16_64 3
		.amdhsa_fp16_overflow 0
		.amdhsa_memory_ordered 1
		.amdhsa_forward_progress 1
		.amdhsa_inst_pref_size 8
		.amdhsa_round_robin_scheduling 0
		.amdhsa_exception_fp_ieee_invalid_op 0
		.amdhsa_exception_fp_denorm_src 0
		.amdhsa_exception_fp_ieee_div_zero 0
		.amdhsa_exception_fp_ieee_overflow 0
		.amdhsa_exception_fp_ieee_underflow 0
		.amdhsa_exception_fp_ieee_inexact 0
		.amdhsa_exception_int_div_zero 0
	.end_amdhsa_kernel
	.section	.text._ZN9rocsparseL21csrmvn_general_kernelILj256ELj4Eii21rocsparse_complex_numIdES2_S2_S2_EEvbT2_NS_24const_host_device_scalarIT6_EEPKT1_S9_PKS3_PKT3_PKT4_S6_PT5_21rocsparse_index_base_b,"axG",@progbits,_ZN9rocsparseL21csrmvn_general_kernelILj256ELj4Eii21rocsparse_complex_numIdES2_S2_S2_EEvbT2_NS_24const_host_device_scalarIT6_EEPKT1_S9_PKS3_PKT3_PKT4_S6_PT5_21rocsparse_index_base_b,comdat
.Lfunc_end100:
	.size	_ZN9rocsparseL21csrmvn_general_kernelILj256ELj4Eii21rocsparse_complex_numIdES2_S2_S2_EEvbT2_NS_24const_host_device_scalarIT6_EEPKT1_S9_PKS3_PKT3_PKT4_S6_PT5_21rocsparse_index_base_b, .Lfunc_end100-_ZN9rocsparseL21csrmvn_general_kernelILj256ELj4Eii21rocsparse_complex_numIdES2_S2_S2_EEvbT2_NS_24const_host_device_scalarIT6_EEPKT1_S9_PKS3_PKT3_PKT4_S6_PT5_21rocsparse_index_base_b
                                        ; -- End function
	.set _ZN9rocsparseL21csrmvn_general_kernelILj256ELj4Eii21rocsparse_complex_numIdES2_S2_S2_EEvbT2_NS_24const_host_device_scalarIT6_EEPKT1_S9_PKS3_PKT3_PKT4_S6_PT5_21rocsparse_index_base_b.num_vgpr, 30
	.set _ZN9rocsparseL21csrmvn_general_kernelILj256ELj4Eii21rocsparse_complex_numIdES2_S2_S2_EEvbT2_NS_24const_host_device_scalarIT6_EEPKT1_S9_PKS3_PKT3_PKT4_S6_PT5_21rocsparse_index_base_b.num_agpr, 0
	.set _ZN9rocsparseL21csrmvn_general_kernelILj256ELj4Eii21rocsparse_complex_numIdES2_S2_S2_EEvbT2_NS_24const_host_device_scalarIT6_EEPKT1_S9_PKS3_PKT3_PKT4_S6_PT5_21rocsparse_index_base_b.numbered_sgpr, 24
	.set _ZN9rocsparseL21csrmvn_general_kernelILj256ELj4Eii21rocsparse_complex_numIdES2_S2_S2_EEvbT2_NS_24const_host_device_scalarIT6_EEPKT1_S9_PKS3_PKT3_PKT4_S6_PT5_21rocsparse_index_base_b.num_named_barrier, 0
	.set _ZN9rocsparseL21csrmvn_general_kernelILj256ELj4Eii21rocsparse_complex_numIdES2_S2_S2_EEvbT2_NS_24const_host_device_scalarIT6_EEPKT1_S9_PKS3_PKT3_PKT4_S6_PT5_21rocsparse_index_base_b.private_seg_size, 0
	.set _ZN9rocsparseL21csrmvn_general_kernelILj256ELj4Eii21rocsparse_complex_numIdES2_S2_S2_EEvbT2_NS_24const_host_device_scalarIT6_EEPKT1_S9_PKS3_PKT3_PKT4_S6_PT5_21rocsparse_index_base_b.uses_vcc, 1
	.set _ZN9rocsparseL21csrmvn_general_kernelILj256ELj4Eii21rocsparse_complex_numIdES2_S2_S2_EEvbT2_NS_24const_host_device_scalarIT6_EEPKT1_S9_PKS3_PKT3_PKT4_S6_PT5_21rocsparse_index_base_b.uses_flat_scratch, 0
	.set _ZN9rocsparseL21csrmvn_general_kernelILj256ELj4Eii21rocsparse_complex_numIdES2_S2_S2_EEvbT2_NS_24const_host_device_scalarIT6_EEPKT1_S9_PKS3_PKT3_PKT4_S6_PT5_21rocsparse_index_base_b.has_dyn_sized_stack, 0
	.set _ZN9rocsparseL21csrmvn_general_kernelILj256ELj4Eii21rocsparse_complex_numIdES2_S2_S2_EEvbT2_NS_24const_host_device_scalarIT6_EEPKT1_S9_PKS3_PKT3_PKT4_S6_PT5_21rocsparse_index_base_b.has_recursion, 0
	.set _ZN9rocsparseL21csrmvn_general_kernelILj256ELj4Eii21rocsparse_complex_numIdES2_S2_S2_EEvbT2_NS_24const_host_device_scalarIT6_EEPKT1_S9_PKS3_PKT3_PKT4_S6_PT5_21rocsparse_index_base_b.has_indirect_call, 0
	.section	.AMDGPU.csdata,"",@progbits
; Kernel info:
; codeLenInByte = 916
; TotalNumSgprs: 26
; NumVgprs: 30
; ScratchSize: 0
; MemoryBound: 0
; FloatMode: 240
; IeeeMode: 1
; LDSByteSize: 0 bytes/workgroup (compile time only)
; SGPRBlocks: 0
; VGPRBlocks: 1
; NumSGPRsForWavesPerEU: 26
; NumVGPRsForWavesPerEU: 30
; NamedBarCnt: 0
; Occupancy: 16
; WaveLimiterHint : 1
; COMPUTE_PGM_RSRC2:SCRATCH_EN: 0
; COMPUTE_PGM_RSRC2:USER_SGPR: 2
; COMPUTE_PGM_RSRC2:TRAP_HANDLER: 0
; COMPUTE_PGM_RSRC2:TGID_X_EN: 1
; COMPUTE_PGM_RSRC2:TGID_Y_EN: 0
; COMPUTE_PGM_RSRC2:TGID_Z_EN: 0
; COMPUTE_PGM_RSRC2:TIDIG_COMP_CNT: 0
	.section	.text._ZN9rocsparseL21csrmvn_general_kernelILj256ELj8Eii21rocsparse_complex_numIdES2_S2_S2_EEvbT2_NS_24const_host_device_scalarIT6_EEPKT1_S9_PKS3_PKT3_PKT4_S6_PT5_21rocsparse_index_base_b,"axG",@progbits,_ZN9rocsparseL21csrmvn_general_kernelILj256ELj8Eii21rocsparse_complex_numIdES2_S2_S2_EEvbT2_NS_24const_host_device_scalarIT6_EEPKT1_S9_PKS3_PKT3_PKT4_S6_PT5_21rocsparse_index_base_b,comdat
	.globl	_ZN9rocsparseL21csrmvn_general_kernelILj256ELj8Eii21rocsparse_complex_numIdES2_S2_S2_EEvbT2_NS_24const_host_device_scalarIT6_EEPKT1_S9_PKS3_PKT3_PKT4_S6_PT5_21rocsparse_index_base_b ; -- Begin function _ZN9rocsparseL21csrmvn_general_kernelILj256ELj8Eii21rocsparse_complex_numIdES2_S2_S2_EEvbT2_NS_24const_host_device_scalarIT6_EEPKT1_S9_PKS3_PKT3_PKT4_S6_PT5_21rocsparse_index_base_b
	.p2align	8
	.type	_ZN9rocsparseL21csrmvn_general_kernelILj256ELj8Eii21rocsparse_complex_numIdES2_S2_S2_EEvbT2_NS_24const_host_device_scalarIT6_EEPKT1_S9_PKS3_PKT3_PKT4_S6_PT5_21rocsparse_index_base_b,@function
_ZN9rocsparseL21csrmvn_general_kernelILj256ELj8Eii21rocsparse_complex_numIdES2_S2_S2_EEvbT2_NS_24const_host_device_scalarIT6_EEPKT1_S9_PKS3_PKT3_PKT4_S6_PT5_21rocsparse_index_base_b: ; @_ZN9rocsparseL21csrmvn_general_kernelILj256ELj8Eii21rocsparse_complex_numIdES2_S2_S2_EEvbT2_NS_24const_host_device_scalarIT6_EEPKT1_S9_PKS3_PKT3_PKT4_S6_PT5_21rocsparse_index_base_b
; %bb.0:
	s_clause 0x1
	s_load_b64 s[12:13], s[0:1], 0x58
	s_load_b64 s[2:3], s[0:1], 0x8
	v_mov_b32_e32 v1, 0
	s_add_nc_u64 s[4:5], s[0:1], 8
	s_load_b64 s[6:7], s[0:1], 0x40
	s_wait_kmcnt 0x0
	s_bitcmp1_b32 s13, 0
	s_cselect_b32 s3, s5, s3
	s_cselect_b32 s2, s4, s2
	flat_load_b128 v[2:5], v1, s[2:3]
	s_wait_xcnt 0x0
	s_add_nc_u64 s[2:3], s[0:1], 64
	s_delay_alu instid0(SALU_CYCLE_1)
	s_cselect_b32 s3, s3, s7
	s_cselect_b32 s2, s2, s6
	flat_load_b128 v[6:9], v1, s[2:3]
	s_wait_loadcnt_dscnt 0x101
	v_cmp_eq_f64_e32 vcc_lo, 0, v[2:3]
	s_wait_xcnt 0x0
	v_cmp_eq_f64_e64 s2, 0, v[4:5]
	s_and_b32 s4, vcc_lo, s2
	s_mov_b32 s2, -1
	s_and_saveexec_b32 s3, s4
	s_cbranch_execz .LBB101_2
; %bb.1:
	s_wait_loadcnt_dscnt 0x0
	v_cmp_neq_f64_e32 vcc_lo, 1.0, v[6:7]
	v_cmp_neq_f64_e64 s2, 0, v[8:9]
	s_or_b32 s2, vcc_lo, s2
	s_delay_alu instid0(SALU_CYCLE_1)
	s_or_not1_b32 s2, s2, exec_lo
.LBB101_2:
	s_or_b32 exec_lo, exec_lo, s3
	s_and_saveexec_b32 s3, s2
	s_cbranch_execz .LBB101_14
; %bb.3:
	s_bfe_u32 s2, ttmp6, 0x4000c
	s_load_b64 s[14:15], s[0:1], 0x0
	s_add_co_i32 s2, s2, 1
	s_and_b32 s3, ttmp6, 15
	s_mul_i32 s2, ttmp9, s2
	s_getreg_b32 s4, hwreg(HW_REG_IB_STS2, 6, 4)
	s_add_co_i32 s3, s3, s2
	s_cmp_eq_u32 s4, 0
	s_mov_b32 s20, 0
	s_cselect_b32 s2, ttmp9, s3
	s_delay_alu instid0(SALU_CYCLE_1) | instskip(NEXT) | instid1(VALU_DEP_1)
	v_lshl_or_b32 v1, s2, 8, v0
	v_lshrrev_b32_e32 v14, 3, v1
	s_wait_kmcnt 0x0
	s_delay_alu instid0(VALU_DEP_1)
	v_cmp_gt_i32_e32 vcc_lo, s15, v14
	s_and_b32 exec_lo, exec_lo, vcc_lo
	s_cbranch_execz .LBB101_14
; %bb.4:
	v_mbcnt_lo_u32_b32 v1, -1, 0
	s_wait_loadcnt_dscnt 0x0
	v_cmp_neq_f64_e64 s2, 0, v[6:7]
	v_cmp_neq_f64_e64 s3, 0, v[8:9]
	s_clause 0x1
	s_load_b32 s13, s[0:1], 0x60
	s_load_b256 s[4:11], s[0:1], 0x18
	v_xor_b32_e32 v12, 1, v1
	s_clause 0x1
	s_load_b64 s[16:17], s[0:1], 0x50
	s_load_b64 s[18:19], s[0:1], 0x38
	s_wait_xcnt 0x0
	v_cmp_gt_i32_e64 s0, 32, v12
	v_xor_b32_e32 v11, 2, v1
	v_xor_b32_e32 v10, 4, v1
	s_delay_alu instid0(VALU_DEP_1) | instskip(SKIP_1) | instid1(VALU_DEP_4)
	v_cmp_gt_i32_e32 vcc_lo, 32, v10
	v_dual_cndmask_b32 v10, v1, v10, vcc_lo :: v_dual_bitop2_b32 v0, 7, v0 bitop3:0x40
	v_cmp_gt_i32_e32 vcc_lo, 32, v11
	s_wait_kmcnt 0x0
	s_lshl_b32 s21, s13, 5
	s_bitcmp1_b32 s14, 0
	v_subrev_nc_u32_e32 v18, s12, v0
	v_dual_lshlrev_b32 v19, 2, v10 :: v_dual_cndmask_b32 v11, v1, v11, vcc_lo
	v_cndmask_b32_e64 v1, v1, v12, s0
	s_cselect_b32 vcc_lo, -1, 0
	s_ashr_i32 s13, s12, 31
	v_cmp_eq_u32_e64 s0, 7, v0
	s_delay_alu instid0(VALU_DEP_2)
	v_dual_lshlrev_b32 v20, 2, v11 :: v_dual_lshlrev_b32 v21, 2, v1
	s_lshl_b64 s[22:23], s[12:13], 4
	s_or_b32 s2, s2, s3
	s_sub_nc_u64 s[18:19], s[18:19], s[22:23]
	s_branch .LBB101_7
.LBB101_5:                              ;   in Loop: Header=BB101_7 Depth=1
	s_wait_xcnt 0x0
	s_or_b32 exec_lo, exec_lo, s3
	global_store_b128 v[0:1], v[10:13], off
.LBB101_6:                              ;   in Loop: Header=BB101_7 Depth=1
	s_wait_xcnt 0x0
	s_or_b32 exec_lo, exec_lo, s1
	v_add_nc_u32_e32 v14, s21, v14
	s_delay_alu instid0(VALU_DEP_1) | instskip(SKIP_1) | instid1(SALU_CYCLE_1)
	v_cmp_le_i32_e64 s1, s15, v14
	s_or_b32 s20, s1, s20
	s_and_not1_b32 exec_lo, exec_lo, s20
	s_cbranch_execz .LBB101_14
.LBB101_7:                              ; =>This Loop Header: Depth=1
                                        ;     Child Loop BB101_9 Depth 2
	s_clause 0x1
	global_load_b32 v0, v14, s[6:7] scale_offset
	global_load_b32 v1, v14, s[4:5] scale_offset
	s_wait_dscnt 0x2
	v_mov_b64_e32 v[10:11], 0
	s_mov_b32 s3, exec_lo
	s_wait_loadcnt 0x1
	v_subrev_nc_u32_e32 v12, s12, v0
	s_wait_loadcnt 0x0
	v_add_nc_u32_e32 v13, v1, v18
	v_mov_b64_e32 v[0:1], 0
	s_wait_xcnt 0x0
	s_delay_alu instid0(VALU_DEP_2)
	v_cmpx_lt_i32_e64 v13, v12
	s_cbranch_execz .LBB101_11
; %bb.8:                                ;   in Loop: Header=BB101_7 Depth=1
	v_mov_b64_e32 v[0:1], 0
	v_mov_b64_e32 v[10:11], 0
	s_mov_b32 s13, 0
.LBB101_9:                              ;   Parent Loop BB101_7 Depth=1
                                        ; =>  This Inner Loop Header: Depth=2
	s_clause 0x1
	global_load_b32 v15, v13, s[8:9] scale_offset
	global_load_b128 v[22:25], v13, s[10:11] scale_offset
	s_wait_xcnt 0x0
	v_add_nc_u32_e32 v13, 8, v13
	s_delay_alu instid0(VALU_DEP_1)
	v_cmp_ge_i32_e64 s1, v13, v12
	s_or_b32 s13, s1, s13
	s_wait_loadcnt 0x1
	global_load_b128 v[26:29], v15, s[18:19] scale_offset
	s_wait_loadcnt 0x1
	s_wait_xcnt 0x0
	v_xor_b32_e32 v15, 0x80000000, v25
	s_delay_alu instid0(VALU_DEP_1) | instskip(SKIP_1) | instid1(VALU_DEP_1)
	v_cndmask_b32_e32 v25, v25, v15, vcc_lo
	s_wait_dscnt 0x0
	v_mul_f64_e64 v[16:17], v[24:25], -v[4:5]
	v_mul_f64_e32 v[24:25], v[2:3], v[24:25]
	s_delay_alu instid0(VALU_DEP_2) | instskip(NEXT) | instid1(VALU_DEP_2)
	v_fmac_f64_e32 v[16:17], v[2:3], v[22:23]
	v_fmac_f64_e32 v[24:25], v[4:5], v[22:23]
	s_wait_loadcnt 0x0
	s_delay_alu instid0(VALU_DEP_2) | instskip(NEXT) | instid1(VALU_DEP_2)
	v_fmac_f64_e32 v[10:11], v[16:17], v[26:27]
	v_fmac_f64_e32 v[0:1], v[24:25], v[26:27]
	s_delay_alu instid0(VALU_DEP_2) | instskip(NEXT) | instid1(VALU_DEP_2)
	v_fma_f64 v[10:11], -v[24:25], v[28:29], v[10:11]
	v_fmac_f64_e32 v[0:1], v[16:17], v[28:29]
	s_and_not1_b32 exec_lo, exec_lo, s13
	s_cbranch_execnz .LBB101_9
; %bb.10:                               ;   in Loop: Header=BB101_7 Depth=1
	s_or_b32 exec_lo, exec_lo, s13
.LBB101_11:                             ;   in Loop: Header=BB101_7 Depth=1
	s_delay_alu instid0(SALU_CYCLE_1)
	s_or_b32 exec_lo, exec_lo, s3
	ds_bpermute_b32 v12, v19, v10
	ds_bpermute_b32 v13, v19, v11
	s_wait_dscnt 0x3
	ds_bpermute_b32 v16, v19, v0
	s_wait_dscnt 0x3
	;; [unrolled: 2-line block ×3, first 2 shown]
	v_dual_add_f64 v[10:11], v[10:11], v[12:13] :: v_dual_ashrrev_i32 v15, 31, v14
	s_wait_dscnt 0x0
	v_add_f64_e32 v[12:13], v[0:1], v[16:17]
	ds_bpermute_b32 v0, v20, v10
	ds_bpermute_b32 v1, v20, v11
	ds_bpermute_b32 v16, v20, v12
	ds_bpermute_b32 v17, v20, v13
	s_wait_dscnt 0x2
	v_add_f64_e32 v[0:1], v[10:11], v[0:1]
	s_wait_dscnt 0x0
	v_add_f64_e32 v[12:13], v[12:13], v[16:17]
	ds_bpermute_b32 v10, v21, v0
	ds_bpermute_b32 v11, v21, v1
	;; [unrolled: 1-line block ×4, first 2 shown]
	s_and_saveexec_b32 s1, s0
	s_cbranch_execz .LBB101_6
; %bb.12:                               ;   in Loop: Header=BB101_7 Depth=1
	s_wait_dscnt 0x2
	v_add_f64_e32 v[10:11], v[0:1], v[10:11]
	s_wait_dscnt 0x0
	v_add_f64_e32 v[12:13], v[12:13], v[16:17]
	v_lshl_add_u64 v[0:1], v[14:15], 4, s[16:17]
	s_and_saveexec_b32 s3, s2
	s_cbranch_execz .LBB101_5
; %bb.13:                               ;   in Loop: Header=BB101_7 Depth=1
	global_load_b128 v[22:25], v[0:1], off
	s_wait_loadcnt 0x0
	v_fmac_f64_e32 v[10:11], v[6:7], v[22:23]
	v_fmac_f64_e32 v[12:13], v[8:9], v[22:23]
	s_delay_alu instid0(VALU_DEP_2) | instskip(NEXT) | instid1(VALU_DEP_2)
	v_fma_f64 v[10:11], -v[8:9], v[24:25], v[10:11]
	v_fmac_f64_e32 v[12:13], v[6:7], v[24:25]
	s_branch .LBB101_5
.LBB101_14:
	s_endpgm
	.section	.rodata,"a",@progbits
	.p2align	6, 0x0
	.amdhsa_kernel _ZN9rocsparseL21csrmvn_general_kernelILj256ELj8Eii21rocsparse_complex_numIdES2_S2_S2_EEvbT2_NS_24const_host_device_scalarIT6_EEPKT1_S9_PKS3_PKT3_PKT4_S6_PT5_21rocsparse_index_base_b
		.amdhsa_group_segment_fixed_size 0
		.amdhsa_private_segment_fixed_size 0
		.amdhsa_kernarg_size 352
		.amdhsa_user_sgpr_count 2
		.amdhsa_user_sgpr_dispatch_ptr 0
		.amdhsa_user_sgpr_queue_ptr 0
		.amdhsa_user_sgpr_kernarg_segment_ptr 1
		.amdhsa_user_sgpr_dispatch_id 0
		.amdhsa_user_sgpr_kernarg_preload_length 0
		.amdhsa_user_sgpr_kernarg_preload_offset 0
		.amdhsa_user_sgpr_private_segment_size 0
		.amdhsa_wavefront_size32 1
		.amdhsa_uses_dynamic_stack 0
		.amdhsa_enable_private_segment 0
		.amdhsa_system_sgpr_workgroup_id_x 1
		.amdhsa_system_sgpr_workgroup_id_y 0
		.amdhsa_system_sgpr_workgroup_id_z 0
		.amdhsa_system_sgpr_workgroup_info 0
		.amdhsa_system_vgpr_workitem_id 0
		.amdhsa_next_free_vgpr 30
		.amdhsa_next_free_sgpr 24
		.amdhsa_named_barrier_count 0
		.amdhsa_reserve_vcc 1
		.amdhsa_float_round_mode_32 0
		.amdhsa_float_round_mode_16_64 0
		.amdhsa_float_denorm_mode_32 3
		.amdhsa_float_denorm_mode_16_64 3
		.amdhsa_fp16_overflow 0
		.amdhsa_memory_ordered 1
		.amdhsa_forward_progress 1
		.amdhsa_inst_pref_size 8
		.amdhsa_round_robin_scheduling 0
		.amdhsa_exception_fp_ieee_invalid_op 0
		.amdhsa_exception_fp_denorm_src 0
		.amdhsa_exception_fp_ieee_div_zero 0
		.amdhsa_exception_fp_ieee_overflow 0
		.amdhsa_exception_fp_ieee_underflow 0
		.amdhsa_exception_fp_ieee_inexact 0
		.amdhsa_exception_int_div_zero 0
	.end_amdhsa_kernel
	.section	.text._ZN9rocsparseL21csrmvn_general_kernelILj256ELj8Eii21rocsparse_complex_numIdES2_S2_S2_EEvbT2_NS_24const_host_device_scalarIT6_EEPKT1_S9_PKS3_PKT3_PKT4_S6_PT5_21rocsparse_index_base_b,"axG",@progbits,_ZN9rocsparseL21csrmvn_general_kernelILj256ELj8Eii21rocsparse_complex_numIdES2_S2_S2_EEvbT2_NS_24const_host_device_scalarIT6_EEPKT1_S9_PKS3_PKT3_PKT4_S6_PT5_21rocsparse_index_base_b,comdat
.Lfunc_end101:
	.size	_ZN9rocsparseL21csrmvn_general_kernelILj256ELj8Eii21rocsparse_complex_numIdES2_S2_S2_EEvbT2_NS_24const_host_device_scalarIT6_EEPKT1_S9_PKS3_PKT3_PKT4_S6_PT5_21rocsparse_index_base_b, .Lfunc_end101-_ZN9rocsparseL21csrmvn_general_kernelILj256ELj8Eii21rocsparse_complex_numIdES2_S2_S2_EEvbT2_NS_24const_host_device_scalarIT6_EEPKT1_S9_PKS3_PKT3_PKT4_S6_PT5_21rocsparse_index_base_b
                                        ; -- End function
	.set _ZN9rocsparseL21csrmvn_general_kernelILj256ELj8Eii21rocsparse_complex_numIdES2_S2_S2_EEvbT2_NS_24const_host_device_scalarIT6_EEPKT1_S9_PKS3_PKT3_PKT4_S6_PT5_21rocsparse_index_base_b.num_vgpr, 30
	.set _ZN9rocsparseL21csrmvn_general_kernelILj256ELj8Eii21rocsparse_complex_numIdES2_S2_S2_EEvbT2_NS_24const_host_device_scalarIT6_EEPKT1_S9_PKS3_PKT3_PKT4_S6_PT5_21rocsparse_index_base_b.num_agpr, 0
	.set _ZN9rocsparseL21csrmvn_general_kernelILj256ELj8Eii21rocsparse_complex_numIdES2_S2_S2_EEvbT2_NS_24const_host_device_scalarIT6_EEPKT1_S9_PKS3_PKT3_PKT4_S6_PT5_21rocsparse_index_base_b.numbered_sgpr, 24
	.set _ZN9rocsparseL21csrmvn_general_kernelILj256ELj8Eii21rocsparse_complex_numIdES2_S2_S2_EEvbT2_NS_24const_host_device_scalarIT6_EEPKT1_S9_PKS3_PKT3_PKT4_S6_PT5_21rocsparse_index_base_b.num_named_barrier, 0
	.set _ZN9rocsparseL21csrmvn_general_kernelILj256ELj8Eii21rocsparse_complex_numIdES2_S2_S2_EEvbT2_NS_24const_host_device_scalarIT6_EEPKT1_S9_PKS3_PKT3_PKT4_S6_PT5_21rocsparse_index_base_b.private_seg_size, 0
	.set _ZN9rocsparseL21csrmvn_general_kernelILj256ELj8Eii21rocsparse_complex_numIdES2_S2_S2_EEvbT2_NS_24const_host_device_scalarIT6_EEPKT1_S9_PKS3_PKT3_PKT4_S6_PT5_21rocsparse_index_base_b.uses_vcc, 1
	.set _ZN9rocsparseL21csrmvn_general_kernelILj256ELj8Eii21rocsparse_complex_numIdES2_S2_S2_EEvbT2_NS_24const_host_device_scalarIT6_EEPKT1_S9_PKS3_PKT3_PKT4_S6_PT5_21rocsparse_index_base_b.uses_flat_scratch, 0
	.set _ZN9rocsparseL21csrmvn_general_kernelILj256ELj8Eii21rocsparse_complex_numIdES2_S2_S2_EEvbT2_NS_24const_host_device_scalarIT6_EEPKT1_S9_PKS3_PKT3_PKT4_S6_PT5_21rocsparse_index_base_b.has_dyn_sized_stack, 0
	.set _ZN9rocsparseL21csrmvn_general_kernelILj256ELj8Eii21rocsparse_complex_numIdES2_S2_S2_EEvbT2_NS_24const_host_device_scalarIT6_EEPKT1_S9_PKS3_PKT3_PKT4_S6_PT5_21rocsparse_index_base_b.has_recursion, 0
	.set _ZN9rocsparseL21csrmvn_general_kernelILj256ELj8Eii21rocsparse_complex_numIdES2_S2_S2_EEvbT2_NS_24const_host_device_scalarIT6_EEPKT1_S9_PKS3_PKT3_PKT4_S6_PT5_21rocsparse_index_base_b.has_indirect_call, 0
	.section	.AMDGPU.csdata,"",@progbits
; Kernel info:
; codeLenInByte = 1008
; TotalNumSgprs: 26
; NumVgprs: 30
; ScratchSize: 0
; MemoryBound: 0
; FloatMode: 240
; IeeeMode: 1
; LDSByteSize: 0 bytes/workgroup (compile time only)
; SGPRBlocks: 0
; VGPRBlocks: 1
; NumSGPRsForWavesPerEU: 26
; NumVGPRsForWavesPerEU: 30
; NamedBarCnt: 0
; Occupancy: 16
; WaveLimiterHint : 1
; COMPUTE_PGM_RSRC2:SCRATCH_EN: 0
; COMPUTE_PGM_RSRC2:USER_SGPR: 2
; COMPUTE_PGM_RSRC2:TRAP_HANDLER: 0
; COMPUTE_PGM_RSRC2:TGID_X_EN: 1
; COMPUTE_PGM_RSRC2:TGID_Y_EN: 0
; COMPUTE_PGM_RSRC2:TGID_Z_EN: 0
; COMPUTE_PGM_RSRC2:TIDIG_COMP_CNT: 0
	.section	.text._ZN9rocsparseL21csrmvn_general_kernelILj256ELj16Eii21rocsparse_complex_numIdES2_S2_S2_EEvbT2_NS_24const_host_device_scalarIT6_EEPKT1_S9_PKS3_PKT3_PKT4_S6_PT5_21rocsparse_index_base_b,"axG",@progbits,_ZN9rocsparseL21csrmvn_general_kernelILj256ELj16Eii21rocsparse_complex_numIdES2_S2_S2_EEvbT2_NS_24const_host_device_scalarIT6_EEPKT1_S9_PKS3_PKT3_PKT4_S6_PT5_21rocsparse_index_base_b,comdat
	.globl	_ZN9rocsparseL21csrmvn_general_kernelILj256ELj16Eii21rocsparse_complex_numIdES2_S2_S2_EEvbT2_NS_24const_host_device_scalarIT6_EEPKT1_S9_PKS3_PKT3_PKT4_S6_PT5_21rocsparse_index_base_b ; -- Begin function _ZN9rocsparseL21csrmvn_general_kernelILj256ELj16Eii21rocsparse_complex_numIdES2_S2_S2_EEvbT2_NS_24const_host_device_scalarIT6_EEPKT1_S9_PKS3_PKT3_PKT4_S6_PT5_21rocsparse_index_base_b
	.p2align	8
	.type	_ZN9rocsparseL21csrmvn_general_kernelILj256ELj16Eii21rocsparse_complex_numIdES2_S2_S2_EEvbT2_NS_24const_host_device_scalarIT6_EEPKT1_S9_PKS3_PKT3_PKT4_S6_PT5_21rocsparse_index_base_b,@function
_ZN9rocsparseL21csrmvn_general_kernelILj256ELj16Eii21rocsparse_complex_numIdES2_S2_S2_EEvbT2_NS_24const_host_device_scalarIT6_EEPKT1_S9_PKS3_PKT3_PKT4_S6_PT5_21rocsparse_index_base_b: ; @_ZN9rocsparseL21csrmvn_general_kernelILj256ELj16Eii21rocsparse_complex_numIdES2_S2_S2_EEvbT2_NS_24const_host_device_scalarIT6_EEPKT1_S9_PKS3_PKT3_PKT4_S6_PT5_21rocsparse_index_base_b
; %bb.0:
	s_clause 0x1
	s_load_b64 s[12:13], s[0:1], 0x58
	s_load_b64 s[2:3], s[0:1], 0x8
	v_mov_b32_e32 v1, 0
	s_add_nc_u64 s[4:5], s[0:1], 8
	s_load_b64 s[6:7], s[0:1], 0x40
	s_wait_kmcnt 0x0
	s_bitcmp1_b32 s13, 0
	s_cselect_b32 s3, s5, s3
	s_cselect_b32 s2, s4, s2
	flat_load_b128 v[2:5], v1, s[2:3]
	s_wait_xcnt 0x0
	s_add_nc_u64 s[2:3], s[0:1], 64
	s_delay_alu instid0(SALU_CYCLE_1)
	s_cselect_b32 s3, s3, s7
	s_cselect_b32 s2, s2, s6
	flat_load_b128 v[6:9], v1, s[2:3]
	s_wait_loadcnt_dscnt 0x101
	v_cmp_eq_f64_e32 vcc_lo, 0, v[2:3]
	s_wait_xcnt 0x0
	v_cmp_eq_f64_e64 s2, 0, v[4:5]
	s_and_b32 s4, vcc_lo, s2
	s_mov_b32 s2, -1
	s_and_saveexec_b32 s3, s4
	s_cbranch_execz .LBB102_2
; %bb.1:
	s_wait_loadcnt_dscnt 0x0
	v_cmp_neq_f64_e32 vcc_lo, 1.0, v[6:7]
	v_cmp_neq_f64_e64 s2, 0, v[8:9]
	s_or_b32 s2, vcc_lo, s2
	s_delay_alu instid0(SALU_CYCLE_1)
	s_or_not1_b32 s2, s2, exec_lo
.LBB102_2:
	s_or_b32 exec_lo, exec_lo, s3
	s_and_saveexec_b32 s3, s2
	s_cbranch_execz .LBB102_14
; %bb.3:
	s_bfe_u32 s2, ttmp6, 0x4000c
	s_load_b64 s[14:15], s[0:1], 0x0
	s_add_co_i32 s2, s2, 1
	s_and_b32 s3, ttmp6, 15
	s_mul_i32 s2, ttmp9, s2
	s_getreg_b32 s4, hwreg(HW_REG_IB_STS2, 6, 4)
	s_add_co_i32 s3, s3, s2
	s_cmp_eq_u32 s4, 0
	s_mov_b32 s20, 0
	s_cselect_b32 s2, ttmp9, s3
	s_delay_alu instid0(SALU_CYCLE_1) | instskip(NEXT) | instid1(VALU_DEP_1)
	v_lshl_or_b32 v1, s2, 8, v0
	v_lshrrev_b32_e32 v14, 4, v1
	s_wait_kmcnt 0x0
	s_delay_alu instid0(VALU_DEP_1)
	v_cmp_gt_i32_e32 vcc_lo, s15, v14
	s_and_b32 exec_lo, exec_lo, vcc_lo
	s_cbranch_execz .LBB102_14
; %bb.4:
	v_mbcnt_lo_u32_b32 v1, -1, 0
	s_wait_loadcnt_dscnt 0x0
	v_cmp_neq_f64_e64 s2, 0, v[6:7]
	v_cmp_neq_f64_e64 s3, 0, v[8:9]
	s_clause 0x3
	s_load_b32 s13, s[0:1], 0x60
	s_load_b256 s[4:11], s[0:1], 0x18
	s_load_b64 s[16:17], s[0:1], 0x50
	s_load_b64 s[18:19], s[0:1], 0x38
	v_xor_b32_e32 v12, 2, v1
	v_xor_b32_e32 v11, 4, v1
	;; [unrolled: 1-line block ×3, first 2 shown]
	s_delay_alu instid0(VALU_DEP_1) | instskip(SKIP_1) | instid1(VALU_DEP_4)
	v_cmp_gt_i32_e32 vcc_lo, 32, v10
	v_dual_cndmask_b32 v10, v1, v10, vcc_lo :: v_dual_bitop2_b32 v0, 15, v0 bitop3:0x40
	v_cmp_gt_i32_e32 vcc_lo, 32, v11
	s_delay_alu instid0(VALU_DEP_2) | instskip(NEXT) | instid1(VALU_DEP_3)
	v_subrev_nc_u32_e32 v18, s12, v0
	v_dual_lshlrev_b32 v19, 2, v10 :: v_dual_cndmask_b32 v11, v1, v11, vcc_lo
	v_xor_b32_e32 v13, 1, v1
	v_cmp_gt_i32_e32 vcc_lo, 32, v12
	s_wait_kmcnt 0x0
	s_lshl_b32 s21, s13, 4
	s_bitcmp1_b32 s14, 0
	v_lshlrev_b32_e32 v20, 2, v11
	v_cmp_gt_i32_e64 s0, 32, v13
	v_cndmask_b32_e32 v12, v1, v12, vcc_lo
	s_cselect_b32 vcc_lo, -1, 0
	s_ashr_i32 s13, s12, 31
	s_delay_alu instid0(VALU_DEP_1)
	v_dual_cndmask_b32 v1, v1, v13, s0 :: v_dual_lshlrev_b32 v21, 2, v12
	v_cmp_eq_u32_e64 s0, 15, v0
	s_lshl_b64 s[22:23], s[12:13], 4
	s_or_b32 s2, s2, s3
	v_lshlrev_b32_e32 v22, 2, v1
	s_sub_nc_u64 s[18:19], s[18:19], s[22:23]
	s_branch .LBB102_7
.LBB102_5:                              ;   in Loop: Header=BB102_7 Depth=1
	s_wait_xcnt 0x0
	s_or_b32 exec_lo, exec_lo, s3
	global_store_b128 v[0:1], v[10:13], off
.LBB102_6:                              ;   in Loop: Header=BB102_7 Depth=1
	s_wait_xcnt 0x0
	s_or_b32 exec_lo, exec_lo, s1
	v_add_nc_u32_e32 v14, s21, v14
	s_delay_alu instid0(VALU_DEP_1) | instskip(SKIP_1) | instid1(SALU_CYCLE_1)
	v_cmp_le_i32_e64 s1, s15, v14
	s_or_b32 s20, s1, s20
	s_and_not1_b32 exec_lo, exec_lo, s20
	s_cbranch_execz .LBB102_14
.LBB102_7:                              ; =>This Loop Header: Depth=1
                                        ;     Child Loop BB102_9 Depth 2
	s_clause 0x1
	global_load_b32 v0, v14, s[6:7] scale_offset
	global_load_b32 v1, v14, s[4:5] scale_offset
	s_wait_dscnt 0x2
	v_mov_b64_e32 v[10:11], 0
	s_mov_b32 s3, exec_lo
	s_wait_loadcnt 0x1
	v_subrev_nc_u32_e32 v12, s12, v0
	s_wait_loadcnt 0x0
	v_add_nc_u32_e32 v13, v1, v18
	v_mov_b64_e32 v[0:1], 0
	s_wait_xcnt 0x0
	s_delay_alu instid0(VALU_DEP_2)
	v_cmpx_lt_i32_e64 v13, v12
	s_cbranch_execz .LBB102_11
; %bb.8:                                ;   in Loop: Header=BB102_7 Depth=1
	v_mov_b64_e32 v[0:1], 0
	v_mov_b64_e32 v[10:11], 0
	s_mov_b32 s13, 0
.LBB102_9:                              ;   Parent Loop BB102_7 Depth=1
                                        ; =>  This Inner Loop Header: Depth=2
	s_clause 0x1
	global_load_b32 v15, v13, s[8:9] scale_offset
	global_load_b128 v[24:27], v13, s[10:11] scale_offset
	s_wait_xcnt 0x0
	v_add_nc_u32_e32 v13, 16, v13
	s_delay_alu instid0(VALU_DEP_1)
	v_cmp_ge_i32_e64 s1, v13, v12
	s_or_b32 s13, s1, s13
	s_wait_loadcnt 0x1
	global_load_b128 v[28:31], v15, s[18:19] scale_offset
	s_wait_loadcnt 0x1
	s_wait_xcnt 0x0
	v_xor_b32_e32 v15, 0x80000000, v27
	s_delay_alu instid0(VALU_DEP_1) | instskip(SKIP_1) | instid1(VALU_DEP_1)
	v_cndmask_b32_e32 v27, v27, v15, vcc_lo
	s_wait_dscnt 0x0
	v_mul_f64_e64 v[16:17], v[26:27], -v[4:5]
	v_mul_f64_e32 v[26:27], v[2:3], v[26:27]
	s_delay_alu instid0(VALU_DEP_2) | instskip(NEXT) | instid1(VALU_DEP_2)
	v_fmac_f64_e32 v[16:17], v[2:3], v[24:25]
	v_fmac_f64_e32 v[26:27], v[4:5], v[24:25]
	s_wait_loadcnt 0x0
	s_delay_alu instid0(VALU_DEP_2) | instskip(NEXT) | instid1(VALU_DEP_2)
	v_fmac_f64_e32 v[10:11], v[16:17], v[28:29]
	v_fmac_f64_e32 v[0:1], v[26:27], v[28:29]
	s_delay_alu instid0(VALU_DEP_2) | instskip(NEXT) | instid1(VALU_DEP_2)
	v_fma_f64 v[10:11], -v[26:27], v[30:31], v[10:11]
	v_fmac_f64_e32 v[0:1], v[16:17], v[30:31]
	s_and_not1_b32 exec_lo, exec_lo, s13
	s_cbranch_execnz .LBB102_9
; %bb.10:                               ;   in Loop: Header=BB102_7 Depth=1
	s_or_b32 exec_lo, exec_lo, s13
.LBB102_11:                             ;   in Loop: Header=BB102_7 Depth=1
	s_delay_alu instid0(SALU_CYCLE_1)
	s_or_b32 exec_lo, exec_lo, s3
	ds_bpermute_b32 v12, v19, v10
	ds_bpermute_b32 v13, v19, v11
	s_wait_dscnt 0x3
	ds_bpermute_b32 v16, v19, v0
	s_wait_dscnt 0x3
	;; [unrolled: 2-line block ×3, first 2 shown]
	v_dual_add_f64 v[10:11], v[10:11], v[12:13] :: v_dual_ashrrev_i32 v15, 31, v14
	s_wait_dscnt 0x0
	v_add_f64_e32 v[0:1], v[0:1], v[16:17]
	ds_bpermute_b32 v12, v20, v10
	ds_bpermute_b32 v13, v20, v11
	ds_bpermute_b32 v16, v20, v0
	ds_bpermute_b32 v17, v20, v1
	s_wait_dscnt 0x2
	v_add_f64_e32 v[10:11], v[10:11], v[12:13]
	s_wait_dscnt 0x0
	v_add_f64_e32 v[12:13], v[0:1], v[16:17]
	ds_bpermute_b32 v0, v21, v10
	ds_bpermute_b32 v1, v21, v11
	;; [unrolled: 1-line block ×4, first 2 shown]
	s_wait_dscnt 0x2
	v_add_f64_e32 v[0:1], v[10:11], v[0:1]
	s_wait_dscnt 0x0
	v_add_f64_e32 v[12:13], v[12:13], v[16:17]
	ds_bpermute_b32 v10, v22, v0
	ds_bpermute_b32 v11, v22, v1
	;; [unrolled: 1-line block ×4, first 2 shown]
	s_and_saveexec_b32 s1, s0
	s_cbranch_execz .LBB102_6
; %bb.12:                               ;   in Loop: Header=BB102_7 Depth=1
	s_wait_dscnt 0x2
	v_add_f64_e32 v[10:11], v[0:1], v[10:11]
	s_wait_dscnt 0x0
	v_add_f64_e32 v[12:13], v[12:13], v[16:17]
	v_lshl_add_u64 v[0:1], v[14:15], 4, s[16:17]
	s_and_saveexec_b32 s3, s2
	s_cbranch_execz .LBB102_5
; %bb.13:                               ;   in Loop: Header=BB102_7 Depth=1
	global_load_b128 v[24:27], v[0:1], off
	s_wait_loadcnt 0x0
	v_fmac_f64_e32 v[10:11], v[6:7], v[24:25]
	v_fmac_f64_e32 v[12:13], v[8:9], v[24:25]
	s_delay_alu instid0(VALU_DEP_2) | instskip(NEXT) | instid1(VALU_DEP_2)
	v_fma_f64 v[10:11], -v[8:9], v[26:27], v[10:11]
	v_fmac_f64_e32 v[12:13], v[6:7], v[26:27]
	s_branch .LBB102_5
.LBB102_14:
	s_endpgm
	.section	.rodata,"a",@progbits
	.p2align	6, 0x0
	.amdhsa_kernel _ZN9rocsparseL21csrmvn_general_kernelILj256ELj16Eii21rocsparse_complex_numIdES2_S2_S2_EEvbT2_NS_24const_host_device_scalarIT6_EEPKT1_S9_PKS3_PKT3_PKT4_S6_PT5_21rocsparse_index_base_b
		.amdhsa_group_segment_fixed_size 0
		.amdhsa_private_segment_fixed_size 0
		.amdhsa_kernarg_size 352
		.amdhsa_user_sgpr_count 2
		.amdhsa_user_sgpr_dispatch_ptr 0
		.amdhsa_user_sgpr_queue_ptr 0
		.amdhsa_user_sgpr_kernarg_segment_ptr 1
		.amdhsa_user_sgpr_dispatch_id 0
		.amdhsa_user_sgpr_kernarg_preload_length 0
		.amdhsa_user_sgpr_kernarg_preload_offset 0
		.amdhsa_user_sgpr_private_segment_size 0
		.amdhsa_wavefront_size32 1
		.amdhsa_uses_dynamic_stack 0
		.amdhsa_enable_private_segment 0
		.amdhsa_system_sgpr_workgroup_id_x 1
		.amdhsa_system_sgpr_workgroup_id_y 0
		.amdhsa_system_sgpr_workgroup_id_z 0
		.amdhsa_system_sgpr_workgroup_info 0
		.amdhsa_system_vgpr_workitem_id 0
		.amdhsa_next_free_vgpr 32
		.amdhsa_next_free_sgpr 24
		.amdhsa_named_barrier_count 0
		.amdhsa_reserve_vcc 1
		.amdhsa_float_round_mode_32 0
		.amdhsa_float_round_mode_16_64 0
		.amdhsa_float_denorm_mode_32 3
		.amdhsa_float_denorm_mode_16_64 3
		.amdhsa_fp16_overflow 0
		.amdhsa_memory_ordered 1
		.amdhsa_forward_progress 1
		.amdhsa_inst_pref_size 9
		.amdhsa_round_robin_scheduling 0
		.amdhsa_exception_fp_ieee_invalid_op 0
		.amdhsa_exception_fp_denorm_src 0
		.amdhsa_exception_fp_ieee_div_zero 0
		.amdhsa_exception_fp_ieee_overflow 0
		.amdhsa_exception_fp_ieee_underflow 0
		.amdhsa_exception_fp_ieee_inexact 0
		.amdhsa_exception_int_div_zero 0
	.end_amdhsa_kernel
	.section	.text._ZN9rocsparseL21csrmvn_general_kernelILj256ELj16Eii21rocsparse_complex_numIdES2_S2_S2_EEvbT2_NS_24const_host_device_scalarIT6_EEPKT1_S9_PKS3_PKT3_PKT4_S6_PT5_21rocsparse_index_base_b,"axG",@progbits,_ZN9rocsparseL21csrmvn_general_kernelILj256ELj16Eii21rocsparse_complex_numIdES2_S2_S2_EEvbT2_NS_24const_host_device_scalarIT6_EEPKT1_S9_PKS3_PKT3_PKT4_S6_PT5_21rocsparse_index_base_b,comdat
.Lfunc_end102:
	.size	_ZN9rocsparseL21csrmvn_general_kernelILj256ELj16Eii21rocsparse_complex_numIdES2_S2_S2_EEvbT2_NS_24const_host_device_scalarIT6_EEPKT1_S9_PKS3_PKT3_PKT4_S6_PT5_21rocsparse_index_base_b, .Lfunc_end102-_ZN9rocsparseL21csrmvn_general_kernelILj256ELj16Eii21rocsparse_complex_numIdES2_S2_S2_EEvbT2_NS_24const_host_device_scalarIT6_EEPKT1_S9_PKS3_PKT3_PKT4_S6_PT5_21rocsparse_index_base_b
                                        ; -- End function
	.set _ZN9rocsparseL21csrmvn_general_kernelILj256ELj16Eii21rocsparse_complex_numIdES2_S2_S2_EEvbT2_NS_24const_host_device_scalarIT6_EEPKT1_S9_PKS3_PKT3_PKT4_S6_PT5_21rocsparse_index_base_b.num_vgpr, 32
	.set _ZN9rocsparseL21csrmvn_general_kernelILj256ELj16Eii21rocsparse_complex_numIdES2_S2_S2_EEvbT2_NS_24const_host_device_scalarIT6_EEPKT1_S9_PKS3_PKT3_PKT4_S6_PT5_21rocsparse_index_base_b.num_agpr, 0
	.set _ZN9rocsparseL21csrmvn_general_kernelILj256ELj16Eii21rocsparse_complex_numIdES2_S2_S2_EEvbT2_NS_24const_host_device_scalarIT6_EEPKT1_S9_PKS3_PKT3_PKT4_S6_PT5_21rocsparse_index_base_b.numbered_sgpr, 24
	.set _ZN9rocsparseL21csrmvn_general_kernelILj256ELj16Eii21rocsparse_complex_numIdES2_S2_S2_EEvbT2_NS_24const_host_device_scalarIT6_EEPKT1_S9_PKS3_PKT3_PKT4_S6_PT5_21rocsparse_index_base_b.num_named_barrier, 0
	.set _ZN9rocsparseL21csrmvn_general_kernelILj256ELj16Eii21rocsparse_complex_numIdES2_S2_S2_EEvbT2_NS_24const_host_device_scalarIT6_EEPKT1_S9_PKS3_PKT3_PKT4_S6_PT5_21rocsparse_index_base_b.private_seg_size, 0
	.set _ZN9rocsparseL21csrmvn_general_kernelILj256ELj16Eii21rocsparse_complex_numIdES2_S2_S2_EEvbT2_NS_24const_host_device_scalarIT6_EEPKT1_S9_PKS3_PKT3_PKT4_S6_PT5_21rocsparse_index_base_b.uses_vcc, 1
	.set _ZN9rocsparseL21csrmvn_general_kernelILj256ELj16Eii21rocsparse_complex_numIdES2_S2_S2_EEvbT2_NS_24const_host_device_scalarIT6_EEPKT1_S9_PKS3_PKT3_PKT4_S6_PT5_21rocsparse_index_base_b.uses_flat_scratch, 0
	.set _ZN9rocsparseL21csrmvn_general_kernelILj256ELj16Eii21rocsparse_complex_numIdES2_S2_S2_EEvbT2_NS_24const_host_device_scalarIT6_EEPKT1_S9_PKS3_PKT3_PKT4_S6_PT5_21rocsparse_index_base_b.has_dyn_sized_stack, 0
	.set _ZN9rocsparseL21csrmvn_general_kernelILj256ELj16Eii21rocsparse_complex_numIdES2_S2_S2_EEvbT2_NS_24const_host_device_scalarIT6_EEPKT1_S9_PKS3_PKT3_PKT4_S6_PT5_21rocsparse_index_base_b.has_recursion, 0
	.set _ZN9rocsparseL21csrmvn_general_kernelILj256ELj16Eii21rocsparse_complex_numIdES2_S2_S2_EEvbT2_NS_24const_host_device_scalarIT6_EEPKT1_S9_PKS3_PKT3_PKT4_S6_PT5_21rocsparse_index_base_b.has_indirect_call, 0
	.section	.AMDGPU.csdata,"",@progbits
; Kernel info:
; codeLenInByte = 1064
; TotalNumSgprs: 26
; NumVgprs: 32
; ScratchSize: 0
; MemoryBound: 0
; FloatMode: 240
; IeeeMode: 1
; LDSByteSize: 0 bytes/workgroup (compile time only)
; SGPRBlocks: 0
; VGPRBlocks: 1
; NumSGPRsForWavesPerEU: 26
; NumVGPRsForWavesPerEU: 32
; NamedBarCnt: 0
; Occupancy: 16
; WaveLimiterHint : 1
; COMPUTE_PGM_RSRC2:SCRATCH_EN: 0
; COMPUTE_PGM_RSRC2:USER_SGPR: 2
; COMPUTE_PGM_RSRC2:TRAP_HANDLER: 0
; COMPUTE_PGM_RSRC2:TGID_X_EN: 1
; COMPUTE_PGM_RSRC2:TGID_Y_EN: 0
; COMPUTE_PGM_RSRC2:TGID_Z_EN: 0
; COMPUTE_PGM_RSRC2:TIDIG_COMP_CNT: 0
	.section	.text._ZN9rocsparseL21csrmvn_general_kernelILj256ELj32Eii21rocsparse_complex_numIdES2_S2_S2_EEvbT2_NS_24const_host_device_scalarIT6_EEPKT1_S9_PKS3_PKT3_PKT4_S6_PT5_21rocsparse_index_base_b,"axG",@progbits,_ZN9rocsparseL21csrmvn_general_kernelILj256ELj32Eii21rocsparse_complex_numIdES2_S2_S2_EEvbT2_NS_24const_host_device_scalarIT6_EEPKT1_S9_PKS3_PKT3_PKT4_S6_PT5_21rocsparse_index_base_b,comdat
	.globl	_ZN9rocsparseL21csrmvn_general_kernelILj256ELj32Eii21rocsparse_complex_numIdES2_S2_S2_EEvbT2_NS_24const_host_device_scalarIT6_EEPKT1_S9_PKS3_PKT3_PKT4_S6_PT5_21rocsparse_index_base_b ; -- Begin function _ZN9rocsparseL21csrmvn_general_kernelILj256ELj32Eii21rocsparse_complex_numIdES2_S2_S2_EEvbT2_NS_24const_host_device_scalarIT6_EEPKT1_S9_PKS3_PKT3_PKT4_S6_PT5_21rocsparse_index_base_b
	.p2align	8
	.type	_ZN9rocsparseL21csrmvn_general_kernelILj256ELj32Eii21rocsparse_complex_numIdES2_S2_S2_EEvbT2_NS_24const_host_device_scalarIT6_EEPKT1_S9_PKS3_PKT3_PKT4_S6_PT5_21rocsparse_index_base_b,@function
_ZN9rocsparseL21csrmvn_general_kernelILj256ELj32Eii21rocsparse_complex_numIdES2_S2_S2_EEvbT2_NS_24const_host_device_scalarIT6_EEPKT1_S9_PKS3_PKT3_PKT4_S6_PT5_21rocsparse_index_base_b: ; @_ZN9rocsparseL21csrmvn_general_kernelILj256ELj32Eii21rocsparse_complex_numIdES2_S2_S2_EEvbT2_NS_24const_host_device_scalarIT6_EEPKT1_S9_PKS3_PKT3_PKT4_S6_PT5_21rocsparse_index_base_b
; %bb.0:
	s_clause 0x1
	s_load_b64 s[12:13], s[0:1], 0x58
	s_load_b64 s[2:3], s[0:1], 0x8
	v_mov_b32_e32 v1, 0
	s_add_nc_u64 s[4:5], s[0:1], 8
	s_load_b64 s[6:7], s[0:1], 0x40
	s_wait_kmcnt 0x0
	s_bitcmp1_b32 s13, 0
	s_cselect_b32 s3, s5, s3
	s_cselect_b32 s2, s4, s2
	flat_load_b128 v[2:5], v1, s[2:3]
	s_wait_xcnt 0x0
	s_add_nc_u64 s[2:3], s[0:1], 64
	s_delay_alu instid0(SALU_CYCLE_1)
	s_cselect_b32 s3, s3, s7
	s_cselect_b32 s2, s2, s6
	flat_load_b128 v[6:9], v1, s[2:3]
	s_wait_loadcnt_dscnt 0x101
	v_cmp_eq_f64_e32 vcc_lo, 0, v[2:3]
	s_wait_xcnt 0x0
	v_cmp_eq_f64_e64 s2, 0, v[4:5]
	s_and_b32 s4, vcc_lo, s2
	s_mov_b32 s2, -1
	s_and_saveexec_b32 s3, s4
	s_cbranch_execz .LBB103_2
; %bb.1:
	s_wait_loadcnt_dscnt 0x0
	v_cmp_neq_f64_e32 vcc_lo, 1.0, v[6:7]
	v_cmp_neq_f64_e64 s2, 0, v[8:9]
	s_or_b32 s2, vcc_lo, s2
	s_delay_alu instid0(SALU_CYCLE_1)
	s_or_not1_b32 s2, s2, exec_lo
.LBB103_2:
	s_or_b32 exec_lo, exec_lo, s3
	s_and_saveexec_b32 s3, s2
	s_cbranch_execz .LBB103_14
; %bb.3:
	s_bfe_u32 s2, ttmp6, 0x4000c
	s_load_b64 s[14:15], s[0:1], 0x0
	s_add_co_i32 s2, s2, 1
	s_and_b32 s3, ttmp6, 15
	s_mul_i32 s2, ttmp9, s2
	s_getreg_b32 s4, hwreg(HW_REG_IB_STS2, 6, 4)
	s_add_co_i32 s3, s3, s2
	s_cmp_eq_u32 s4, 0
	s_mov_b32 s20, 0
	s_cselect_b32 s2, ttmp9, s3
	s_delay_alu instid0(SALU_CYCLE_1) | instskip(NEXT) | instid1(VALU_DEP_1)
	v_lshl_or_b32 v1, s2, 8, v0
	v_lshrrev_b32_e32 v14, 5, v1
	s_wait_kmcnt 0x0
	s_delay_alu instid0(VALU_DEP_1)
	v_cmp_gt_i32_e32 vcc_lo, s15, v14
	s_and_b32 exec_lo, exec_lo, vcc_lo
	s_cbranch_execz .LBB103_14
; %bb.4:
	v_mbcnt_lo_u32_b32 v1, -1, 0
	s_clause 0x3
	s_load_b32 s13, s[0:1], 0x60
	s_load_b256 s[4:11], s[0:1], 0x18
	s_load_b64 s[16:17], s[0:1], 0x50
	s_load_b64 s[18:19], s[0:1], 0x38
	s_wait_loadcnt_dscnt 0x0
	v_cmp_neq_f64_e64 s2, 0, v[6:7]
	v_cmp_neq_f64_e64 s3, 0, v[8:9]
	v_xor_b32_e32 v15, 1, v1
	v_xor_b32_e32 v12, 4, v1
	s_wait_xcnt 0x0
	s_delay_alu instid0(VALU_DEP_1) | instskip(NEXT) | instid1(VALU_DEP_1)
	v_cmp_gt_i32_e64 s0, 32, v12
	v_dual_cndmask_b32 v12, v1, v12, s0 :: v_dual_bitop2_b32 v11, 8, v1 bitop3:0x14
	v_xor_b32_e32 v10, 16, v1
	s_wait_kmcnt 0x0
	s_lshl_b32 s21, s13, 3
	s_bitcmp1_b32 s14, 0
	s_delay_alu instid0(VALU_DEP_1) | instskip(SKIP_4) | instid1(VALU_DEP_4)
	v_cmp_gt_i32_e32 vcc_lo, 32, v10
	v_and_b32_e32 v0, 31, v0
	v_dual_cndmask_b32 v10, v1, v10 :: v_dual_lshlrev_b32 v21, 2, v12
	v_xor_b32_e32 v13, 2, v1
	v_cmp_gt_i32_e32 vcc_lo, 32, v11
	v_subrev_nc_u32_e32 v18, s12, v0
	s_delay_alu instid0(VALU_DEP_4) | instskip(NEXT) | instid1(VALU_DEP_4)
	v_lshlrev_b32_e32 v19, 2, v10
	v_cmp_gt_i32_e64 s0, 32, v13
	v_cndmask_b32_e32 v11, v1, v11, vcc_lo
	s_cselect_b32 vcc_lo, -1, 0
	s_ashr_i32 s13, s12, 31
	s_or_b32 s2, s2, s3
	s_delay_alu instid0(VALU_DEP_1)
	v_dual_cndmask_b32 v13, v1, v13, s0 :: v_dual_lshlrev_b32 v20, 2, v11
	v_cmp_gt_i32_e64 s0, 32, v15
	s_lshl_b64 s[22:23], s[12:13], 4
	v_lshlrev_b32_e32 v22, 2, v13
	s_sub_nc_u64 s[18:19], s[18:19], s[22:23]
	v_cndmask_b32_e64 v1, v1, v15, s0
	v_cmp_eq_u32_e64 s0, 31, v0
	s_delay_alu instid0(VALU_DEP_2)
	v_lshlrev_b32_e32 v23, 2, v1
	s_branch .LBB103_7
.LBB103_5:                              ;   in Loop: Header=BB103_7 Depth=1
	s_wait_xcnt 0x0
	s_or_b32 exec_lo, exec_lo, s3
	global_store_b128 v[0:1], v[10:13], off
.LBB103_6:                              ;   in Loop: Header=BB103_7 Depth=1
	s_wait_xcnt 0x0
	s_or_b32 exec_lo, exec_lo, s1
	v_add_nc_u32_e32 v14, s21, v14
	s_delay_alu instid0(VALU_DEP_1) | instskip(SKIP_1) | instid1(SALU_CYCLE_1)
	v_cmp_le_i32_e64 s1, s15, v14
	s_or_b32 s20, s1, s20
	s_and_not1_b32 exec_lo, exec_lo, s20
	s_cbranch_execz .LBB103_14
.LBB103_7:                              ; =>This Loop Header: Depth=1
                                        ;     Child Loop BB103_9 Depth 2
	s_clause 0x1
	global_load_b32 v0, v14, s[6:7] scale_offset
	global_load_b32 v1, v14, s[4:5] scale_offset
	s_wait_dscnt 0x2
	v_mov_b64_e32 v[10:11], 0
	s_mov_b32 s3, exec_lo
	s_wait_loadcnt 0x1
	v_subrev_nc_u32_e32 v12, s12, v0
	s_wait_loadcnt 0x0
	v_add_nc_u32_e32 v13, v1, v18
	v_mov_b64_e32 v[0:1], 0
	s_wait_xcnt 0x0
	s_delay_alu instid0(VALU_DEP_2)
	v_cmpx_lt_i32_e64 v13, v12
	s_cbranch_execz .LBB103_11
; %bb.8:                                ;   in Loop: Header=BB103_7 Depth=1
	v_mov_b64_e32 v[0:1], 0
	v_mov_b64_e32 v[10:11], 0
	s_mov_b32 s13, 0
.LBB103_9:                              ;   Parent Loop BB103_7 Depth=1
                                        ; =>  This Inner Loop Header: Depth=2
	s_clause 0x1
	global_load_b32 v15, v13, s[8:9] scale_offset
	global_load_b128 v[24:27], v13, s[10:11] scale_offset
	s_wait_xcnt 0x0
	v_add_nc_u32_e32 v13, 32, v13
	s_delay_alu instid0(VALU_DEP_1)
	v_cmp_ge_i32_e64 s1, v13, v12
	s_or_b32 s13, s1, s13
	s_wait_loadcnt 0x1
	global_load_b128 v[28:31], v15, s[18:19] scale_offset
	s_wait_loadcnt 0x1
	s_wait_xcnt 0x0
	v_xor_b32_e32 v15, 0x80000000, v27
	s_delay_alu instid0(VALU_DEP_1) | instskip(SKIP_1) | instid1(VALU_DEP_1)
	v_cndmask_b32_e32 v27, v27, v15, vcc_lo
	s_wait_dscnt 0x0
	v_mul_f64_e64 v[16:17], v[26:27], -v[4:5]
	v_mul_f64_e32 v[26:27], v[2:3], v[26:27]
	s_delay_alu instid0(VALU_DEP_2) | instskip(NEXT) | instid1(VALU_DEP_2)
	v_fmac_f64_e32 v[16:17], v[2:3], v[24:25]
	v_fmac_f64_e32 v[26:27], v[4:5], v[24:25]
	s_wait_loadcnt 0x0
	s_delay_alu instid0(VALU_DEP_2) | instskip(NEXT) | instid1(VALU_DEP_2)
	v_fmac_f64_e32 v[10:11], v[16:17], v[28:29]
	v_fmac_f64_e32 v[0:1], v[26:27], v[28:29]
	s_delay_alu instid0(VALU_DEP_2) | instskip(NEXT) | instid1(VALU_DEP_2)
	v_fma_f64 v[10:11], -v[26:27], v[30:31], v[10:11]
	v_fmac_f64_e32 v[0:1], v[16:17], v[30:31]
	s_and_not1_b32 exec_lo, exec_lo, s13
	s_cbranch_execnz .LBB103_9
; %bb.10:                               ;   in Loop: Header=BB103_7 Depth=1
	s_or_b32 exec_lo, exec_lo, s13
.LBB103_11:                             ;   in Loop: Header=BB103_7 Depth=1
	s_delay_alu instid0(SALU_CYCLE_1)
	s_or_b32 exec_lo, exec_lo, s3
	ds_bpermute_b32 v12, v19, v10
	ds_bpermute_b32 v13, v19, v11
	s_wait_dscnt 0x3
	ds_bpermute_b32 v16, v19, v0
	s_wait_dscnt 0x3
	;; [unrolled: 2-line block ×3, first 2 shown]
	v_dual_add_f64 v[10:11], v[10:11], v[12:13] :: v_dual_ashrrev_i32 v15, 31, v14
	s_wait_dscnt 0x0
	v_add_f64_e32 v[0:1], v[0:1], v[16:17]
	ds_bpermute_b32 v12, v20, v10
	ds_bpermute_b32 v13, v20, v11
	ds_bpermute_b32 v16, v20, v0
	ds_bpermute_b32 v17, v20, v1
	s_wait_dscnt 0x2
	v_add_f64_e32 v[10:11], v[10:11], v[12:13]
	s_wait_dscnt 0x0
	v_add_f64_e32 v[0:1], v[0:1], v[16:17]
	ds_bpermute_b32 v12, v21, v10
	ds_bpermute_b32 v13, v21, v11
	ds_bpermute_b32 v16, v21, v0
	ds_bpermute_b32 v17, v21, v1
	s_wait_dscnt 0x2
	v_add_f64_e32 v[10:11], v[10:11], v[12:13]
	s_wait_dscnt 0x0
	v_add_f64_e32 v[12:13], v[0:1], v[16:17]
	ds_bpermute_b32 v0, v22, v10
	ds_bpermute_b32 v1, v22, v11
	ds_bpermute_b32 v16, v22, v12
	ds_bpermute_b32 v17, v22, v13
	s_wait_dscnt 0x2
	v_add_f64_e32 v[0:1], v[10:11], v[0:1]
	s_wait_dscnt 0x0
	v_add_f64_e32 v[12:13], v[12:13], v[16:17]
	ds_bpermute_b32 v10, v23, v0
	ds_bpermute_b32 v11, v23, v1
	;; [unrolled: 1-line block ×4, first 2 shown]
	s_and_saveexec_b32 s1, s0
	s_cbranch_execz .LBB103_6
; %bb.12:                               ;   in Loop: Header=BB103_7 Depth=1
	s_wait_dscnt 0x2
	v_add_f64_e32 v[10:11], v[0:1], v[10:11]
	s_wait_dscnt 0x0
	v_add_f64_e32 v[12:13], v[12:13], v[16:17]
	v_lshl_add_u64 v[0:1], v[14:15], 4, s[16:17]
	s_and_saveexec_b32 s3, s2
	s_cbranch_execz .LBB103_5
; %bb.13:                               ;   in Loop: Header=BB103_7 Depth=1
	global_load_b128 v[24:27], v[0:1], off
	s_wait_loadcnt 0x0
	v_fmac_f64_e32 v[10:11], v[6:7], v[24:25]
	v_fmac_f64_e32 v[12:13], v[8:9], v[24:25]
	s_delay_alu instid0(VALU_DEP_2) | instskip(NEXT) | instid1(VALU_DEP_2)
	v_fma_f64 v[10:11], -v[8:9], v[26:27], v[10:11]
	v_fmac_f64_e32 v[12:13], v[6:7], v[26:27]
	s_branch .LBB103_5
.LBB103_14:
	s_endpgm
	.section	.rodata,"a",@progbits
	.p2align	6, 0x0
	.amdhsa_kernel _ZN9rocsparseL21csrmvn_general_kernelILj256ELj32Eii21rocsparse_complex_numIdES2_S2_S2_EEvbT2_NS_24const_host_device_scalarIT6_EEPKT1_S9_PKS3_PKT3_PKT4_S6_PT5_21rocsparse_index_base_b
		.amdhsa_group_segment_fixed_size 0
		.amdhsa_private_segment_fixed_size 0
		.amdhsa_kernarg_size 352
		.amdhsa_user_sgpr_count 2
		.amdhsa_user_sgpr_dispatch_ptr 0
		.amdhsa_user_sgpr_queue_ptr 0
		.amdhsa_user_sgpr_kernarg_segment_ptr 1
		.amdhsa_user_sgpr_dispatch_id 0
		.amdhsa_user_sgpr_kernarg_preload_length 0
		.amdhsa_user_sgpr_kernarg_preload_offset 0
		.amdhsa_user_sgpr_private_segment_size 0
		.amdhsa_wavefront_size32 1
		.amdhsa_uses_dynamic_stack 0
		.amdhsa_enable_private_segment 0
		.amdhsa_system_sgpr_workgroup_id_x 1
		.amdhsa_system_sgpr_workgroup_id_y 0
		.amdhsa_system_sgpr_workgroup_id_z 0
		.amdhsa_system_sgpr_workgroup_info 0
		.amdhsa_system_vgpr_workitem_id 0
		.amdhsa_next_free_vgpr 32
		.amdhsa_next_free_sgpr 24
		.amdhsa_named_barrier_count 0
		.amdhsa_reserve_vcc 1
		.amdhsa_float_round_mode_32 0
		.amdhsa_float_round_mode_16_64 0
		.amdhsa_float_denorm_mode_32 3
		.amdhsa_float_denorm_mode_16_64 3
		.amdhsa_fp16_overflow 0
		.amdhsa_memory_ordered 1
		.amdhsa_forward_progress 1
		.amdhsa_inst_pref_size 9
		.amdhsa_round_robin_scheduling 0
		.amdhsa_exception_fp_ieee_invalid_op 0
		.amdhsa_exception_fp_denorm_src 0
		.amdhsa_exception_fp_ieee_div_zero 0
		.amdhsa_exception_fp_ieee_overflow 0
		.amdhsa_exception_fp_ieee_underflow 0
		.amdhsa_exception_fp_ieee_inexact 0
		.amdhsa_exception_int_div_zero 0
	.end_amdhsa_kernel
	.section	.text._ZN9rocsparseL21csrmvn_general_kernelILj256ELj32Eii21rocsparse_complex_numIdES2_S2_S2_EEvbT2_NS_24const_host_device_scalarIT6_EEPKT1_S9_PKS3_PKT3_PKT4_S6_PT5_21rocsparse_index_base_b,"axG",@progbits,_ZN9rocsparseL21csrmvn_general_kernelILj256ELj32Eii21rocsparse_complex_numIdES2_S2_S2_EEvbT2_NS_24const_host_device_scalarIT6_EEPKT1_S9_PKS3_PKT3_PKT4_S6_PT5_21rocsparse_index_base_b,comdat
.Lfunc_end103:
	.size	_ZN9rocsparseL21csrmvn_general_kernelILj256ELj32Eii21rocsparse_complex_numIdES2_S2_S2_EEvbT2_NS_24const_host_device_scalarIT6_EEPKT1_S9_PKS3_PKT3_PKT4_S6_PT5_21rocsparse_index_base_b, .Lfunc_end103-_ZN9rocsparseL21csrmvn_general_kernelILj256ELj32Eii21rocsparse_complex_numIdES2_S2_S2_EEvbT2_NS_24const_host_device_scalarIT6_EEPKT1_S9_PKS3_PKT3_PKT4_S6_PT5_21rocsparse_index_base_b
                                        ; -- End function
	.set _ZN9rocsparseL21csrmvn_general_kernelILj256ELj32Eii21rocsparse_complex_numIdES2_S2_S2_EEvbT2_NS_24const_host_device_scalarIT6_EEPKT1_S9_PKS3_PKT3_PKT4_S6_PT5_21rocsparse_index_base_b.num_vgpr, 32
	.set _ZN9rocsparseL21csrmvn_general_kernelILj256ELj32Eii21rocsparse_complex_numIdES2_S2_S2_EEvbT2_NS_24const_host_device_scalarIT6_EEPKT1_S9_PKS3_PKT3_PKT4_S6_PT5_21rocsparse_index_base_b.num_agpr, 0
	.set _ZN9rocsparseL21csrmvn_general_kernelILj256ELj32Eii21rocsparse_complex_numIdES2_S2_S2_EEvbT2_NS_24const_host_device_scalarIT6_EEPKT1_S9_PKS3_PKT3_PKT4_S6_PT5_21rocsparse_index_base_b.numbered_sgpr, 24
	.set _ZN9rocsparseL21csrmvn_general_kernelILj256ELj32Eii21rocsparse_complex_numIdES2_S2_S2_EEvbT2_NS_24const_host_device_scalarIT6_EEPKT1_S9_PKS3_PKT3_PKT4_S6_PT5_21rocsparse_index_base_b.num_named_barrier, 0
	.set _ZN9rocsparseL21csrmvn_general_kernelILj256ELj32Eii21rocsparse_complex_numIdES2_S2_S2_EEvbT2_NS_24const_host_device_scalarIT6_EEPKT1_S9_PKS3_PKT3_PKT4_S6_PT5_21rocsparse_index_base_b.private_seg_size, 0
	.set _ZN9rocsparseL21csrmvn_general_kernelILj256ELj32Eii21rocsparse_complex_numIdES2_S2_S2_EEvbT2_NS_24const_host_device_scalarIT6_EEPKT1_S9_PKS3_PKT3_PKT4_S6_PT5_21rocsparse_index_base_b.uses_vcc, 1
	.set _ZN9rocsparseL21csrmvn_general_kernelILj256ELj32Eii21rocsparse_complex_numIdES2_S2_S2_EEvbT2_NS_24const_host_device_scalarIT6_EEPKT1_S9_PKS3_PKT3_PKT4_S6_PT5_21rocsparse_index_base_b.uses_flat_scratch, 0
	.set _ZN9rocsparseL21csrmvn_general_kernelILj256ELj32Eii21rocsparse_complex_numIdES2_S2_S2_EEvbT2_NS_24const_host_device_scalarIT6_EEPKT1_S9_PKS3_PKT3_PKT4_S6_PT5_21rocsparse_index_base_b.has_dyn_sized_stack, 0
	.set _ZN9rocsparseL21csrmvn_general_kernelILj256ELj32Eii21rocsparse_complex_numIdES2_S2_S2_EEvbT2_NS_24const_host_device_scalarIT6_EEPKT1_S9_PKS3_PKT3_PKT4_S6_PT5_21rocsparse_index_base_b.has_recursion, 0
	.set _ZN9rocsparseL21csrmvn_general_kernelILj256ELj32Eii21rocsparse_complex_numIdES2_S2_S2_EEvbT2_NS_24const_host_device_scalarIT6_EEPKT1_S9_PKS3_PKT3_PKT4_S6_PT5_21rocsparse_index_base_b.has_indirect_call, 0
	.section	.AMDGPU.csdata,"",@progbits
; Kernel info:
; codeLenInByte = 1148
; TotalNumSgprs: 26
; NumVgprs: 32
; ScratchSize: 0
; MemoryBound: 0
; FloatMode: 240
; IeeeMode: 1
; LDSByteSize: 0 bytes/workgroup (compile time only)
; SGPRBlocks: 0
; VGPRBlocks: 1
; NumSGPRsForWavesPerEU: 26
; NumVGPRsForWavesPerEU: 32
; NamedBarCnt: 0
; Occupancy: 16
; WaveLimiterHint : 1
; COMPUTE_PGM_RSRC2:SCRATCH_EN: 0
; COMPUTE_PGM_RSRC2:USER_SGPR: 2
; COMPUTE_PGM_RSRC2:TRAP_HANDLER: 0
; COMPUTE_PGM_RSRC2:TGID_X_EN: 1
; COMPUTE_PGM_RSRC2:TGID_Y_EN: 0
; COMPUTE_PGM_RSRC2:TGID_Z_EN: 0
; COMPUTE_PGM_RSRC2:TIDIG_COMP_CNT: 0
	.section	.text._ZN9rocsparseL21csrmvn_general_kernelILj256ELj64Eii21rocsparse_complex_numIdES2_S2_S2_EEvbT2_NS_24const_host_device_scalarIT6_EEPKT1_S9_PKS3_PKT3_PKT4_S6_PT5_21rocsparse_index_base_b,"axG",@progbits,_ZN9rocsparseL21csrmvn_general_kernelILj256ELj64Eii21rocsparse_complex_numIdES2_S2_S2_EEvbT2_NS_24const_host_device_scalarIT6_EEPKT1_S9_PKS3_PKT3_PKT4_S6_PT5_21rocsparse_index_base_b,comdat
	.globl	_ZN9rocsparseL21csrmvn_general_kernelILj256ELj64Eii21rocsparse_complex_numIdES2_S2_S2_EEvbT2_NS_24const_host_device_scalarIT6_EEPKT1_S9_PKS3_PKT3_PKT4_S6_PT5_21rocsparse_index_base_b ; -- Begin function _ZN9rocsparseL21csrmvn_general_kernelILj256ELj64Eii21rocsparse_complex_numIdES2_S2_S2_EEvbT2_NS_24const_host_device_scalarIT6_EEPKT1_S9_PKS3_PKT3_PKT4_S6_PT5_21rocsparse_index_base_b
	.p2align	8
	.type	_ZN9rocsparseL21csrmvn_general_kernelILj256ELj64Eii21rocsparse_complex_numIdES2_S2_S2_EEvbT2_NS_24const_host_device_scalarIT6_EEPKT1_S9_PKS3_PKT3_PKT4_S6_PT5_21rocsparse_index_base_b,@function
_ZN9rocsparseL21csrmvn_general_kernelILj256ELj64Eii21rocsparse_complex_numIdES2_S2_S2_EEvbT2_NS_24const_host_device_scalarIT6_EEPKT1_S9_PKS3_PKT3_PKT4_S6_PT5_21rocsparse_index_base_b: ; @_ZN9rocsparseL21csrmvn_general_kernelILj256ELj64Eii21rocsparse_complex_numIdES2_S2_S2_EEvbT2_NS_24const_host_device_scalarIT6_EEPKT1_S9_PKS3_PKT3_PKT4_S6_PT5_21rocsparse_index_base_b
; %bb.0:
	s_clause 0x1
	s_load_b64 s[12:13], s[0:1], 0x58
	s_load_b64 s[2:3], s[0:1], 0x8
	v_mov_b32_e32 v1, 0
	s_add_nc_u64 s[4:5], s[0:1], 8
	s_load_b64 s[6:7], s[0:1], 0x40
	s_wait_kmcnt 0x0
	s_bitcmp1_b32 s13, 0
	s_cselect_b32 s3, s5, s3
	s_cselect_b32 s2, s4, s2
	flat_load_b128 v[2:5], v1, s[2:3]
	s_wait_xcnt 0x0
	s_add_nc_u64 s[2:3], s[0:1], 64
	s_delay_alu instid0(SALU_CYCLE_1)
	s_cselect_b32 s3, s3, s7
	s_cselect_b32 s2, s2, s6
	flat_load_b128 v[6:9], v1, s[2:3]
	s_wait_loadcnt_dscnt 0x101
	v_cmp_eq_f64_e32 vcc_lo, 0, v[2:3]
	s_wait_xcnt 0x0
	v_cmp_eq_f64_e64 s2, 0, v[4:5]
	s_and_b32 s4, vcc_lo, s2
	s_mov_b32 s2, -1
	s_and_saveexec_b32 s3, s4
	s_cbranch_execz .LBB104_2
; %bb.1:
	s_wait_loadcnt_dscnt 0x0
	v_cmp_neq_f64_e32 vcc_lo, 1.0, v[6:7]
	v_cmp_neq_f64_e64 s2, 0, v[8:9]
	s_or_b32 s2, vcc_lo, s2
	s_delay_alu instid0(SALU_CYCLE_1)
	s_or_not1_b32 s2, s2, exec_lo
.LBB104_2:
	s_or_b32 exec_lo, exec_lo, s3
	s_and_saveexec_b32 s3, s2
	s_cbranch_execz .LBB104_14
; %bb.3:
	s_bfe_u32 s2, ttmp6, 0x4000c
	s_load_b64 s[14:15], s[0:1], 0x0
	s_add_co_i32 s2, s2, 1
	s_and_b32 s3, ttmp6, 15
	s_mul_i32 s2, ttmp9, s2
	s_getreg_b32 s4, hwreg(HW_REG_IB_STS2, 6, 4)
	s_add_co_i32 s3, s3, s2
	s_cmp_eq_u32 s4, 0
	s_cselect_b32 s2, ttmp9, s3
	s_mov_b32 s3, 0
	v_lshl_or_b32 v1, s2, 8, v0
	s_delay_alu instid0(VALU_DEP_1) | instskip(SKIP_1) | instid1(VALU_DEP_1)
	v_lshrrev_b32_e32 v14, 6, v1
	s_wait_kmcnt 0x0
	v_cmp_gt_i32_e32 vcc_lo, s15, v14
	s_and_b32 exec_lo, exec_lo, vcc_lo
	s_cbranch_execz .LBB104_14
; %bb.4:
	v_mbcnt_lo_u32_b32 v1, -1, 0
	s_clause 0x3
	s_load_b32 s13, s[0:1], 0x60
	s_load_b256 s[4:11], s[0:1], 0x18
	s_load_b64 s[16:17], s[0:1], 0x50
	s_load_b64 s[18:19], s[0:1], 0x38
	s_wait_loadcnt_dscnt 0x0
	v_cmp_neq_f64_e64 s1, 0, v[6:7]
	v_cmp_neq_f64_e64 s2, 0, v[8:9]
	v_xor_b32_e32 v12, 8, v1
	v_xor_b32_e32 v11, 16, v1
	v_or_b32_e32 v10, 32, v1
	s_delay_alu instid0(VALU_DEP_1) | instskip(SKIP_1) | instid1(VALU_DEP_4)
	v_cmp_gt_i32_e32 vcc_lo, 32, v10
	v_dual_cndmask_b32 v10, v1, v10, vcc_lo :: v_dual_bitop2_b32 v0, 63, v0 bitop3:0x40
	v_cmp_gt_i32_e32 vcc_lo, 32, v11
	s_delay_alu instid0(VALU_DEP_2)
	v_subrev_nc_u32_e32 v18, s12, v0
	s_wait_kmcnt 0x0
	s_lshl_b32 s20, s13, 2
	s_bitcmp1_b32 s14, 0
	v_dual_lshlrev_b32 v19, 2, v10 :: v_dual_cndmask_b32 v11, v1, v11, vcc_lo
	v_xor_b32_e32 v10, 1, v1
	v_cmp_gt_i32_e32 vcc_lo, 32, v12
	s_delay_alu instid0(VALU_DEP_3) | instskip(SKIP_3) | instid1(VALU_DEP_1)
	v_dual_lshlrev_b32 v20, 2, v11 :: v_dual_bitop2_b32 v15, 2, v1 bitop3:0x14
	v_dual_cndmask_b32 v12, v1, v12, vcc_lo :: v_dual_bitop2_b32 v13, 4, v1 bitop3:0x14
	s_cselect_b32 vcc_lo, -1, 0
	s_ashr_i32 s13, s12, 31
	v_cmp_gt_i32_e64 s0, 32, v13
	s_delay_alu instid0(VALU_DEP_2)
	v_lshlrev_b32_e32 v21, 2, v12
	s_lshl_b64 s[22:23], s[12:13], 4
	s_or_b32 s2, s1, s2
	s_sub_nc_u64 s[18:19], s[18:19], s[22:23]
	v_cndmask_b32_e64 v13, v1, v13, s0
	v_cmp_gt_i32_e64 s0, 32, v15
	s_delay_alu instid0(VALU_DEP_1) | instskip(SKIP_1) | instid1(VALU_DEP_2)
	v_cndmask_b32_e64 v15, v1, v15, s0
	v_cmp_gt_i32_e64 s0, 32, v10
	v_dual_lshlrev_b32 v22, 2, v13 :: v_dual_lshlrev_b32 v23, 2, v15
	s_delay_alu instid0(VALU_DEP_2) | instskip(SKIP_1) | instid1(VALU_DEP_2)
	v_cndmask_b32_e64 v1, v1, v10, s0
	v_cmp_eq_u32_e64 s0, 63, v0
	v_lshlrev_b32_e32 v24, 2, v1
	s_branch .LBB104_7
.LBB104_5:                              ;   in Loop: Header=BB104_7 Depth=1
	s_wait_xcnt 0x0
	s_or_b32 exec_lo, exec_lo, s13
	global_store_b128 v[0:1], v[10:13], off
.LBB104_6:                              ;   in Loop: Header=BB104_7 Depth=1
	s_wait_xcnt 0x0
	s_or_b32 exec_lo, exec_lo, s1
	v_add_nc_u32_e32 v14, s20, v14
	s_delay_alu instid0(VALU_DEP_1) | instskip(SKIP_1) | instid1(SALU_CYCLE_1)
	v_cmp_le_i32_e64 s1, s15, v14
	s_or_b32 s3, s1, s3
	s_and_not1_b32 exec_lo, exec_lo, s3
	s_cbranch_execz .LBB104_14
.LBB104_7:                              ; =>This Loop Header: Depth=1
                                        ;     Child Loop BB104_9 Depth 2
	s_clause 0x1
	global_load_b32 v0, v14, s[6:7] scale_offset
	global_load_b32 v1, v14, s[4:5] scale_offset
	s_wait_dscnt 0x2
	v_mov_b64_e32 v[10:11], 0
	s_mov_b32 s13, exec_lo
	s_wait_loadcnt 0x1
	v_subrev_nc_u32_e32 v12, s12, v0
	s_wait_loadcnt 0x0
	v_add_nc_u32_e32 v13, v1, v18
	v_mov_b64_e32 v[0:1], 0
	s_wait_xcnt 0x0
	s_delay_alu instid0(VALU_DEP_2)
	v_cmpx_lt_i32_e64 v13, v12
	s_cbranch_execz .LBB104_11
; %bb.8:                                ;   in Loop: Header=BB104_7 Depth=1
	v_mov_b64_e32 v[0:1], 0
	v_mov_b64_e32 v[10:11], 0
	s_mov_b32 s14, 0
.LBB104_9:                              ;   Parent Loop BB104_7 Depth=1
                                        ; =>  This Inner Loop Header: Depth=2
	s_clause 0x1
	global_load_b32 v15, v13, s[8:9] scale_offset
	global_load_b128 v[26:29], v13, s[10:11] scale_offset
	s_wait_xcnt 0x0
	v_add_nc_u32_e32 v13, 64, v13
	s_delay_alu instid0(VALU_DEP_1)
	v_cmp_ge_i32_e64 s1, v13, v12
	s_or_b32 s14, s1, s14
	s_wait_loadcnt 0x1
	global_load_b128 v[30:33], v15, s[18:19] scale_offset
	s_wait_loadcnt 0x1
	s_wait_xcnt 0x0
	v_xor_b32_e32 v15, 0x80000000, v29
	s_delay_alu instid0(VALU_DEP_1) | instskip(SKIP_1) | instid1(VALU_DEP_1)
	v_cndmask_b32_e32 v29, v29, v15, vcc_lo
	s_wait_dscnt 0x0
	v_mul_f64_e64 v[16:17], v[28:29], -v[4:5]
	v_mul_f64_e32 v[28:29], v[2:3], v[28:29]
	s_delay_alu instid0(VALU_DEP_2) | instskip(NEXT) | instid1(VALU_DEP_2)
	v_fmac_f64_e32 v[16:17], v[2:3], v[26:27]
	v_fmac_f64_e32 v[28:29], v[4:5], v[26:27]
	s_wait_loadcnt 0x0
	s_delay_alu instid0(VALU_DEP_2) | instskip(NEXT) | instid1(VALU_DEP_2)
	v_fmac_f64_e32 v[10:11], v[16:17], v[30:31]
	v_fmac_f64_e32 v[0:1], v[28:29], v[30:31]
	s_delay_alu instid0(VALU_DEP_2) | instskip(NEXT) | instid1(VALU_DEP_2)
	v_fma_f64 v[10:11], -v[28:29], v[32:33], v[10:11]
	v_fmac_f64_e32 v[0:1], v[16:17], v[32:33]
	s_and_not1_b32 exec_lo, exec_lo, s14
	s_cbranch_execnz .LBB104_9
; %bb.10:                               ;   in Loop: Header=BB104_7 Depth=1
	s_or_b32 exec_lo, exec_lo, s14
.LBB104_11:                             ;   in Loop: Header=BB104_7 Depth=1
	s_delay_alu instid0(SALU_CYCLE_1)
	s_or_b32 exec_lo, exec_lo, s13
	ds_bpermute_b32 v12, v19, v10
	ds_bpermute_b32 v13, v19, v11
	s_wait_dscnt 0x3
	ds_bpermute_b32 v16, v19, v0
	s_wait_dscnt 0x3
	;; [unrolled: 2-line block ×3, first 2 shown]
	v_dual_add_f64 v[10:11], v[10:11], v[12:13] :: v_dual_ashrrev_i32 v15, 31, v14
	s_wait_dscnt 0x0
	v_add_f64_e32 v[0:1], v[0:1], v[16:17]
	ds_bpermute_b32 v12, v20, v10
	ds_bpermute_b32 v13, v20, v11
	ds_bpermute_b32 v16, v20, v0
	ds_bpermute_b32 v17, v20, v1
	s_wait_dscnt 0x2
	v_add_f64_e32 v[10:11], v[10:11], v[12:13]
	s_wait_dscnt 0x0
	v_add_f64_e32 v[0:1], v[0:1], v[16:17]
	ds_bpermute_b32 v12, v21, v10
	ds_bpermute_b32 v13, v21, v11
	ds_bpermute_b32 v16, v21, v0
	ds_bpermute_b32 v17, v21, v1
	s_wait_dscnt 0x2
	v_add_f64_e32 v[10:11], v[10:11], v[12:13]
	;; [unrolled: 8-line block ×4, first 2 shown]
	s_wait_dscnt 0x0
	v_add_f64_e32 v[12:13], v[12:13], v[16:17]
	ds_bpermute_b32 v10, v24, v0
	ds_bpermute_b32 v11, v24, v1
	;; [unrolled: 1-line block ×4, first 2 shown]
	s_and_saveexec_b32 s1, s0
	s_cbranch_execz .LBB104_6
; %bb.12:                               ;   in Loop: Header=BB104_7 Depth=1
	s_wait_dscnt 0x2
	v_add_f64_e32 v[10:11], v[0:1], v[10:11]
	s_wait_dscnt 0x0
	v_add_f64_e32 v[12:13], v[12:13], v[16:17]
	v_lshl_add_u64 v[0:1], v[14:15], 4, s[16:17]
	s_and_saveexec_b32 s13, s2
	s_cbranch_execz .LBB104_5
; %bb.13:                               ;   in Loop: Header=BB104_7 Depth=1
	global_load_b128 v[26:29], v[0:1], off
	s_wait_loadcnt 0x0
	v_fmac_f64_e32 v[10:11], v[6:7], v[26:27]
	v_fmac_f64_e32 v[12:13], v[8:9], v[26:27]
	s_delay_alu instid0(VALU_DEP_2) | instskip(NEXT) | instid1(VALU_DEP_2)
	v_fma_f64 v[10:11], -v[8:9], v[28:29], v[10:11]
	v_fmac_f64_e32 v[12:13], v[6:7], v[28:29]
	s_branch .LBB104_5
.LBB104_14:
	s_endpgm
	.section	.rodata,"a",@progbits
	.p2align	6, 0x0
	.amdhsa_kernel _ZN9rocsparseL21csrmvn_general_kernelILj256ELj64Eii21rocsparse_complex_numIdES2_S2_S2_EEvbT2_NS_24const_host_device_scalarIT6_EEPKT1_S9_PKS3_PKT3_PKT4_S6_PT5_21rocsparse_index_base_b
		.amdhsa_group_segment_fixed_size 0
		.amdhsa_private_segment_fixed_size 0
		.amdhsa_kernarg_size 352
		.amdhsa_user_sgpr_count 2
		.amdhsa_user_sgpr_dispatch_ptr 0
		.amdhsa_user_sgpr_queue_ptr 0
		.amdhsa_user_sgpr_kernarg_segment_ptr 1
		.amdhsa_user_sgpr_dispatch_id 0
		.amdhsa_user_sgpr_kernarg_preload_length 0
		.amdhsa_user_sgpr_kernarg_preload_offset 0
		.amdhsa_user_sgpr_private_segment_size 0
		.amdhsa_wavefront_size32 1
		.amdhsa_uses_dynamic_stack 0
		.amdhsa_enable_private_segment 0
		.amdhsa_system_sgpr_workgroup_id_x 1
		.amdhsa_system_sgpr_workgroup_id_y 0
		.amdhsa_system_sgpr_workgroup_id_z 0
		.amdhsa_system_sgpr_workgroup_info 0
		.amdhsa_system_vgpr_workitem_id 0
		.amdhsa_next_free_vgpr 34
		.amdhsa_next_free_sgpr 24
		.amdhsa_named_barrier_count 0
		.amdhsa_reserve_vcc 1
		.amdhsa_float_round_mode_32 0
		.amdhsa_float_round_mode_16_64 0
		.amdhsa_float_denorm_mode_32 3
		.amdhsa_float_denorm_mode_16_64 3
		.amdhsa_fp16_overflow 0
		.amdhsa_memory_ordered 1
		.amdhsa_forward_progress 1
		.amdhsa_inst_pref_size 10
		.amdhsa_round_robin_scheduling 0
		.amdhsa_exception_fp_ieee_invalid_op 0
		.amdhsa_exception_fp_denorm_src 0
		.amdhsa_exception_fp_ieee_div_zero 0
		.amdhsa_exception_fp_ieee_overflow 0
		.amdhsa_exception_fp_ieee_underflow 0
		.amdhsa_exception_fp_ieee_inexact 0
		.amdhsa_exception_int_div_zero 0
	.end_amdhsa_kernel
	.section	.text._ZN9rocsparseL21csrmvn_general_kernelILj256ELj64Eii21rocsparse_complex_numIdES2_S2_S2_EEvbT2_NS_24const_host_device_scalarIT6_EEPKT1_S9_PKS3_PKT3_PKT4_S6_PT5_21rocsparse_index_base_b,"axG",@progbits,_ZN9rocsparseL21csrmvn_general_kernelILj256ELj64Eii21rocsparse_complex_numIdES2_S2_S2_EEvbT2_NS_24const_host_device_scalarIT6_EEPKT1_S9_PKS3_PKT3_PKT4_S6_PT5_21rocsparse_index_base_b,comdat
.Lfunc_end104:
	.size	_ZN9rocsparseL21csrmvn_general_kernelILj256ELj64Eii21rocsparse_complex_numIdES2_S2_S2_EEvbT2_NS_24const_host_device_scalarIT6_EEPKT1_S9_PKS3_PKT3_PKT4_S6_PT5_21rocsparse_index_base_b, .Lfunc_end104-_ZN9rocsparseL21csrmvn_general_kernelILj256ELj64Eii21rocsparse_complex_numIdES2_S2_S2_EEvbT2_NS_24const_host_device_scalarIT6_EEPKT1_S9_PKS3_PKT3_PKT4_S6_PT5_21rocsparse_index_base_b
                                        ; -- End function
	.set _ZN9rocsparseL21csrmvn_general_kernelILj256ELj64Eii21rocsparse_complex_numIdES2_S2_S2_EEvbT2_NS_24const_host_device_scalarIT6_EEPKT1_S9_PKS3_PKT3_PKT4_S6_PT5_21rocsparse_index_base_b.num_vgpr, 34
	.set _ZN9rocsparseL21csrmvn_general_kernelILj256ELj64Eii21rocsparse_complex_numIdES2_S2_S2_EEvbT2_NS_24const_host_device_scalarIT6_EEPKT1_S9_PKS3_PKT3_PKT4_S6_PT5_21rocsparse_index_base_b.num_agpr, 0
	.set _ZN9rocsparseL21csrmvn_general_kernelILj256ELj64Eii21rocsparse_complex_numIdES2_S2_S2_EEvbT2_NS_24const_host_device_scalarIT6_EEPKT1_S9_PKS3_PKT3_PKT4_S6_PT5_21rocsparse_index_base_b.numbered_sgpr, 24
	.set _ZN9rocsparseL21csrmvn_general_kernelILj256ELj64Eii21rocsparse_complex_numIdES2_S2_S2_EEvbT2_NS_24const_host_device_scalarIT6_EEPKT1_S9_PKS3_PKT3_PKT4_S6_PT5_21rocsparse_index_base_b.num_named_barrier, 0
	.set _ZN9rocsparseL21csrmvn_general_kernelILj256ELj64Eii21rocsparse_complex_numIdES2_S2_S2_EEvbT2_NS_24const_host_device_scalarIT6_EEPKT1_S9_PKS3_PKT3_PKT4_S6_PT5_21rocsparse_index_base_b.private_seg_size, 0
	.set _ZN9rocsparseL21csrmvn_general_kernelILj256ELj64Eii21rocsparse_complex_numIdES2_S2_S2_EEvbT2_NS_24const_host_device_scalarIT6_EEPKT1_S9_PKS3_PKT3_PKT4_S6_PT5_21rocsparse_index_base_b.uses_vcc, 1
	.set _ZN9rocsparseL21csrmvn_general_kernelILj256ELj64Eii21rocsparse_complex_numIdES2_S2_S2_EEvbT2_NS_24const_host_device_scalarIT6_EEPKT1_S9_PKS3_PKT3_PKT4_S6_PT5_21rocsparse_index_base_b.uses_flat_scratch, 0
	.set _ZN9rocsparseL21csrmvn_general_kernelILj256ELj64Eii21rocsparse_complex_numIdES2_S2_S2_EEvbT2_NS_24const_host_device_scalarIT6_EEPKT1_S9_PKS3_PKT3_PKT4_S6_PT5_21rocsparse_index_base_b.has_dyn_sized_stack, 0
	.set _ZN9rocsparseL21csrmvn_general_kernelILj256ELj64Eii21rocsparse_complex_numIdES2_S2_S2_EEvbT2_NS_24const_host_device_scalarIT6_EEPKT1_S9_PKS3_PKT3_PKT4_S6_PT5_21rocsparse_index_base_b.has_recursion, 0
	.set _ZN9rocsparseL21csrmvn_general_kernelILj256ELj64Eii21rocsparse_complex_numIdES2_S2_S2_EEvbT2_NS_24const_host_device_scalarIT6_EEPKT1_S9_PKS3_PKT3_PKT4_S6_PT5_21rocsparse_index_base_b.has_indirect_call, 0
	.section	.AMDGPU.csdata,"",@progbits
; Kernel info:
; codeLenInByte = 1228
; TotalNumSgprs: 26
; NumVgprs: 34
; ScratchSize: 0
; MemoryBound: 0
; FloatMode: 240
; IeeeMode: 1
; LDSByteSize: 0 bytes/workgroup (compile time only)
; SGPRBlocks: 0
; VGPRBlocks: 2
; NumSGPRsForWavesPerEU: 26
; NumVGPRsForWavesPerEU: 34
; NamedBarCnt: 0
; Occupancy: 16
; WaveLimiterHint : 1
; COMPUTE_PGM_RSRC2:SCRATCH_EN: 0
; COMPUTE_PGM_RSRC2:USER_SGPR: 2
; COMPUTE_PGM_RSRC2:TRAP_HANDLER: 0
; COMPUTE_PGM_RSRC2:TGID_X_EN: 1
; COMPUTE_PGM_RSRC2:TGID_Y_EN: 0
; COMPUTE_PGM_RSRC2:TGID_Z_EN: 0
; COMPUTE_PGM_RSRC2:TIDIG_COMP_CNT: 0
	.section	.text._ZN9rocsparseL21csrmvt_general_kernelILj256ELj4Eii21rocsparse_complex_numIdES2_S2_S2_EEvbbT2_NS_24const_host_device_scalarIT6_EEPKT1_S9_PKS3_PKT3_PKT4_PT5_21rocsparse_index_base_b,"axG",@progbits,_ZN9rocsparseL21csrmvt_general_kernelILj256ELj4Eii21rocsparse_complex_numIdES2_S2_S2_EEvbbT2_NS_24const_host_device_scalarIT6_EEPKT1_S9_PKS3_PKT3_PKT4_PT5_21rocsparse_index_base_b,comdat
	.globl	_ZN9rocsparseL21csrmvt_general_kernelILj256ELj4Eii21rocsparse_complex_numIdES2_S2_S2_EEvbbT2_NS_24const_host_device_scalarIT6_EEPKT1_S9_PKS3_PKT3_PKT4_PT5_21rocsparse_index_base_b ; -- Begin function _ZN9rocsparseL21csrmvt_general_kernelILj256ELj4Eii21rocsparse_complex_numIdES2_S2_S2_EEvbbT2_NS_24const_host_device_scalarIT6_EEPKT1_S9_PKS3_PKT3_PKT4_PT5_21rocsparse_index_base_b
	.p2align	8
	.type	_ZN9rocsparseL21csrmvt_general_kernelILj256ELj4Eii21rocsparse_complex_numIdES2_S2_S2_EEvbbT2_NS_24const_host_device_scalarIT6_EEPKT1_S9_PKS3_PKT3_PKT4_PT5_21rocsparse_index_base_b,@function
_ZN9rocsparseL21csrmvt_general_kernelILj256ELj4Eii21rocsparse_complex_numIdES2_S2_S2_EEvbbT2_NS_24const_host_device_scalarIT6_EEPKT1_S9_PKS3_PKT3_PKT4_PT5_21rocsparse_index_base_b: ; @_ZN9rocsparseL21csrmvt_general_kernelILj256ELj4Eii21rocsparse_complex_numIdES2_S2_S2_EEvbbT2_NS_24const_host_device_scalarIT6_EEPKT1_S9_PKS3_PKT3_PKT4_PT5_21rocsparse_index_base_b
; %bb.0:
	s_clause 0x1
	s_load_b64 s[16:17], s[0:1], 0x48
	s_load_b64 s[2:3], s[0:1], 0x8
	v_mov_b32_e32 v1, 0
	s_add_nc_u64 s[4:5], s[0:1], 8
	s_wait_kmcnt 0x0
	s_bitcmp1_b32 s17, 0
	s_cselect_b32 s3, s5, s3
	s_cselect_b32 s2, s4, s2
	flat_load_b128 v[2:5], v1, s[2:3]
	s_wait_loadcnt_dscnt 0x0
	v_cmp_neq_f64_e32 vcc_lo, 0, v[2:3]
	v_cmp_neq_f64_e64 s2, 0, v[4:5]
	s_or_b32 s2, vcc_lo, s2
	s_delay_alu instid0(SALU_CYCLE_1)
	s_and_saveexec_b32 s3, s2
	s_cbranch_execz .LBB105_18
; %bb.1:
	s_clause 0x3
	s_load_b32 s4, s[0:1], 0x0
	s_load_b64 s[2:3], s[0:1], 0x0
	s_load_b32 s17, s[0:1], 0x50
	s_load_b128 s[12:15], s[0:1], 0x38
	s_getreg_b32 s19, hwreg(HW_REG_IB_STS2, 6, 4)
	v_and_b32_e32 v7, 3, v0
	s_wait_kmcnt 0x0
	s_and_b32 s18, s4, 1
	s_bitcmp1_b32 s2, 8
	s_load_b256 s[4:11], s[0:1], 0x18
	s_wait_xcnt 0x0
	s_cselect_b32 s0, -1, 0
	s_bfe_u32 s1, ttmp6, 0x4000c
	s_lshl_b32 s2, s17, 6
	s_add_co_i32 s1, s1, 1
	s_and_b32 s17, ttmp6, 15
	s_mul_i32 s1, ttmp9, s1
	s_delay_alu instid0(SALU_CYCLE_1)
	s_add_co_i32 s17, s17, s1
	s_cmp_eq_u32 s19, 0
	s_cselect_b32 s1, ttmp9, s17
	s_cmp_eq_u32 s18, 0
	v_lshl_or_b32 v1, s1, 8, v0
	s_mov_b32 s17, -1
	s_delay_alu instid0(VALU_DEP_1) | instskip(NEXT) | instid1(VALU_DEP_1)
	v_lshrrev_b32_e32 v6, 2, v1
	v_cmp_gt_i32_e64 s1, s3, v6
	s_cbranch_scc0 .LBB105_9
; %bb.2:
	s_and_saveexec_b32 s17, s1
	s_cbranch_execz .LBB105_8
; %bb.3:
	v_subrev_nc_u32_e32 v12, s16, v7
	v_mov_b32_e32 v0, v6
	s_mov_b32 s18, 0
	s_branch .LBB105_5
.LBB105_4:                              ;   in Loop: Header=BB105_5 Depth=1
	s_or_b32 exec_lo, exec_lo, s19
	v_add_nc_u32_e32 v0, s2, v0
	s_delay_alu instid0(VALU_DEP_1) | instskip(SKIP_1) | instid1(SALU_CYCLE_1)
	v_cmp_le_i32_e32 vcc_lo, s3, v0
	s_or_b32 s18, vcc_lo, s18
	s_and_not1_b32 exec_lo, exec_lo, s18
	s_cbranch_execz .LBB105_8
.LBB105_5:                              ; =>This Loop Header: Depth=1
                                        ;     Child Loop BB105_7 Depth 2
	s_wait_kmcnt 0x0
	s_clause 0x1
	global_load_b32 v1, v0, s[6:7] scale_offset
	global_load_b32 v8, v0, s[4:5] scale_offset
	s_mov_b32 s19, exec_lo
	s_wait_loadcnt 0x1
	v_subrev_nc_u32_e32 v13, s16, v1
	s_wait_loadcnt 0x0
	v_add_nc_u32_e32 v14, v8, v12
	s_wait_xcnt 0x0
	s_delay_alu instid0(VALU_DEP_1)
	v_cmpx_lt_i32_e64 v14, v13
	s_cbranch_execz .LBB105_4
; %bb.6:                                ;   in Loop: Header=BB105_5 Depth=1
	v_ashrrev_i32_e32 v1, 31, v0
	s_mov_b32 s20, 0
	s_delay_alu instid0(VALU_DEP_1)
	v_lshl_add_u64 v[8:9], v[0:1], 4, s[12:13]
	global_load_b128 v[16:19], v[8:9], off
	s_wait_loadcnt 0x0
	s_wait_xcnt 0x0
	v_mul_f64_e64 v[8:9], v[18:19], -v[4:5]
	v_mul_f64_e32 v[10:11], v[2:3], v[18:19]
	s_delay_alu instid0(VALU_DEP_2) | instskip(NEXT) | instid1(VALU_DEP_2)
	v_fmac_f64_e32 v[8:9], v[2:3], v[16:17]
	v_fmac_f64_e32 v[10:11], v[4:5], v[16:17]
.LBB105_7:                              ;   Parent Loop BB105_5 Depth=1
                                        ; =>  This Inner Loop Header: Depth=2
	s_clause 0x1
	global_load_b128 v[16:19], v14, s[10:11] scale_offset
	global_load_b32 v1, v14, s[8:9] scale_offset
	s_wait_xcnt 0x0
	v_add_nc_u32_e32 v14, 4, v14
	s_delay_alu instid0(VALU_DEP_1) | instskip(SKIP_3) | instid1(VALU_DEP_1)
	v_cmp_ge_i32_e32 vcc_lo, v14, v13
	s_or_b32 s20, vcc_lo, s20
	s_wait_loadcnt 0x1
	v_xor_b32_e32 v15, 0x80000000, v19
	v_cndmask_b32_e64 v19, v19, v15, s0
	s_delay_alu instid0(VALU_DEP_1) | instskip(SKIP_1) | instid1(VALU_DEP_2)
	v_mul_f64_e64 v[20:21], v[18:19], -v[10:11]
	v_mul_f64_e32 v[18:19], v[8:9], v[18:19]
	v_fmac_f64_e32 v[20:21], v[8:9], v[16:17]
	s_delay_alu instid0(VALU_DEP_2) | instskip(SKIP_2) | instid1(VALU_DEP_1)
	v_fmac_f64_e32 v[18:19], v[10:11], v[16:17]
	s_wait_loadcnt 0x0
	v_subrev_nc_u32_e32 v16, s16, v1
	v_ashrrev_i32_e32 v17, 31, v16
	s_delay_alu instid0(VALU_DEP_1)
	v_lshl_add_u64 v[16:17], v[16:17], 4, s[14:15]
	global_atomic_add_f64 v[16:17], v[20:21], off scope:SCOPE_DEV
	s_wait_xcnt 0x0
	global_atomic_add_f64 v[16:17], v[18:19], off offset:8 scope:SCOPE_DEV
	s_wait_xcnt 0x0
	s_and_not1_b32 exec_lo, exec_lo, s20
	s_cbranch_execnz .LBB105_7
	s_branch .LBB105_4
.LBB105_8:
	s_or_b32 exec_lo, exec_lo, s17
	s_mov_b32 s17, 0
.LBB105_9:
	s_delay_alu instid0(SALU_CYCLE_1)
	s_and_not1_b32 vcc_lo, exec_lo, s17
	s_cbranch_vccnz .LBB105_18
; %bb.10:
	s_and_b32 exec_lo, exec_lo, s1
	s_cbranch_execz .LBB105_18
; %bb.11:
	v_subrev_nc_u32_e32 v14, s16, v7
	s_mov_b32 s1, 0
	s_branch .LBB105_13
.LBB105_12:                             ;   in Loop: Header=BB105_13 Depth=1
	s_or_b32 exec_lo, exec_lo, s17
	v_add_nc_u32_e32 v6, s2, v6
	s_delay_alu instid0(VALU_DEP_1) | instskip(SKIP_1) | instid1(SALU_CYCLE_1)
	v_cmp_le_i32_e32 vcc_lo, s3, v6
	s_or_b32 s1, vcc_lo, s1
	s_and_not1_b32 exec_lo, exec_lo, s1
	s_cbranch_execz .LBB105_18
.LBB105_13:                             ; =>This Loop Header: Depth=1
                                        ;     Child Loop BB105_16 Depth 2
	s_wait_kmcnt 0x0
	s_clause 0x1
	global_load_b32 v0, v6, s[6:7] scale_offset
	global_load_b32 v1, v6, s[4:5] scale_offset
	s_mov_b32 s17, exec_lo
	s_wait_loadcnt 0x1
	v_subrev_nc_u32_e32 v15, s16, v0
	s_wait_loadcnt 0x0
	v_add_nc_u32_e32 v0, v1, v14
	s_wait_xcnt 0x0
	s_delay_alu instid0(VALU_DEP_1)
	v_cmpx_lt_i32_e64 v0, v15
	s_cbranch_execz .LBB105_12
; %bb.14:                               ;   in Loop: Header=BB105_13 Depth=1
	v_ashrrev_i32_e32 v7, 31, v6
	s_mov_b32 s18, 0
	s_delay_alu instid0(VALU_DEP_1) | instskip(SKIP_4) | instid1(VALU_DEP_2)
	v_lshl_add_u64 v[8:9], v[6:7], 4, s[12:13]
	global_load_b128 v[16:19], v[8:9], off
	s_wait_loadcnt 0x0
	v_mul_f64_e64 v[8:9], v[18:19], -v[4:5]
	v_mul_f64_e32 v[10:11], v[2:3], v[18:19]
	v_fmac_f64_e32 v[8:9], v[2:3], v[16:17]
	s_delay_alu instid0(VALU_DEP_2)
	v_fmac_f64_e32 v[10:11], v[4:5], v[16:17]
	s_branch .LBB105_16
.LBB105_15:                             ;   in Loop: Header=BB105_16 Depth=2
	s_wait_xcnt 0x0
	s_or_b32 exec_lo, exec_lo, s19
	v_add_nc_u32_e32 v0, 4, v0
	s_delay_alu instid0(VALU_DEP_1) | instskip(SKIP_1) | instid1(SALU_CYCLE_1)
	v_cmp_ge_i32_e32 vcc_lo, v0, v15
	s_or_b32 s18, vcc_lo, s18
	s_and_not1_b32 exec_lo, exec_lo, s18
	s_cbranch_execz .LBB105_12
.LBB105_16:                             ;   Parent Loop BB105_13 Depth=1
                                        ; =>  This Inner Loop Header: Depth=2
	global_load_b32 v1, v0, s[8:9] scale_offset
	s_mov_b32 s19, exec_lo
	s_wait_loadcnt 0x0
	v_subrev_nc_u32_e32 v12, s16, v1
	v_ashrrev_i32_e32 v1, 31, v0
	s_wait_xcnt 0x0
	s_delay_alu instid0(VALU_DEP_2)
	v_cmpx_ne_u32_e64 v12, v6
	s_cbranch_execz .LBB105_15
; %bb.17:                               ;   in Loop: Header=BB105_16 Depth=2
	s_delay_alu instid0(VALU_DEP_2)
	v_lshl_add_u64 v[16:17], v[0:1], 4, s[10:11]
	v_ashrrev_i32_e32 v13, 31, v12
	global_load_b128 v[16:19], v[16:17], off
	v_lshl_add_u64 v[12:13], v[12:13], 4, s[14:15]
	s_wait_loadcnt 0x0
	v_xor_b32_e32 v1, 0x80000000, v19
	s_delay_alu instid0(VALU_DEP_1) | instskip(NEXT) | instid1(VALU_DEP_1)
	v_cndmask_b32_e64 v19, v19, v1, s0
	v_mul_f64_e64 v[20:21], v[18:19], -v[10:11]
	v_mul_f64_e32 v[18:19], v[8:9], v[18:19]
	s_delay_alu instid0(VALU_DEP_2) | instskip(NEXT) | instid1(VALU_DEP_2)
	v_fmac_f64_e32 v[20:21], v[8:9], v[16:17]
	v_fmac_f64_e32 v[18:19], v[10:11], v[16:17]
	s_wait_xcnt 0x0
	global_atomic_add_f64 v[12:13], v[20:21], off scope:SCOPE_DEV
	s_wait_xcnt 0x0
	global_atomic_add_f64 v[12:13], v[18:19], off offset:8 scope:SCOPE_DEV
	s_branch .LBB105_15
.LBB105_18:
	s_endpgm
	.section	.rodata,"a",@progbits
	.p2align	6, 0x0
	.amdhsa_kernel _ZN9rocsparseL21csrmvt_general_kernelILj256ELj4Eii21rocsparse_complex_numIdES2_S2_S2_EEvbbT2_NS_24const_host_device_scalarIT6_EEPKT1_S9_PKS3_PKT3_PKT4_PT5_21rocsparse_index_base_b
		.amdhsa_group_segment_fixed_size 0
		.amdhsa_private_segment_fixed_size 0
		.amdhsa_kernarg_size 336
		.amdhsa_user_sgpr_count 2
		.amdhsa_user_sgpr_dispatch_ptr 0
		.amdhsa_user_sgpr_queue_ptr 0
		.amdhsa_user_sgpr_kernarg_segment_ptr 1
		.amdhsa_user_sgpr_dispatch_id 0
		.amdhsa_user_sgpr_kernarg_preload_length 0
		.amdhsa_user_sgpr_kernarg_preload_offset 0
		.amdhsa_user_sgpr_private_segment_size 0
		.amdhsa_wavefront_size32 1
		.amdhsa_uses_dynamic_stack 0
		.amdhsa_enable_private_segment 0
		.amdhsa_system_sgpr_workgroup_id_x 1
		.amdhsa_system_sgpr_workgroup_id_y 0
		.amdhsa_system_sgpr_workgroup_id_z 0
		.amdhsa_system_sgpr_workgroup_info 0
		.amdhsa_system_vgpr_workitem_id 0
		.amdhsa_next_free_vgpr 22
		.amdhsa_next_free_sgpr 21
		.amdhsa_named_barrier_count 0
		.amdhsa_reserve_vcc 1
		.amdhsa_float_round_mode_32 0
		.amdhsa_float_round_mode_16_64 0
		.amdhsa_float_denorm_mode_32 3
		.amdhsa_float_denorm_mode_16_64 3
		.amdhsa_fp16_overflow 0
		.amdhsa_memory_ordered 1
		.amdhsa_forward_progress 1
		.amdhsa_inst_pref_size 8
		.amdhsa_round_robin_scheduling 0
		.amdhsa_exception_fp_ieee_invalid_op 0
		.amdhsa_exception_fp_denorm_src 0
		.amdhsa_exception_fp_ieee_div_zero 0
		.amdhsa_exception_fp_ieee_overflow 0
		.amdhsa_exception_fp_ieee_underflow 0
		.amdhsa_exception_fp_ieee_inexact 0
		.amdhsa_exception_int_div_zero 0
	.end_amdhsa_kernel
	.section	.text._ZN9rocsparseL21csrmvt_general_kernelILj256ELj4Eii21rocsparse_complex_numIdES2_S2_S2_EEvbbT2_NS_24const_host_device_scalarIT6_EEPKT1_S9_PKS3_PKT3_PKT4_PT5_21rocsparse_index_base_b,"axG",@progbits,_ZN9rocsparseL21csrmvt_general_kernelILj256ELj4Eii21rocsparse_complex_numIdES2_S2_S2_EEvbbT2_NS_24const_host_device_scalarIT6_EEPKT1_S9_PKS3_PKT3_PKT4_PT5_21rocsparse_index_base_b,comdat
.Lfunc_end105:
	.size	_ZN9rocsparseL21csrmvt_general_kernelILj256ELj4Eii21rocsparse_complex_numIdES2_S2_S2_EEvbbT2_NS_24const_host_device_scalarIT6_EEPKT1_S9_PKS3_PKT3_PKT4_PT5_21rocsparse_index_base_b, .Lfunc_end105-_ZN9rocsparseL21csrmvt_general_kernelILj256ELj4Eii21rocsparse_complex_numIdES2_S2_S2_EEvbbT2_NS_24const_host_device_scalarIT6_EEPKT1_S9_PKS3_PKT3_PKT4_PT5_21rocsparse_index_base_b
                                        ; -- End function
	.set _ZN9rocsparseL21csrmvt_general_kernelILj256ELj4Eii21rocsparse_complex_numIdES2_S2_S2_EEvbbT2_NS_24const_host_device_scalarIT6_EEPKT1_S9_PKS3_PKT3_PKT4_PT5_21rocsparse_index_base_b.num_vgpr, 22
	.set _ZN9rocsparseL21csrmvt_general_kernelILj256ELj4Eii21rocsparse_complex_numIdES2_S2_S2_EEvbbT2_NS_24const_host_device_scalarIT6_EEPKT1_S9_PKS3_PKT3_PKT4_PT5_21rocsparse_index_base_b.num_agpr, 0
	.set _ZN9rocsparseL21csrmvt_general_kernelILj256ELj4Eii21rocsparse_complex_numIdES2_S2_S2_EEvbbT2_NS_24const_host_device_scalarIT6_EEPKT1_S9_PKS3_PKT3_PKT4_PT5_21rocsparse_index_base_b.numbered_sgpr, 21
	.set _ZN9rocsparseL21csrmvt_general_kernelILj256ELj4Eii21rocsparse_complex_numIdES2_S2_S2_EEvbbT2_NS_24const_host_device_scalarIT6_EEPKT1_S9_PKS3_PKT3_PKT4_PT5_21rocsparse_index_base_b.num_named_barrier, 0
	.set _ZN9rocsparseL21csrmvt_general_kernelILj256ELj4Eii21rocsparse_complex_numIdES2_S2_S2_EEvbbT2_NS_24const_host_device_scalarIT6_EEPKT1_S9_PKS3_PKT3_PKT4_PT5_21rocsparse_index_base_b.private_seg_size, 0
	.set _ZN9rocsparseL21csrmvt_general_kernelILj256ELj4Eii21rocsparse_complex_numIdES2_S2_S2_EEvbbT2_NS_24const_host_device_scalarIT6_EEPKT1_S9_PKS3_PKT3_PKT4_PT5_21rocsparse_index_base_b.uses_vcc, 1
	.set _ZN9rocsparseL21csrmvt_general_kernelILj256ELj4Eii21rocsparse_complex_numIdES2_S2_S2_EEvbbT2_NS_24const_host_device_scalarIT6_EEPKT1_S9_PKS3_PKT3_PKT4_PT5_21rocsparse_index_base_b.uses_flat_scratch, 0
	.set _ZN9rocsparseL21csrmvt_general_kernelILj256ELj4Eii21rocsparse_complex_numIdES2_S2_S2_EEvbbT2_NS_24const_host_device_scalarIT6_EEPKT1_S9_PKS3_PKT3_PKT4_PT5_21rocsparse_index_base_b.has_dyn_sized_stack, 0
	.set _ZN9rocsparseL21csrmvt_general_kernelILj256ELj4Eii21rocsparse_complex_numIdES2_S2_S2_EEvbbT2_NS_24const_host_device_scalarIT6_EEPKT1_S9_PKS3_PKT3_PKT4_PT5_21rocsparse_index_base_b.has_recursion, 0
	.set _ZN9rocsparseL21csrmvt_general_kernelILj256ELj4Eii21rocsparse_complex_numIdES2_S2_S2_EEvbbT2_NS_24const_host_device_scalarIT6_EEPKT1_S9_PKS3_PKT3_PKT4_PT5_21rocsparse_index_base_b.has_indirect_call, 0
	.section	.AMDGPU.csdata,"",@progbits
; Kernel info:
; codeLenInByte = 996
; TotalNumSgprs: 23
; NumVgprs: 22
; ScratchSize: 0
; MemoryBound: 0
; FloatMode: 240
; IeeeMode: 1
; LDSByteSize: 0 bytes/workgroup (compile time only)
; SGPRBlocks: 0
; VGPRBlocks: 1
; NumSGPRsForWavesPerEU: 23
; NumVGPRsForWavesPerEU: 22
; NamedBarCnt: 0
; Occupancy: 16
; WaveLimiterHint : 1
; COMPUTE_PGM_RSRC2:SCRATCH_EN: 0
; COMPUTE_PGM_RSRC2:USER_SGPR: 2
; COMPUTE_PGM_RSRC2:TRAP_HANDLER: 0
; COMPUTE_PGM_RSRC2:TGID_X_EN: 1
; COMPUTE_PGM_RSRC2:TGID_Y_EN: 0
; COMPUTE_PGM_RSRC2:TGID_Z_EN: 0
; COMPUTE_PGM_RSRC2:TIDIG_COMP_CNT: 0
	.section	.text._ZN9rocsparseL21csrmvt_general_kernelILj256ELj8Eii21rocsparse_complex_numIdES2_S2_S2_EEvbbT2_NS_24const_host_device_scalarIT6_EEPKT1_S9_PKS3_PKT3_PKT4_PT5_21rocsparse_index_base_b,"axG",@progbits,_ZN9rocsparseL21csrmvt_general_kernelILj256ELj8Eii21rocsparse_complex_numIdES2_S2_S2_EEvbbT2_NS_24const_host_device_scalarIT6_EEPKT1_S9_PKS3_PKT3_PKT4_PT5_21rocsparse_index_base_b,comdat
	.globl	_ZN9rocsparseL21csrmvt_general_kernelILj256ELj8Eii21rocsparse_complex_numIdES2_S2_S2_EEvbbT2_NS_24const_host_device_scalarIT6_EEPKT1_S9_PKS3_PKT3_PKT4_PT5_21rocsparse_index_base_b ; -- Begin function _ZN9rocsparseL21csrmvt_general_kernelILj256ELj8Eii21rocsparse_complex_numIdES2_S2_S2_EEvbbT2_NS_24const_host_device_scalarIT6_EEPKT1_S9_PKS3_PKT3_PKT4_PT5_21rocsparse_index_base_b
	.p2align	8
	.type	_ZN9rocsparseL21csrmvt_general_kernelILj256ELj8Eii21rocsparse_complex_numIdES2_S2_S2_EEvbbT2_NS_24const_host_device_scalarIT6_EEPKT1_S9_PKS3_PKT3_PKT4_PT5_21rocsparse_index_base_b,@function
_ZN9rocsparseL21csrmvt_general_kernelILj256ELj8Eii21rocsparse_complex_numIdES2_S2_S2_EEvbbT2_NS_24const_host_device_scalarIT6_EEPKT1_S9_PKS3_PKT3_PKT4_PT5_21rocsparse_index_base_b: ; @_ZN9rocsparseL21csrmvt_general_kernelILj256ELj8Eii21rocsparse_complex_numIdES2_S2_S2_EEvbbT2_NS_24const_host_device_scalarIT6_EEPKT1_S9_PKS3_PKT3_PKT4_PT5_21rocsparse_index_base_b
; %bb.0:
	s_clause 0x1
	s_load_b64 s[16:17], s[0:1], 0x48
	s_load_b64 s[2:3], s[0:1], 0x8
	v_mov_b32_e32 v1, 0
	s_add_nc_u64 s[4:5], s[0:1], 8
	s_wait_kmcnt 0x0
	s_bitcmp1_b32 s17, 0
	s_cselect_b32 s3, s5, s3
	s_cselect_b32 s2, s4, s2
	flat_load_b128 v[2:5], v1, s[2:3]
	s_wait_loadcnt_dscnt 0x0
	v_cmp_neq_f64_e32 vcc_lo, 0, v[2:3]
	v_cmp_neq_f64_e64 s2, 0, v[4:5]
	s_or_b32 s2, vcc_lo, s2
	s_delay_alu instid0(SALU_CYCLE_1)
	s_and_saveexec_b32 s3, s2
	s_cbranch_execz .LBB106_18
; %bb.1:
	s_clause 0x3
	s_load_b32 s4, s[0:1], 0x0
	s_load_b64 s[2:3], s[0:1], 0x0
	s_load_b32 s17, s[0:1], 0x50
	s_load_b128 s[12:15], s[0:1], 0x38
	s_getreg_b32 s19, hwreg(HW_REG_IB_STS2, 6, 4)
	v_and_b32_e32 v7, 7, v0
	s_wait_kmcnt 0x0
	s_and_b32 s18, s4, 1
	s_bitcmp1_b32 s2, 8
	s_load_b256 s[4:11], s[0:1], 0x18
	s_wait_xcnt 0x0
	s_cselect_b32 s0, -1, 0
	s_bfe_u32 s1, ttmp6, 0x4000c
	s_lshl_b32 s2, s17, 5
	s_add_co_i32 s1, s1, 1
	s_and_b32 s17, ttmp6, 15
	s_mul_i32 s1, ttmp9, s1
	s_delay_alu instid0(SALU_CYCLE_1)
	s_add_co_i32 s17, s17, s1
	s_cmp_eq_u32 s19, 0
	s_cselect_b32 s1, ttmp9, s17
	s_cmp_eq_u32 s18, 0
	v_lshl_or_b32 v1, s1, 8, v0
	s_mov_b32 s17, -1
	s_delay_alu instid0(VALU_DEP_1) | instskip(NEXT) | instid1(VALU_DEP_1)
	v_lshrrev_b32_e32 v6, 3, v1
	v_cmp_gt_i32_e64 s1, s3, v6
	s_cbranch_scc0 .LBB106_9
; %bb.2:
	s_and_saveexec_b32 s17, s1
	s_cbranch_execz .LBB106_8
; %bb.3:
	v_subrev_nc_u32_e32 v12, s16, v7
	v_mov_b32_e32 v0, v6
	s_mov_b32 s18, 0
	s_branch .LBB106_5
.LBB106_4:                              ;   in Loop: Header=BB106_5 Depth=1
	s_or_b32 exec_lo, exec_lo, s19
	v_add_nc_u32_e32 v0, s2, v0
	s_delay_alu instid0(VALU_DEP_1) | instskip(SKIP_1) | instid1(SALU_CYCLE_1)
	v_cmp_le_i32_e32 vcc_lo, s3, v0
	s_or_b32 s18, vcc_lo, s18
	s_and_not1_b32 exec_lo, exec_lo, s18
	s_cbranch_execz .LBB106_8
.LBB106_5:                              ; =>This Loop Header: Depth=1
                                        ;     Child Loop BB106_7 Depth 2
	s_wait_kmcnt 0x0
	s_clause 0x1
	global_load_b32 v1, v0, s[6:7] scale_offset
	global_load_b32 v8, v0, s[4:5] scale_offset
	s_mov_b32 s19, exec_lo
	s_wait_loadcnt 0x1
	v_subrev_nc_u32_e32 v13, s16, v1
	s_wait_loadcnt 0x0
	v_add_nc_u32_e32 v14, v8, v12
	s_wait_xcnt 0x0
	s_delay_alu instid0(VALU_DEP_1)
	v_cmpx_lt_i32_e64 v14, v13
	s_cbranch_execz .LBB106_4
; %bb.6:                                ;   in Loop: Header=BB106_5 Depth=1
	v_ashrrev_i32_e32 v1, 31, v0
	s_mov_b32 s20, 0
	s_delay_alu instid0(VALU_DEP_1)
	v_lshl_add_u64 v[8:9], v[0:1], 4, s[12:13]
	global_load_b128 v[16:19], v[8:9], off
	s_wait_loadcnt 0x0
	s_wait_xcnt 0x0
	v_mul_f64_e64 v[8:9], v[18:19], -v[4:5]
	v_mul_f64_e32 v[10:11], v[2:3], v[18:19]
	s_delay_alu instid0(VALU_DEP_2) | instskip(NEXT) | instid1(VALU_DEP_2)
	v_fmac_f64_e32 v[8:9], v[2:3], v[16:17]
	v_fmac_f64_e32 v[10:11], v[4:5], v[16:17]
.LBB106_7:                              ;   Parent Loop BB106_5 Depth=1
                                        ; =>  This Inner Loop Header: Depth=2
	s_clause 0x1
	global_load_b128 v[16:19], v14, s[10:11] scale_offset
	global_load_b32 v1, v14, s[8:9] scale_offset
	s_wait_xcnt 0x0
	v_add_nc_u32_e32 v14, 8, v14
	s_delay_alu instid0(VALU_DEP_1) | instskip(SKIP_3) | instid1(VALU_DEP_1)
	v_cmp_ge_i32_e32 vcc_lo, v14, v13
	s_or_b32 s20, vcc_lo, s20
	s_wait_loadcnt 0x1
	v_xor_b32_e32 v15, 0x80000000, v19
	v_cndmask_b32_e64 v19, v19, v15, s0
	s_delay_alu instid0(VALU_DEP_1) | instskip(SKIP_1) | instid1(VALU_DEP_2)
	v_mul_f64_e64 v[20:21], v[18:19], -v[10:11]
	v_mul_f64_e32 v[18:19], v[8:9], v[18:19]
	v_fmac_f64_e32 v[20:21], v[8:9], v[16:17]
	s_delay_alu instid0(VALU_DEP_2) | instskip(SKIP_2) | instid1(VALU_DEP_1)
	v_fmac_f64_e32 v[18:19], v[10:11], v[16:17]
	s_wait_loadcnt 0x0
	v_subrev_nc_u32_e32 v16, s16, v1
	v_ashrrev_i32_e32 v17, 31, v16
	s_delay_alu instid0(VALU_DEP_1)
	v_lshl_add_u64 v[16:17], v[16:17], 4, s[14:15]
	global_atomic_add_f64 v[16:17], v[20:21], off scope:SCOPE_DEV
	s_wait_xcnt 0x0
	global_atomic_add_f64 v[16:17], v[18:19], off offset:8 scope:SCOPE_DEV
	s_wait_xcnt 0x0
	s_and_not1_b32 exec_lo, exec_lo, s20
	s_cbranch_execnz .LBB106_7
	s_branch .LBB106_4
.LBB106_8:
	s_or_b32 exec_lo, exec_lo, s17
	s_mov_b32 s17, 0
.LBB106_9:
	s_delay_alu instid0(SALU_CYCLE_1)
	s_and_not1_b32 vcc_lo, exec_lo, s17
	s_cbranch_vccnz .LBB106_18
; %bb.10:
	s_and_b32 exec_lo, exec_lo, s1
	s_cbranch_execz .LBB106_18
; %bb.11:
	v_subrev_nc_u32_e32 v14, s16, v7
	s_mov_b32 s1, 0
	s_branch .LBB106_13
.LBB106_12:                             ;   in Loop: Header=BB106_13 Depth=1
	s_or_b32 exec_lo, exec_lo, s17
	v_add_nc_u32_e32 v6, s2, v6
	s_delay_alu instid0(VALU_DEP_1) | instskip(SKIP_1) | instid1(SALU_CYCLE_1)
	v_cmp_le_i32_e32 vcc_lo, s3, v6
	s_or_b32 s1, vcc_lo, s1
	s_and_not1_b32 exec_lo, exec_lo, s1
	s_cbranch_execz .LBB106_18
.LBB106_13:                             ; =>This Loop Header: Depth=1
                                        ;     Child Loop BB106_16 Depth 2
	s_wait_kmcnt 0x0
	s_clause 0x1
	global_load_b32 v0, v6, s[6:7] scale_offset
	global_load_b32 v1, v6, s[4:5] scale_offset
	s_mov_b32 s17, exec_lo
	s_wait_loadcnt 0x1
	v_subrev_nc_u32_e32 v15, s16, v0
	s_wait_loadcnt 0x0
	v_add_nc_u32_e32 v0, v1, v14
	s_wait_xcnt 0x0
	s_delay_alu instid0(VALU_DEP_1)
	v_cmpx_lt_i32_e64 v0, v15
	s_cbranch_execz .LBB106_12
; %bb.14:                               ;   in Loop: Header=BB106_13 Depth=1
	v_ashrrev_i32_e32 v7, 31, v6
	s_mov_b32 s18, 0
	s_delay_alu instid0(VALU_DEP_1) | instskip(SKIP_4) | instid1(VALU_DEP_2)
	v_lshl_add_u64 v[8:9], v[6:7], 4, s[12:13]
	global_load_b128 v[16:19], v[8:9], off
	s_wait_loadcnt 0x0
	v_mul_f64_e64 v[8:9], v[18:19], -v[4:5]
	v_mul_f64_e32 v[10:11], v[2:3], v[18:19]
	v_fmac_f64_e32 v[8:9], v[2:3], v[16:17]
	s_delay_alu instid0(VALU_DEP_2)
	v_fmac_f64_e32 v[10:11], v[4:5], v[16:17]
	s_branch .LBB106_16
.LBB106_15:                             ;   in Loop: Header=BB106_16 Depth=2
	s_wait_xcnt 0x0
	s_or_b32 exec_lo, exec_lo, s19
	v_add_nc_u32_e32 v0, 8, v0
	s_delay_alu instid0(VALU_DEP_1) | instskip(SKIP_1) | instid1(SALU_CYCLE_1)
	v_cmp_ge_i32_e32 vcc_lo, v0, v15
	s_or_b32 s18, vcc_lo, s18
	s_and_not1_b32 exec_lo, exec_lo, s18
	s_cbranch_execz .LBB106_12
.LBB106_16:                             ;   Parent Loop BB106_13 Depth=1
                                        ; =>  This Inner Loop Header: Depth=2
	global_load_b32 v1, v0, s[8:9] scale_offset
	s_mov_b32 s19, exec_lo
	s_wait_loadcnt 0x0
	v_subrev_nc_u32_e32 v12, s16, v1
	v_ashrrev_i32_e32 v1, 31, v0
	s_wait_xcnt 0x0
	s_delay_alu instid0(VALU_DEP_2)
	v_cmpx_ne_u32_e64 v12, v6
	s_cbranch_execz .LBB106_15
; %bb.17:                               ;   in Loop: Header=BB106_16 Depth=2
	s_delay_alu instid0(VALU_DEP_2)
	v_lshl_add_u64 v[16:17], v[0:1], 4, s[10:11]
	v_ashrrev_i32_e32 v13, 31, v12
	global_load_b128 v[16:19], v[16:17], off
	v_lshl_add_u64 v[12:13], v[12:13], 4, s[14:15]
	s_wait_loadcnt 0x0
	v_xor_b32_e32 v1, 0x80000000, v19
	s_delay_alu instid0(VALU_DEP_1) | instskip(NEXT) | instid1(VALU_DEP_1)
	v_cndmask_b32_e64 v19, v19, v1, s0
	v_mul_f64_e64 v[20:21], v[18:19], -v[10:11]
	v_mul_f64_e32 v[18:19], v[8:9], v[18:19]
	s_delay_alu instid0(VALU_DEP_2) | instskip(NEXT) | instid1(VALU_DEP_2)
	v_fmac_f64_e32 v[20:21], v[8:9], v[16:17]
	v_fmac_f64_e32 v[18:19], v[10:11], v[16:17]
	s_wait_xcnt 0x0
	global_atomic_add_f64 v[12:13], v[20:21], off scope:SCOPE_DEV
	s_wait_xcnt 0x0
	global_atomic_add_f64 v[12:13], v[18:19], off offset:8 scope:SCOPE_DEV
	s_branch .LBB106_15
.LBB106_18:
	s_endpgm
	.section	.rodata,"a",@progbits
	.p2align	6, 0x0
	.amdhsa_kernel _ZN9rocsparseL21csrmvt_general_kernelILj256ELj8Eii21rocsparse_complex_numIdES2_S2_S2_EEvbbT2_NS_24const_host_device_scalarIT6_EEPKT1_S9_PKS3_PKT3_PKT4_PT5_21rocsparse_index_base_b
		.amdhsa_group_segment_fixed_size 0
		.amdhsa_private_segment_fixed_size 0
		.amdhsa_kernarg_size 336
		.amdhsa_user_sgpr_count 2
		.amdhsa_user_sgpr_dispatch_ptr 0
		.amdhsa_user_sgpr_queue_ptr 0
		.amdhsa_user_sgpr_kernarg_segment_ptr 1
		.amdhsa_user_sgpr_dispatch_id 0
		.amdhsa_user_sgpr_kernarg_preload_length 0
		.amdhsa_user_sgpr_kernarg_preload_offset 0
		.amdhsa_user_sgpr_private_segment_size 0
		.amdhsa_wavefront_size32 1
		.amdhsa_uses_dynamic_stack 0
		.amdhsa_enable_private_segment 0
		.amdhsa_system_sgpr_workgroup_id_x 1
		.amdhsa_system_sgpr_workgroup_id_y 0
		.amdhsa_system_sgpr_workgroup_id_z 0
		.amdhsa_system_sgpr_workgroup_info 0
		.amdhsa_system_vgpr_workitem_id 0
		.amdhsa_next_free_vgpr 22
		.amdhsa_next_free_sgpr 21
		.amdhsa_named_barrier_count 0
		.amdhsa_reserve_vcc 1
		.amdhsa_float_round_mode_32 0
		.amdhsa_float_round_mode_16_64 0
		.amdhsa_float_denorm_mode_32 3
		.amdhsa_float_denorm_mode_16_64 3
		.amdhsa_fp16_overflow 0
		.amdhsa_memory_ordered 1
		.amdhsa_forward_progress 1
		.amdhsa_inst_pref_size 8
		.amdhsa_round_robin_scheduling 0
		.amdhsa_exception_fp_ieee_invalid_op 0
		.amdhsa_exception_fp_denorm_src 0
		.amdhsa_exception_fp_ieee_div_zero 0
		.amdhsa_exception_fp_ieee_overflow 0
		.amdhsa_exception_fp_ieee_underflow 0
		.amdhsa_exception_fp_ieee_inexact 0
		.amdhsa_exception_int_div_zero 0
	.end_amdhsa_kernel
	.section	.text._ZN9rocsparseL21csrmvt_general_kernelILj256ELj8Eii21rocsparse_complex_numIdES2_S2_S2_EEvbbT2_NS_24const_host_device_scalarIT6_EEPKT1_S9_PKS3_PKT3_PKT4_PT5_21rocsparse_index_base_b,"axG",@progbits,_ZN9rocsparseL21csrmvt_general_kernelILj256ELj8Eii21rocsparse_complex_numIdES2_S2_S2_EEvbbT2_NS_24const_host_device_scalarIT6_EEPKT1_S9_PKS3_PKT3_PKT4_PT5_21rocsparse_index_base_b,comdat
.Lfunc_end106:
	.size	_ZN9rocsparseL21csrmvt_general_kernelILj256ELj8Eii21rocsparse_complex_numIdES2_S2_S2_EEvbbT2_NS_24const_host_device_scalarIT6_EEPKT1_S9_PKS3_PKT3_PKT4_PT5_21rocsparse_index_base_b, .Lfunc_end106-_ZN9rocsparseL21csrmvt_general_kernelILj256ELj8Eii21rocsparse_complex_numIdES2_S2_S2_EEvbbT2_NS_24const_host_device_scalarIT6_EEPKT1_S9_PKS3_PKT3_PKT4_PT5_21rocsparse_index_base_b
                                        ; -- End function
	.set _ZN9rocsparseL21csrmvt_general_kernelILj256ELj8Eii21rocsparse_complex_numIdES2_S2_S2_EEvbbT2_NS_24const_host_device_scalarIT6_EEPKT1_S9_PKS3_PKT3_PKT4_PT5_21rocsparse_index_base_b.num_vgpr, 22
	.set _ZN9rocsparseL21csrmvt_general_kernelILj256ELj8Eii21rocsparse_complex_numIdES2_S2_S2_EEvbbT2_NS_24const_host_device_scalarIT6_EEPKT1_S9_PKS3_PKT3_PKT4_PT5_21rocsparse_index_base_b.num_agpr, 0
	.set _ZN9rocsparseL21csrmvt_general_kernelILj256ELj8Eii21rocsparse_complex_numIdES2_S2_S2_EEvbbT2_NS_24const_host_device_scalarIT6_EEPKT1_S9_PKS3_PKT3_PKT4_PT5_21rocsparse_index_base_b.numbered_sgpr, 21
	.set _ZN9rocsparseL21csrmvt_general_kernelILj256ELj8Eii21rocsparse_complex_numIdES2_S2_S2_EEvbbT2_NS_24const_host_device_scalarIT6_EEPKT1_S9_PKS3_PKT3_PKT4_PT5_21rocsparse_index_base_b.num_named_barrier, 0
	.set _ZN9rocsparseL21csrmvt_general_kernelILj256ELj8Eii21rocsparse_complex_numIdES2_S2_S2_EEvbbT2_NS_24const_host_device_scalarIT6_EEPKT1_S9_PKS3_PKT3_PKT4_PT5_21rocsparse_index_base_b.private_seg_size, 0
	.set _ZN9rocsparseL21csrmvt_general_kernelILj256ELj8Eii21rocsparse_complex_numIdES2_S2_S2_EEvbbT2_NS_24const_host_device_scalarIT6_EEPKT1_S9_PKS3_PKT3_PKT4_PT5_21rocsparse_index_base_b.uses_vcc, 1
	.set _ZN9rocsparseL21csrmvt_general_kernelILj256ELj8Eii21rocsparse_complex_numIdES2_S2_S2_EEvbbT2_NS_24const_host_device_scalarIT6_EEPKT1_S9_PKS3_PKT3_PKT4_PT5_21rocsparse_index_base_b.uses_flat_scratch, 0
	.set _ZN9rocsparseL21csrmvt_general_kernelILj256ELj8Eii21rocsparse_complex_numIdES2_S2_S2_EEvbbT2_NS_24const_host_device_scalarIT6_EEPKT1_S9_PKS3_PKT3_PKT4_PT5_21rocsparse_index_base_b.has_dyn_sized_stack, 0
	.set _ZN9rocsparseL21csrmvt_general_kernelILj256ELj8Eii21rocsparse_complex_numIdES2_S2_S2_EEvbbT2_NS_24const_host_device_scalarIT6_EEPKT1_S9_PKS3_PKT3_PKT4_PT5_21rocsparse_index_base_b.has_recursion, 0
	.set _ZN9rocsparseL21csrmvt_general_kernelILj256ELj8Eii21rocsparse_complex_numIdES2_S2_S2_EEvbbT2_NS_24const_host_device_scalarIT6_EEPKT1_S9_PKS3_PKT3_PKT4_PT5_21rocsparse_index_base_b.has_indirect_call, 0
	.section	.AMDGPU.csdata,"",@progbits
; Kernel info:
; codeLenInByte = 996
; TotalNumSgprs: 23
; NumVgprs: 22
; ScratchSize: 0
; MemoryBound: 0
; FloatMode: 240
; IeeeMode: 1
; LDSByteSize: 0 bytes/workgroup (compile time only)
; SGPRBlocks: 0
; VGPRBlocks: 1
; NumSGPRsForWavesPerEU: 23
; NumVGPRsForWavesPerEU: 22
; NamedBarCnt: 0
; Occupancy: 16
; WaveLimiterHint : 1
; COMPUTE_PGM_RSRC2:SCRATCH_EN: 0
; COMPUTE_PGM_RSRC2:USER_SGPR: 2
; COMPUTE_PGM_RSRC2:TRAP_HANDLER: 0
; COMPUTE_PGM_RSRC2:TGID_X_EN: 1
; COMPUTE_PGM_RSRC2:TGID_Y_EN: 0
; COMPUTE_PGM_RSRC2:TGID_Z_EN: 0
; COMPUTE_PGM_RSRC2:TIDIG_COMP_CNT: 0
	.section	.text._ZN9rocsparseL21csrmvt_general_kernelILj256ELj16Eii21rocsparse_complex_numIdES2_S2_S2_EEvbbT2_NS_24const_host_device_scalarIT6_EEPKT1_S9_PKS3_PKT3_PKT4_PT5_21rocsparse_index_base_b,"axG",@progbits,_ZN9rocsparseL21csrmvt_general_kernelILj256ELj16Eii21rocsparse_complex_numIdES2_S2_S2_EEvbbT2_NS_24const_host_device_scalarIT6_EEPKT1_S9_PKS3_PKT3_PKT4_PT5_21rocsparse_index_base_b,comdat
	.globl	_ZN9rocsparseL21csrmvt_general_kernelILj256ELj16Eii21rocsparse_complex_numIdES2_S2_S2_EEvbbT2_NS_24const_host_device_scalarIT6_EEPKT1_S9_PKS3_PKT3_PKT4_PT5_21rocsparse_index_base_b ; -- Begin function _ZN9rocsparseL21csrmvt_general_kernelILj256ELj16Eii21rocsparse_complex_numIdES2_S2_S2_EEvbbT2_NS_24const_host_device_scalarIT6_EEPKT1_S9_PKS3_PKT3_PKT4_PT5_21rocsparse_index_base_b
	.p2align	8
	.type	_ZN9rocsparseL21csrmvt_general_kernelILj256ELj16Eii21rocsparse_complex_numIdES2_S2_S2_EEvbbT2_NS_24const_host_device_scalarIT6_EEPKT1_S9_PKS3_PKT3_PKT4_PT5_21rocsparse_index_base_b,@function
_ZN9rocsparseL21csrmvt_general_kernelILj256ELj16Eii21rocsparse_complex_numIdES2_S2_S2_EEvbbT2_NS_24const_host_device_scalarIT6_EEPKT1_S9_PKS3_PKT3_PKT4_PT5_21rocsparse_index_base_b: ; @_ZN9rocsparseL21csrmvt_general_kernelILj256ELj16Eii21rocsparse_complex_numIdES2_S2_S2_EEvbbT2_NS_24const_host_device_scalarIT6_EEPKT1_S9_PKS3_PKT3_PKT4_PT5_21rocsparse_index_base_b
; %bb.0:
	s_clause 0x1
	s_load_b64 s[16:17], s[0:1], 0x48
	s_load_b64 s[2:3], s[0:1], 0x8
	v_mov_b32_e32 v1, 0
	s_add_nc_u64 s[4:5], s[0:1], 8
	s_wait_kmcnt 0x0
	s_bitcmp1_b32 s17, 0
	s_cselect_b32 s3, s5, s3
	s_cselect_b32 s2, s4, s2
	flat_load_b128 v[2:5], v1, s[2:3]
	s_wait_loadcnt_dscnt 0x0
	v_cmp_neq_f64_e32 vcc_lo, 0, v[2:3]
	v_cmp_neq_f64_e64 s2, 0, v[4:5]
	s_or_b32 s2, vcc_lo, s2
	s_delay_alu instid0(SALU_CYCLE_1)
	s_and_saveexec_b32 s3, s2
	s_cbranch_execz .LBB107_18
; %bb.1:
	s_clause 0x3
	s_load_b32 s4, s[0:1], 0x0
	s_load_b64 s[2:3], s[0:1], 0x0
	s_load_b32 s17, s[0:1], 0x50
	s_load_b128 s[12:15], s[0:1], 0x38
	s_getreg_b32 s19, hwreg(HW_REG_IB_STS2, 6, 4)
	v_and_b32_e32 v7, 15, v0
	s_wait_kmcnt 0x0
	s_and_b32 s18, s4, 1
	s_bitcmp1_b32 s2, 8
	s_load_b256 s[4:11], s[0:1], 0x18
	s_wait_xcnt 0x0
	s_cselect_b32 s0, -1, 0
	s_bfe_u32 s1, ttmp6, 0x4000c
	s_lshl_b32 s2, s17, 4
	s_add_co_i32 s1, s1, 1
	s_and_b32 s17, ttmp6, 15
	s_mul_i32 s1, ttmp9, s1
	s_delay_alu instid0(SALU_CYCLE_1)
	s_add_co_i32 s17, s17, s1
	s_cmp_eq_u32 s19, 0
	s_cselect_b32 s1, ttmp9, s17
	s_cmp_eq_u32 s18, 0
	v_lshl_or_b32 v1, s1, 8, v0
	s_mov_b32 s17, -1
	s_delay_alu instid0(VALU_DEP_1) | instskip(NEXT) | instid1(VALU_DEP_1)
	v_lshrrev_b32_e32 v6, 4, v1
	v_cmp_gt_i32_e64 s1, s3, v6
	s_cbranch_scc0 .LBB107_9
; %bb.2:
	s_and_saveexec_b32 s17, s1
	s_cbranch_execz .LBB107_8
; %bb.3:
	v_subrev_nc_u32_e32 v12, s16, v7
	v_mov_b32_e32 v0, v6
	s_mov_b32 s18, 0
	s_branch .LBB107_5
.LBB107_4:                              ;   in Loop: Header=BB107_5 Depth=1
	s_or_b32 exec_lo, exec_lo, s19
	v_add_nc_u32_e32 v0, s2, v0
	s_delay_alu instid0(VALU_DEP_1) | instskip(SKIP_1) | instid1(SALU_CYCLE_1)
	v_cmp_le_i32_e32 vcc_lo, s3, v0
	s_or_b32 s18, vcc_lo, s18
	s_and_not1_b32 exec_lo, exec_lo, s18
	s_cbranch_execz .LBB107_8
.LBB107_5:                              ; =>This Loop Header: Depth=1
                                        ;     Child Loop BB107_7 Depth 2
	s_wait_kmcnt 0x0
	s_clause 0x1
	global_load_b32 v1, v0, s[6:7] scale_offset
	global_load_b32 v8, v0, s[4:5] scale_offset
	s_mov_b32 s19, exec_lo
	s_wait_loadcnt 0x1
	v_subrev_nc_u32_e32 v13, s16, v1
	s_wait_loadcnt 0x0
	v_add_nc_u32_e32 v14, v8, v12
	s_wait_xcnt 0x0
	s_delay_alu instid0(VALU_DEP_1)
	v_cmpx_lt_i32_e64 v14, v13
	s_cbranch_execz .LBB107_4
; %bb.6:                                ;   in Loop: Header=BB107_5 Depth=1
	v_ashrrev_i32_e32 v1, 31, v0
	s_mov_b32 s20, 0
	s_delay_alu instid0(VALU_DEP_1)
	v_lshl_add_u64 v[8:9], v[0:1], 4, s[12:13]
	global_load_b128 v[16:19], v[8:9], off
	s_wait_loadcnt 0x0
	s_wait_xcnt 0x0
	v_mul_f64_e64 v[8:9], v[18:19], -v[4:5]
	v_mul_f64_e32 v[10:11], v[2:3], v[18:19]
	s_delay_alu instid0(VALU_DEP_2) | instskip(NEXT) | instid1(VALU_DEP_2)
	v_fmac_f64_e32 v[8:9], v[2:3], v[16:17]
	v_fmac_f64_e32 v[10:11], v[4:5], v[16:17]
.LBB107_7:                              ;   Parent Loop BB107_5 Depth=1
                                        ; =>  This Inner Loop Header: Depth=2
	s_clause 0x1
	global_load_b128 v[16:19], v14, s[10:11] scale_offset
	global_load_b32 v1, v14, s[8:9] scale_offset
	s_wait_xcnt 0x0
	v_add_nc_u32_e32 v14, 16, v14
	s_delay_alu instid0(VALU_DEP_1) | instskip(SKIP_3) | instid1(VALU_DEP_1)
	v_cmp_ge_i32_e32 vcc_lo, v14, v13
	s_or_b32 s20, vcc_lo, s20
	s_wait_loadcnt 0x1
	v_xor_b32_e32 v15, 0x80000000, v19
	v_cndmask_b32_e64 v19, v19, v15, s0
	s_delay_alu instid0(VALU_DEP_1) | instskip(SKIP_1) | instid1(VALU_DEP_2)
	v_mul_f64_e64 v[20:21], v[18:19], -v[10:11]
	v_mul_f64_e32 v[18:19], v[8:9], v[18:19]
	v_fmac_f64_e32 v[20:21], v[8:9], v[16:17]
	s_delay_alu instid0(VALU_DEP_2) | instskip(SKIP_2) | instid1(VALU_DEP_1)
	v_fmac_f64_e32 v[18:19], v[10:11], v[16:17]
	s_wait_loadcnt 0x0
	v_subrev_nc_u32_e32 v16, s16, v1
	v_ashrrev_i32_e32 v17, 31, v16
	s_delay_alu instid0(VALU_DEP_1)
	v_lshl_add_u64 v[16:17], v[16:17], 4, s[14:15]
	global_atomic_add_f64 v[16:17], v[20:21], off scope:SCOPE_DEV
	s_wait_xcnt 0x0
	global_atomic_add_f64 v[16:17], v[18:19], off offset:8 scope:SCOPE_DEV
	s_wait_xcnt 0x0
	s_and_not1_b32 exec_lo, exec_lo, s20
	s_cbranch_execnz .LBB107_7
	s_branch .LBB107_4
.LBB107_8:
	s_or_b32 exec_lo, exec_lo, s17
	s_mov_b32 s17, 0
.LBB107_9:
	s_delay_alu instid0(SALU_CYCLE_1)
	s_and_not1_b32 vcc_lo, exec_lo, s17
	s_cbranch_vccnz .LBB107_18
; %bb.10:
	s_and_b32 exec_lo, exec_lo, s1
	s_cbranch_execz .LBB107_18
; %bb.11:
	v_subrev_nc_u32_e32 v14, s16, v7
	s_mov_b32 s1, 0
	s_branch .LBB107_13
.LBB107_12:                             ;   in Loop: Header=BB107_13 Depth=1
	s_or_b32 exec_lo, exec_lo, s17
	v_add_nc_u32_e32 v6, s2, v6
	s_delay_alu instid0(VALU_DEP_1) | instskip(SKIP_1) | instid1(SALU_CYCLE_1)
	v_cmp_le_i32_e32 vcc_lo, s3, v6
	s_or_b32 s1, vcc_lo, s1
	s_and_not1_b32 exec_lo, exec_lo, s1
	s_cbranch_execz .LBB107_18
.LBB107_13:                             ; =>This Loop Header: Depth=1
                                        ;     Child Loop BB107_16 Depth 2
	s_wait_kmcnt 0x0
	s_clause 0x1
	global_load_b32 v0, v6, s[6:7] scale_offset
	global_load_b32 v1, v6, s[4:5] scale_offset
	s_mov_b32 s17, exec_lo
	s_wait_loadcnt 0x1
	v_subrev_nc_u32_e32 v15, s16, v0
	s_wait_loadcnt 0x0
	v_add_nc_u32_e32 v0, v1, v14
	s_wait_xcnt 0x0
	s_delay_alu instid0(VALU_DEP_1)
	v_cmpx_lt_i32_e64 v0, v15
	s_cbranch_execz .LBB107_12
; %bb.14:                               ;   in Loop: Header=BB107_13 Depth=1
	v_ashrrev_i32_e32 v7, 31, v6
	s_mov_b32 s18, 0
	s_delay_alu instid0(VALU_DEP_1) | instskip(SKIP_4) | instid1(VALU_DEP_2)
	v_lshl_add_u64 v[8:9], v[6:7], 4, s[12:13]
	global_load_b128 v[16:19], v[8:9], off
	s_wait_loadcnt 0x0
	v_mul_f64_e64 v[8:9], v[18:19], -v[4:5]
	v_mul_f64_e32 v[10:11], v[2:3], v[18:19]
	v_fmac_f64_e32 v[8:9], v[2:3], v[16:17]
	s_delay_alu instid0(VALU_DEP_2)
	v_fmac_f64_e32 v[10:11], v[4:5], v[16:17]
	s_branch .LBB107_16
.LBB107_15:                             ;   in Loop: Header=BB107_16 Depth=2
	s_wait_xcnt 0x0
	s_or_b32 exec_lo, exec_lo, s19
	v_add_nc_u32_e32 v0, 16, v0
	s_delay_alu instid0(VALU_DEP_1) | instskip(SKIP_1) | instid1(SALU_CYCLE_1)
	v_cmp_ge_i32_e32 vcc_lo, v0, v15
	s_or_b32 s18, vcc_lo, s18
	s_and_not1_b32 exec_lo, exec_lo, s18
	s_cbranch_execz .LBB107_12
.LBB107_16:                             ;   Parent Loop BB107_13 Depth=1
                                        ; =>  This Inner Loop Header: Depth=2
	global_load_b32 v1, v0, s[8:9] scale_offset
	s_mov_b32 s19, exec_lo
	s_wait_loadcnt 0x0
	v_subrev_nc_u32_e32 v12, s16, v1
	v_ashrrev_i32_e32 v1, 31, v0
	s_wait_xcnt 0x0
	s_delay_alu instid0(VALU_DEP_2)
	v_cmpx_ne_u32_e64 v12, v6
	s_cbranch_execz .LBB107_15
; %bb.17:                               ;   in Loop: Header=BB107_16 Depth=2
	s_delay_alu instid0(VALU_DEP_2)
	v_lshl_add_u64 v[16:17], v[0:1], 4, s[10:11]
	v_ashrrev_i32_e32 v13, 31, v12
	global_load_b128 v[16:19], v[16:17], off
	v_lshl_add_u64 v[12:13], v[12:13], 4, s[14:15]
	s_wait_loadcnt 0x0
	v_xor_b32_e32 v1, 0x80000000, v19
	s_delay_alu instid0(VALU_DEP_1) | instskip(NEXT) | instid1(VALU_DEP_1)
	v_cndmask_b32_e64 v19, v19, v1, s0
	v_mul_f64_e64 v[20:21], v[18:19], -v[10:11]
	v_mul_f64_e32 v[18:19], v[8:9], v[18:19]
	s_delay_alu instid0(VALU_DEP_2) | instskip(NEXT) | instid1(VALU_DEP_2)
	v_fmac_f64_e32 v[20:21], v[8:9], v[16:17]
	v_fmac_f64_e32 v[18:19], v[10:11], v[16:17]
	s_wait_xcnt 0x0
	global_atomic_add_f64 v[12:13], v[20:21], off scope:SCOPE_DEV
	s_wait_xcnt 0x0
	global_atomic_add_f64 v[12:13], v[18:19], off offset:8 scope:SCOPE_DEV
	s_branch .LBB107_15
.LBB107_18:
	s_endpgm
	.section	.rodata,"a",@progbits
	.p2align	6, 0x0
	.amdhsa_kernel _ZN9rocsparseL21csrmvt_general_kernelILj256ELj16Eii21rocsparse_complex_numIdES2_S2_S2_EEvbbT2_NS_24const_host_device_scalarIT6_EEPKT1_S9_PKS3_PKT3_PKT4_PT5_21rocsparse_index_base_b
		.amdhsa_group_segment_fixed_size 0
		.amdhsa_private_segment_fixed_size 0
		.amdhsa_kernarg_size 336
		.amdhsa_user_sgpr_count 2
		.amdhsa_user_sgpr_dispatch_ptr 0
		.amdhsa_user_sgpr_queue_ptr 0
		.amdhsa_user_sgpr_kernarg_segment_ptr 1
		.amdhsa_user_sgpr_dispatch_id 0
		.amdhsa_user_sgpr_kernarg_preload_length 0
		.amdhsa_user_sgpr_kernarg_preload_offset 0
		.amdhsa_user_sgpr_private_segment_size 0
		.amdhsa_wavefront_size32 1
		.amdhsa_uses_dynamic_stack 0
		.amdhsa_enable_private_segment 0
		.amdhsa_system_sgpr_workgroup_id_x 1
		.amdhsa_system_sgpr_workgroup_id_y 0
		.amdhsa_system_sgpr_workgroup_id_z 0
		.amdhsa_system_sgpr_workgroup_info 0
		.amdhsa_system_vgpr_workitem_id 0
		.amdhsa_next_free_vgpr 22
		.amdhsa_next_free_sgpr 21
		.amdhsa_named_barrier_count 0
		.amdhsa_reserve_vcc 1
		.amdhsa_float_round_mode_32 0
		.amdhsa_float_round_mode_16_64 0
		.amdhsa_float_denorm_mode_32 3
		.amdhsa_float_denorm_mode_16_64 3
		.amdhsa_fp16_overflow 0
		.amdhsa_memory_ordered 1
		.amdhsa_forward_progress 1
		.amdhsa_inst_pref_size 8
		.amdhsa_round_robin_scheduling 0
		.amdhsa_exception_fp_ieee_invalid_op 0
		.amdhsa_exception_fp_denorm_src 0
		.amdhsa_exception_fp_ieee_div_zero 0
		.amdhsa_exception_fp_ieee_overflow 0
		.amdhsa_exception_fp_ieee_underflow 0
		.amdhsa_exception_fp_ieee_inexact 0
		.amdhsa_exception_int_div_zero 0
	.end_amdhsa_kernel
	.section	.text._ZN9rocsparseL21csrmvt_general_kernelILj256ELj16Eii21rocsparse_complex_numIdES2_S2_S2_EEvbbT2_NS_24const_host_device_scalarIT6_EEPKT1_S9_PKS3_PKT3_PKT4_PT5_21rocsparse_index_base_b,"axG",@progbits,_ZN9rocsparseL21csrmvt_general_kernelILj256ELj16Eii21rocsparse_complex_numIdES2_S2_S2_EEvbbT2_NS_24const_host_device_scalarIT6_EEPKT1_S9_PKS3_PKT3_PKT4_PT5_21rocsparse_index_base_b,comdat
.Lfunc_end107:
	.size	_ZN9rocsparseL21csrmvt_general_kernelILj256ELj16Eii21rocsparse_complex_numIdES2_S2_S2_EEvbbT2_NS_24const_host_device_scalarIT6_EEPKT1_S9_PKS3_PKT3_PKT4_PT5_21rocsparse_index_base_b, .Lfunc_end107-_ZN9rocsparseL21csrmvt_general_kernelILj256ELj16Eii21rocsparse_complex_numIdES2_S2_S2_EEvbbT2_NS_24const_host_device_scalarIT6_EEPKT1_S9_PKS3_PKT3_PKT4_PT5_21rocsparse_index_base_b
                                        ; -- End function
	.set _ZN9rocsparseL21csrmvt_general_kernelILj256ELj16Eii21rocsparse_complex_numIdES2_S2_S2_EEvbbT2_NS_24const_host_device_scalarIT6_EEPKT1_S9_PKS3_PKT3_PKT4_PT5_21rocsparse_index_base_b.num_vgpr, 22
	.set _ZN9rocsparseL21csrmvt_general_kernelILj256ELj16Eii21rocsparse_complex_numIdES2_S2_S2_EEvbbT2_NS_24const_host_device_scalarIT6_EEPKT1_S9_PKS3_PKT3_PKT4_PT5_21rocsparse_index_base_b.num_agpr, 0
	.set _ZN9rocsparseL21csrmvt_general_kernelILj256ELj16Eii21rocsparse_complex_numIdES2_S2_S2_EEvbbT2_NS_24const_host_device_scalarIT6_EEPKT1_S9_PKS3_PKT3_PKT4_PT5_21rocsparse_index_base_b.numbered_sgpr, 21
	.set _ZN9rocsparseL21csrmvt_general_kernelILj256ELj16Eii21rocsparse_complex_numIdES2_S2_S2_EEvbbT2_NS_24const_host_device_scalarIT6_EEPKT1_S9_PKS3_PKT3_PKT4_PT5_21rocsparse_index_base_b.num_named_barrier, 0
	.set _ZN9rocsparseL21csrmvt_general_kernelILj256ELj16Eii21rocsparse_complex_numIdES2_S2_S2_EEvbbT2_NS_24const_host_device_scalarIT6_EEPKT1_S9_PKS3_PKT3_PKT4_PT5_21rocsparse_index_base_b.private_seg_size, 0
	.set _ZN9rocsparseL21csrmvt_general_kernelILj256ELj16Eii21rocsparse_complex_numIdES2_S2_S2_EEvbbT2_NS_24const_host_device_scalarIT6_EEPKT1_S9_PKS3_PKT3_PKT4_PT5_21rocsparse_index_base_b.uses_vcc, 1
	.set _ZN9rocsparseL21csrmvt_general_kernelILj256ELj16Eii21rocsparse_complex_numIdES2_S2_S2_EEvbbT2_NS_24const_host_device_scalarIT6_EEPKT1_S9_PKS3_PKT3_PKT4_PT5_21rocsparse_index_base_b.uses_flat_scratch, 0
	.set _ZN9rocsparseL21csrmvt_general_kernelILj256ELj16Eii21rocsparse_complex_numIdES2_S2_S2_EEvbbT2_NS_24const_host_device_scalarIT6_EEPKT1_S9_PKS3_PKT3_PKT4_PT5_21rocsparse_index_base_b.has_dyn_sized_stack, 0
	.set _ZN9rocsparseL21csrmvt_general_kernelILj256ELj16Eii21rocsparse_complex_numIdES2_S2_S2_EEvbbT2_NS_24const_host_device_scalarIT6_EEPKT1_S9_PKS3_PKT3_PKT4_PT5_21rocsparse_index_base_b.has_recursion, 0
	.set _ZN9rocsparseL21csrmvt_general_kernelILj256ELj16Eii21rocsparse_complex_numIdES2_S2_S2_EEvbbT2_NS_24const_host_device_scalarIT6_EEPKT1_S9_PKS3_PKT3_PKT4_PT5_21rocsparse_index_base_b.has_indirect_call, 0
	.section	.AMDGPU.csdata,"",@progbits
; Kernel info:
; codeLenInByte = 996
; TotalNumSgprs: 23
; NumVgprs: 22
; ScratchSize: 0
; MemoryBound: 0
; FloatMode: 240
; IeeeMode: 1
; LDSByteSize: 0 bytes/workgroup (compile time only)
; SGPRBlocks: 0
; VGPRBlocks: 1
; NumSGPRsForWavesPerEU: 23
; NumVGPRsForWavesPerEU: 22
; NamedBarCnt: 0
; Occupancy: 16
; WaveLimiterHint : 1
; COMPUTE_PGM_RSRC2:SCRATCH_EN: 0
; COMPUTE_PGM_RSRC2:USER_SGPR: 2
; COMPUTE_PGM_RSRC2:TRAP_HANDLER: 0
; COMPUTE_PGM_RSRC2:TGID_X_EN: 1
; COMPUTE_PGM_RSRC2:TGID_Y_EN: 0
; COMPUTE_PGM_RSRC2:TGID_Z_EN: 0
; COMPUTE_PGM_RSRC2:TIDIG_COMP_CNT: 0
	.section	.text._ZN9rocsparseL21csrmvt_general_kernelILj256ELj32Eii21rocsparse_complex_numIdES2_S2_S2_EEvbbT2_NS_24const_host_device_scalarIT6_EEPKT1_S9_PKS3_PKT3_PKT4_PT5_21rocsparse_index_base_b,"axG",@progbits,_ZN9rocsparseL21csrmvt_general_kernelILj256ELj32Eii21rocsparse_complex_numIdES2_S2_S2_EEvbbT2_NS_24const_host_device_scalarIT6_EEPKT1_S9_PKS3_PKT3_PKT4_PT5_21rocsparse_index_base_b,comdat
	.globl	_ZN9rocsparseL21csrmvt_general_kernelILj256ELj32Eii21rocsparse_complex_numIdES2_S2_S2_EEvbbT2_NS_24const_host_device_scalarIT6_EEPKT1_S9_PKS3_PKT3_PKT4_PT5_21rocsparse_index_base_b ; -- Begin function _ZN9rocsparseL21csrmvt_general_kernelILj256ELj32Eii21rocsparse_complex_numIdES2_S2_S2_EEvbbT2_NS_24const_host_device_scalarIT6_EEPKT1_S9_PKS3_PKT3_PKT4_PT5_21rocsparse_index_base_b
	.p2align	8
	.type	_ZN9rocsparseL21csrmvt_general_kernelILj256ELj32Eii21rocsparse_complex_numIdES2_S2_S2_EEvbbT2_NS_24const_host_device_scalarIT6_EEPKT1_S9_PKS3_PKT3_PKT4_PT5_21rocsparse_index_base_b,@function
_ZN9rocsparseL21csrmvt_general_kernelILj256ELj32Eii21rocsparse_complex_numIdES2_S2_S2_EEvbbT2_NS_24const_host_device_scalarIT6_EEPKT1_S9_PKS3_PKT3_PKT4_PT5_21rocsparse_index_base_b: ; @_ZN9rocsparseL21csrmvt_general_kernelILj256ELj32Eii21rocsparse_complex_numIdES2_S2_S2_EEvbbT2_NS_24const_host_device_scalarIT6_EEPKT1_S9_PKS3_PKT3_PKT4_PT5_21rocsparse_index_base_b
; %bb.0:
	s_clause 0x1
	s_load_b64 s[16:17], s[0:1], 0x48
	s_load_b64 s[2:3], s[0:1], 0x8
	v_mov_b32_e32 v1, 0
	s_add_nc_u64 s[4:5], s[0:1], 8
	s_wait_kmcnt 0x0
	s_bitcmp1_b32 s17, 0
	s_cselect_b32 s3, s5, s3
	s_cselect_b32 s2, s4, s2
	flat_load_b128 v[2:5], v1, s[2:3]
	s_wait_loadcnt_dscnt 0x0
	v_cmp_neq_f64_e32 vcc_lo, 0, v[2:3]
	v_cmp_neq_f64_e64 s2, 0, v[4:5]
	s_or_b32 s2, vcc_lo, s2
	s_delay_alu instid0(SALU_CYCLE_1)
	s_and_saveexec_b32 s3, s2
	s_cbranch_execz .LBB108_18
; %bb.1:
	s_clause 0x3
	s_load_b32 s4, s[0:1], 0x0
	s_load_b64 s[2:3], s[0:1], 0x0
	s_load_b32 s17, s[0:1], 0x50
	s_load_b128 s[12:15], s[0:1], 0x38
	s_getreg_b32 s19, hwreg(HW_REG_IB_STS2, 6, 4)
	v_and_b32_e32 v7, 31, v0
	s_wait_kmcnt 0x0
	s_and_b32 s18, s4, 1
	s_bitcmp1_b32 s2, 8
	s_load_b256 s[4:11], s[0:1], 0x18
	s_wait_xcnt 0x0
	s_cselect_b32 s0, -1, 0
	s_bfe_u32 s1, ttmp6, 0x4000c
	s_lshl_b32 s2, s17, 3
	s_add_co_i32 s1, s1, 1
	s_and_b32 s17, ttmp6, 15
	s_mul_i32 s1, ttmp9, s1
	s_delay_alu instid0(SALU_CYCLE_1)
	s_add_co_i32 s17, s17, s1
	s_cmp_eq_u32 s19, 0
	s_cselect_b32 s1, ttmp9, s17
	s_cmp_eq_u32 s18, 0
	v_lshl_or_b32 v1, s1, 8, v0
	s_mov_b32 s17, -1
	s_delay_alu instid0(VALU_DEP_1) | instskip(NEXT) | instid1(VALU_DEP_1)
	v_lshrrev_b32_e32 v6, 5, v1
	v_cmp_gt_i32_e64 s1, s3, v6
	s_cbranch_scc0 .LBB108_9
; %bb.2:
	s_and_saveexec_b32 s17, s1
	s_cbranch_execz .LBB108_8
; %bb.3:
	v_subrev_nc_u32_e32 v12, s16, v7
	v_mov_b32_e32 v0, v6
	s_mov_b32 s18, 0
	s_branch .LBB108_5
.LBB108_4:                              ;   in Loop: Header=BB108_5 Depth=1
	s_or_b32 exec_lo, exec_lo, s19
	v_add_nc_u32_e32 v0, s2, v0
	s_delay_alu instid0(VALU_DEP_1) | instskip(SKIP_1) | instid1(SALU_CYCLE_1)
	v_cmp_le_i32_e32 vcc_lo, s3, v0
	s_or_b32 s18, vcc_lo, s18
	s_and_not1_b32 exec_lo, exec_lo, s18
	s_cbranch_execz .LBB108_8
.LBB108_5:                              ; =>This Loop Header: Depth=1
                                        ;     Child Loop BB108_7 Depth 2
	s_wait_kmcnt 0x0
	s_clause 0x1
	global_load_b32 v1, v0, s[6:7] scale_offset
	global_load_b32 v8, v0, s[4:5] scale_offset
	s_mov_b32 s19, exec_lo
	s_wait_loadcnt 0x1
	v_subrev_nc_u32_e32 v13, s16, v1
	s_wait_loadcnt 0x0
	v_add_nc_u32_e32 v14, v8, v12
	s_wait_xcnt 0x0
	s_delay_alu instid0(VALU_DEP_1)
	v_cmpx_lt_i32_e64 v14, v13
	s_cbranch_execz .LBB108_4
; %bb.6:                                ;   in Loop: Header=BB108_5 Depth=1
	v_ashrrev_i32_e32 v1, 31, v0
	s_mov_b32 s20, 0
	s_delay_alu instid0(VALU_DEP_1)
	v_lshl_add_u64 v[8:9], v[0:1], 4, s[12:13]
	global_load_b128 v[16:19], v[8:9], off
	s_wait_loadcnt 0x0
	s_wait_xcnt 0x0
	v_mul_f64_e64 v[8:9], v[18:19], -v[4:5]
	v_mul_f64_e32 v[10:11], v[2:3], v[18:19]
	s_delay_alu instid0(VALU_DEP_2) | instskip(NEXT) | instid1(VALU_DEP_2)
	v_fmac_f64_e32 v[8:9], v[2:3], v[16:17]
	v_fmac_f64_e32 v[10:11], v[4:5], v[16:17]
.LBB108_7:                              ;   Parent Loop BB108_5 Depth=1
                                        ; =>  This Inner Loop Header: Depth=2
	s_clause 0x1
	global_load_b128 v[16:19], v14, s[10:11] scale_offset
	global_load_b32 v1, v14, s[8:9] scale_offset
	s_wait_xcnt 0x0
	v_add_nc_u32_e32 v14, 32, v14
	s_delay_alu instid0(VALU_DEP_1) | instskip(SKIP_3) | instid1(VALU_DEP_1)
	v_cmp_ge_i32_e32 vcc_lo, v14, v13
	s_or_b32 s20, vcc_lo, s20
	s_wait_loadcnt 0x1
	v_xor_b32_e32 v15, 0x80000000, v19
	v_cndmask_b32_e64 v19, v19, v15, s0
	s_delay_alu instid0(VALU_DEP_1) | instskip(SKIP_1) | instid1(VALU_DEP_2)
	v_mul_f64_e64 v[20:21], v[18:19], -v[10:11]
	v_mul_f64_e32 v[18:19], v[8:9], v[18:19]
	v_fmac_f64_e32 v[20:21], v[8:9], v[16:17]
	s_delay_alu instid0(VALU_DEP_2) | instskip(SKIP_2) | instid1(VALU_DEP_1)
	v_fmac_f64_e32 v[18:19], v[10:11], v[16:17]
	s_wait_loadcnt 0x0
	v_subrev_nc_u32_e32 v16, s16, v1
	v_ashrrev_i32_e32 v17, 31, v16
	s_delay_alu instid0(VALU_DEP_1)
	v_lshl_add_u64 v[16:17], v[16:17], 4, s[14:15]
	global_atomic_add_f64 v[16:17], v[20:21], off scope:SCOPE_DEV
	s_wait_xcnt 0x0
	global_atomic_add_f64 v[16:17], v[18:19], off offset:8 scope:SCOPE_DEV
	s_wait_xcnt 0x0
	s_and_not1_b32 exec_lo, exec_lo, s20
	s_cbranch_execnz .LBB108_7
	s_branch .LBB108_4
.LBB108_8:
	s_or_b32 exec_lo, exec_lo, s17
	s_mov_b32 s17, 0
.LBB108_9:
	s_delay_alu instid0(SALU_CYCLE_1)
	s_and_not1_b32 vcc_lo, exec_lo, s17
	s_cbranch_vccnz .LBB108_18
; %bb.10:
	s_and_b32 exec_lo, exec_lo, s1
	s_cbranch_execz .LBB108_18
; %bb.11:
	v_subrev_nc_u32_e32 v14, s16, v7
	s_mov_b32 s1, 0
	s_branch .LBB108_13
.LBB108_12:                             ;   in Loop: Header=BB108_13 Depth=1
	s_or_b32 exec_lo, exec_lo, s17
	v_add_nc_u32_e32 v6, s2, v6
	s_delay_alu instid0(VALU_DEP_1) | instskip(SKIP_1) | instid1(SALU_CYCLE_1)
	v_cmp_le_i32_e32 vcc_lo, s3, v6
	s_or_b32 s1, vcc_lo, s1
	s_and_not1_b32 exec_lo, exec_lo, s1
	s_cbranch_execz .LBB108_18
.LBB108_13:                             ; =>This Loop Header: Depth=1
                                        ;     Child Loop BB108_16 Depth 2
	s_wait_kmcnt 0x0
	s_clause 0x1
	global_load_b32 v0, v6, s[6:7] scale_offset
	global_load_b32 v1, v6, s[4:5] scale_offset
	s_mov_b32 s17, exec_lo
	s_wait_loadcnt 0x1
	v_subrev_nc_u32_e32 v15, s16, v0
	s_wait_loadcnt 0x0
	v_add_nc_u32_e32 v0, v1, v14
	s_wait_xcnt 0x0
	s_delay_alu instid0(VALU_DEP_1)
	v_cmpx_lt_i32_e64 v0, v15
	s_cbranch_execz .LBB108_12
; %bb.14:                               ;   in Loop: Header=BB108_13 Depth=1
	v_ashrrev_i32_e32 v7, 31, v6
	s_mov_b32 s18, 0
	s_delay_alu instid0(VALU_DEP_1) | instskip(SKIP_4) | instid1(VALU_DEP_2)
	v_lshl_add_u64 v[8:9], v[6:7], 4, s[12:13]
	global_load_b128 v[16:19], v[8:9], off
	s_wait_loadcnt 0x0
	v_mul_f64_e64 v[8:9], v[18:19], -v[4:5]
	v_mul_f64_e32 v[10:11], v[2:3], v[18:19]
	v_fmac_f64_e32 v[8:9], v[2:3], v[16:17]
	s_delay_alu instid0(VALU_DEP_2)
	v_fmac_f64_e32 v[10:11], v[4:5], v[16:17]
	s_branch .LBB108_16
.LBB108_15:                             ;   in Loop: Header=BB108_16 Depth=2
	s_wait_xcnt 0x0
	s_or_b32 exec_lo, exec_lo, s19
	v_add_nc_u32_e32 v0, 32, v0
	s_delay_alu instid0(VALU_DEP_1) | instskip(SKIP_1) | instid1(SALU_CYCLE_1)
	v_cmp_ge_i32_e32 vcc_lo, v0, v15
	s_or_b32 s18, vcc_lo, s18
	s_and_not1_b32 exec_lo, exec_lo, s18
	s_cbranch_execz .LBB108_12
.LBB108_16:                             ;   Parent Loop BB108_13 Depth=1
                                        ; =>  This Inner Loop Header: Depth=2
	global_load_b32 v1, v0, s[8:9] scale_offset
	s_mov_b32 s19, exec_lo
	s_wait_loadcnt 0x0
	v_subrev_nc_u32_e32 v12, s16, v1
	v_ashrrev_i32_e32 v1, 31, v0
	s_wait_xcnt 0x0
	s_delay_alu instid0(VALU_DEP_2)
	v_cmpx_ne_u32_e64 v12, v6
	s_cbranch_execz .LBB108_15
; %bb.17:                               ;   in Loop: Header=BB108_16 Depth=2
	s_delay_alu instid0(VALU_DEP_2)
	v_lshl_add_u64 v[16:17], v[0:1], 4, s[10:11]
	v_ashrrev_i32_e32 v13, 31, v12
	global_load_b128 v[16:19], v[16:17], off
	v_lshl_add_u64 v[12:13], v[12:13], 4, s[14:15]
	s_wait_loadcnt 0x0
	v_xor_b32_e32 v1, 0x80000000, v19
	s_delay_alu instid0(VALU_DEP_1) | instskip(NEXT) | instid1(VALU_DEP_1)
	v_cndmask_b32_e64 v19, v19, v1, s0
	v_mul_f64_e64 v[20:21], v[18:19], -v[10:11]
	v_mul_f64_e32 v[18:19], v[8:9], v[18:19]
	s_delay_alu instid0(VALU_DEP_2) | instskip(NEXT) | instid1(VALU_DEP_2)
	v_fmac_f64_e32 v[20:21], v[8:9], v[16:17]
	v_fmac_f64_e32 v[18:19], v[10:11], v[16:17]
	s_wait_xcnt 0x0
	global_atomic_add_f64 v[12:13], v[20:21], off scope:SCOPE_DEV
	s_wait_xcnt 0x0
	global_atomic_add_f64 v[12:13], v[18:19], off offset:8 scope:SCOPE_DEV
	s_branch .LBB108_15
.LBB108_18:
	s_endpgm
	.section	.rodata,"a",@progbits
	.p2align	6, 0x0
	.amdhsa_kernel _ZN9rocsparseL21csrmvt_general_kernelILj256ELj32Eii21rocsparse_complex_numIdES2_S2_S2_EEvbbT2_NS_24const_host_device_scalarIT6_EEPKT1_S9_PKS3_PKT3_PKT4_PT5_21rocsparse_index_base_b
		.amdhsa_group_segment_fixed_size 0
		.amdhsa_private_segment_fixed_size 0
		.amdhsa_kernarg_size 336
		.amdhsa_user_sgpr_count 2
		.amdhsa_user_sgpr_dispatch_ptr 0
		.amdhsa_user_sgpr_queue_ptr 0
		.amdhsa_user_sgpr_kernarg_segment_ptr 1
		.amdhsa_user_sgpr_dispatch_id 0
		.amdhsa_user_sgpr_kernarg_preload_length 0
		.amdhsa_user_sgpr_kernarg_preload_offset 0
		.amdhsa_user_sgpr_private_segment_size 0
		.amdhsa_wavefront_size32 1
		.amdhsa_uses_dynamic_stack 0
		.amdhsa_enable_private_segment 0
		.amdhsa_system_sgpr_workgroup_id_x 1
		.amdhsa_system_sgpr_workgroup_id_y 0
		.amdhsa_system_sgpr_workgroup_id_z 0
		.amdhsa_system_sgpr_workgroup_info 0
		.amdhsa_system_vgpr_workitem_id 0
		.amdhsa_next_free_vgpr 22
		.amdhsa_next_free_sgpr 21
		.amdhsa_named_barrier_count 0
		.amdhsa_reserve_vcc 1
		.amdhsa_float_round_mode_32 0
		.amdhsa_float_round_mode_16_64 0
		.amdhsa_float_denorm_mode_32 3
		.amdhsa_float_denorm_mode_16_64 3
		.amdhsa_fp16_overflow 0
		.amdhsa_memory_ordered 1
		.amdhsa_forward_progress 1
		.amdhsa_inst_pref_size 8
		.amdhsa_round_robin_scheduling 0
		.amdhsa_exception_fp_ieee_invalid_op 0
		.amdhsa_exception_fp_denorm_src 0
		.amdhsa_exception_fp_ieee_div_zero 0
		.amdhsa_exception_fp_ieee_overflow 0
		.amdhsa_exception_fp_ieee_underflow 0
		.amdhsa_exception_fp_ieee_inexact 0
		.amdhsa_exception_int_div_zero 0
	.end_amdhsa_kernel
	.section	.text._ZN9rocsparseL21csrmvt_general_kernelILj256ELj32Eii21rocsparse_complex_numIdES2_S2_S2_EEvbbT2_NS_24const_host_device_scalarIT6_EEPKT1_S9_PKS3_PKT3_PKT4_PT5_21rocsparse_index_base_b,"axG",@progbits,_ZN9rocsparseL21csrmvt_general_kernelILj256ELj32Eii21rocsparse_complex_numIdES2_S2_S2_EEvbbT2_NS_24const_host_device_scalarIT6_EEPKT1_S9_PKS3_PKT3_PKT4_PT5_21rocsparse_index_base_b,comdat
.Lfunc_end108:
	.size	_ZN9rocsparseL21csrmvt_general_kernelILj256ELj32Eii21rocsparse_complex_numIdES2_S2_S2_EEvbbT2_NS_24const_host_device_scalarIT6_EEPKT1_S9_PKS3_PKT3_PKT4_PT5_21rocsparse_index_base_b, .Lfunc_end108-_ZN9rocsparseL21csrmvt_general_kernelILj256ELj32Eii21rocsparse_complex_numIdES2_S2_S2_EEvbbT2_NS_24const_host_device_scalarIT6_EEPKT1_S9_PKS3_PKT3_PKT4_PT5_21rocsparse_index_base_b
                                        ; -- End function
	.set _ZN9rocsparseL21csrmvt_general_kernelILj256ELj32Eii21rocsparse_complex_numIdES2_S2_S2_EEvbbT2_NS_24const_host_device_scalarIT6_EEPKT1_S9_PKS3_PKT3_PKT4_PT5_21rocsparse_index_base_b.num_vgpr, 22
	.set _ZN9rocsparseL21csrmvt_general_kernelILj256ELj32Eii21rocsparse_complex_numIdES2_S2_S2_EEvbbT2_NS_24const_host_device_scalarIT6_EEPKT1_S9_PKS3_PKT3_PKT4_PT5_21rocsparse_index_base_b.num_agpr, 0
	.set _ZN9rocsparseL21csrmvt_general_kernelILj256ELj32Eii21rocsparse_complex_numIdES2_S2_S2_EEvbbT2_NS_24const_host_device_scalarIT6_EEPKT1_S9_PKS3_PKT3_PKT4_PT5_21rocsparse_index_base_b.numbered_sgpr, 21
	.set _ZN9rocsparseL21csrmvt_general_kernelILj256ELj32Eii21rocsparse_complex_numIdES2_S2_S2_EEvbbT2_NS_24const_host_device_scalarIT6_EEPKT1_S9_PKS3_PKT3_PKT4_PT5_21rocsparse_index_base_b.num_named_barrier, 0
	.set _ZN9rocsparseL21csrmvt_general_kernelILj256ELj32Eii21rocsparse_complex_numIdES2_S2_S2_EEvbbT2_NS_24const_host_device_scalarIT6_EEPKT1_S9_PKS3_PKT3_PKT4_PT5_21rocsparse_index_base_b.private_seg_size, 0
	.set _ZN9rocsparseL21csrmvt_general_kernelILj256ELj32Eii21rocsparse_complex_numIdES2_S2_S2_EEvbbT2_NS_24const_host_device_scalarIT6_EEPKT1_S9_PKS3_PKT3_PKT4_PT5_21rocsparse_index_base_b.uses_vcc, 1
	.set _ZN9rocsparseL21csrmvt_general_kernelILj256ELj32Eii21rocsparse_complex_numIdES2_S2_S2_EEvbbT2_NS_24const_host_device_scalarIT6_EEPKT1_S9_PKS3_PKT3_PKT4_PT5_21rocsparse_index_base_b.uses_flat_scratch, 0
	.set _ZN9rocsparseL21csrmvt_general_kernelILj256ELj32Eii21rocsparse_complex_numIdES2_S2_S2_EEvbbT2_NS_24const_host_device_scalarIT6_EEPKT1_S9_PKS3_PKT3_PKT4_PT5_21rocsparse_index_base_b.has_dyn_sized_stack, 0
	.set _ZN9rocsparseL21csrmvt_general_kernelILj256ELj32Eii21rocsparse_complex_numIdES2_S2_S2_EEvbbT2_NS_24const_host_device_scalarIT6_EEPKT1_S9_PKS3_PKT3_PKT4_PT5_21rocsparse_index_base_b.has_recursion, 0
	.set _ZN9rocsparseL21csrmvt_general_kernelILj256ELj32Eii21rocsparse_complex_numIdES2_S2_S2_EEvbbT2_NS_24const_host_device_scalarIT6_EEPKT1_S9_PKS3_PKT3_PKT4_PT5_21rocsparse_index_base_b.has_indirect_call, 0
	.section	.AMDGPU.csdata,"",@progbits
; Kernel info:
; codeLenInByte = 996
; TotalNumSgprs: 23
; NumVgprs: 22
; ScratchSize: 0
; MemoryBound: 0
; FloatMode: 240
; IeeeMode: 1
; LDSByteSize: 0 bytes/workgroup (compile time only)
; SGPRBlocks: 0
; VGPRBlocks: 1
; NumSGPRsForWavesPerEU: 23
; NumVGPRsForWavesPerEU: 22
; NamedBarCnt: 0
; Occupancy: 16
; WaveLimiterHint : 1
; COMPUTE_PGM_RSRC2:SCRATCH_EN: 0
; COMPUTE_PGM_RSRC2:USER_SGPR: 2
; COMPUTE_PGM_RSRC2:TRAP_HANDLER: 0
; COMPUTE_PGM_RSRC2:TGID_X_EN: 1
; COMPUTE_PGM_RSRC2:TGID_Y_EN: 0
; COMPUTE_PGM_RSRC2:TGID_Z_EN: 0
; COMPUTE_PGM_RSRC2:TIDIG_COMP_CNT: 0
	.section	.text._ZN9rocsparseL21csrmvt_general_kernelILj256ELj64Eii21rocsparse_complex_numIdES2_S2_S2_EEvbbT2_NS_24const_host_device_scalarIT6_EEPKT1_S9_PKS3_PKT3_PKT4_PT5_21rocsparse_index_base_b,"axG",@progbits,_ZN9rocsparseL21csrmvt_general_kernelILj256ELj64Eii21rocsparse_complex_numIdES2_S2_S2_EEvbbT2_NS_24const_host_device_scalarIT6_EEPKT1_S9_PKS3_PKT3_PKT4_PT5_21rocsparse_index_base_b,comdat
	.globl	_ZN9rocsparseL21csrmvt_general_kernelILj256ELj64Eii21rocsparse_complex_numIdES2_S2_S2_EEvbbT2_NS_24const_host_device_scalarIT6_EEPKT1_S9_PKS3_PKT3_PKT4_PT5_21rocsparse_index_base_b ; -- Begin function _ZN9rocsparseL21csrmvt_general_kernelILj256ELj64Eii21rocsparse_complex_numIdES2_S2_S2_EEvbbT2_NS_24const_host_device_scalarIT6_EEPKT1_S9_PKS3_PKT3_PKT4_PT5_21rocsparse_index_base_b
	.p2align	8
	.type	_ZN9rocsparseL21csrmvt_general_kernelILj256ELj64Eii21rocsparse_complex_numIdES2_S2_S2_EEvbbT2_NS_24const_host_device_scalarIT6_EEPKT1_S9_PKS3_PKT3_PKT4_PT5_21rocsparse_index_base_b,@function
_ZN9rocsparseL21csrmvt_general_kernelILj256ELj64Eii21rocsparse_complex_numIdES2_S2_S2_EEvbbT2_NS_24const_host_device_scalarIT6_EEPKT1_S9_PKS3_PKT3_PKT4_PT5_21rocsparse_index_base_b: ; @_ZN9rocsparseL21csrmvt_general_kernelILj256ELj64Eii21rocsparse_complex_numIdES2_S2_S2_EEvbbT2_NS_24const_host_device_scalarIT6_EEPKT1_S9_PKS3_PKT3_PKT4_PT5_21rocsparse_index_base_b
; %bb.0:
	s_clause 0x1
	s_load_b64 s[16:17], s[0:1], 0x48
	s_load_b64 s[2:3], s[0:1], 0x8
	v_mov_b32_e32 v1, 0
	s_add_nc_u64 s[4:5], s[0:1], 8
	s_wait_kmcnt 0x0
	s_bitcmp1_b32 s17, 0
	s_cselect_b32 s3, s5, s3
	s_cselect_b32 s2, s4, s2
	flat_load_b128 v[2:5], v1, s[2:3]
	s_wait_loadcnt_dscnt 0x0
	v_cmp_neq_f64_e32 vcc_lo, 0, v[2:3]
	v_cmp_neq_f64_e64 s2, 0, v[4:5]
	s_or_b32 s2, vcc_lo, s2
	s_delay_alu instid0(SALU_CYCLE_1)
	s_and_saveexec_b32 s3, s2
	s_cbranch_execz .LBB109_18
; %bb.1:
	s_clause 0x3
	s_load_b32 s4, s[0:1], 0x0
	s_load_b64 s[2:3], s[0:1], 0x0
	s_load_b32 s17, s[0:1], 0x50
	s_load_b128 s[12:15], s[0:1], 0x38
	s_getreg_b32 s19, hwreg(HW_REG_IB_STS2, 6, 4)
	v_and_b32_e32 v7, 63, v0
	s_wait_kmcnt 0x0
	s_and_b32 s18, s4, 1
	s_bitcmp1_b32 s2, 8
	s_load_b256 s[4:11], s[0:1], 0x18
	s_wait_xcnt 0x0
	s_cselect_b32 s0, -1, 0
	s_bfe_u32 s1, ttmp6, 0x4000c
	s_lshl_b32 s2, s17, 2
	s_add_co_i32 s1, s1, 1
	s_and_b32 s17, ttmp6, 15
	s_mul_i32 s1, ttmp9, s1
	s_delay_alu instid0(SALU_CYCLE_1)
	s_add_co_i32 s17, s17, s1
	s_cmp_eq_u32 s19, 0
	s_cselect_b32 s1, ttmp9, s17
	s_cmp_eq_u32 s18, 0
	v_lshl_or_b32 v1, s1, 8, v0
	s_mov_b32 s17, -1
	s_delay_alu instid0(VALU_DEP_1) | instskip(NEXT) | instid1(VALU_DEP_1)
	v_lshrrev_b32_e32 v6, 6, v1
	v_cmp_gt_i32_e64 s1, s3, v6
	s_cbranch_scc0 .LBB109_9
; %bb.2:
	s_and_saveexec_b32 s17, s1
	s_cbranch_execz .LBB109_8
; %bb.3:
	v_subrev_nc_u32_e32 v12, s16, v7
	v_mov_b32_e32 v0, v6
	s_mov_b32 s18, 0
	s_branch .LBB109_5
.LBB109_4:                              ;   in Loop: Header=BB109_5 Depth=1
	s_or_b32 exec_lo, exec_lo, s19
	v_add_nc_u32_e32 v0, s2, v0
	s_delay_alu instid0(VALU_DEP_1) | instskip(SKIP_1) | instid1(SALU_CYCLE_1)
	v_cmp_le_i32_e32 vcc_lo, s3, v0
	s_or_b32 s18, vcc_lo, s18
	s_and_not1_b32 exec_lo, exec_lo, s18
	s_cbranch_execz .LBB109_8
.LBB109_5:                              ; =>This Loop Header: Depth=1
                                        ;     Child Loop BB109_7 Depth 2
	s_wait_kmcnt 0x0
	s_clause 0x1
	global_load_b32 v1, v0, s[6:7] scale_offset
	global_load_b32 v8, v0, s[4:5] scale_offset
	s_mov_b32 s19, exec_lo
	s_wait_loadcnt 0x1
	v_subrev_nc_u32_e32 v13, s16, v1
	s_wait_loadcnt 0x0
	v_add_nc_u32_e32 v14, v8, v12
	s_wait_xcnt 0x0
	s_delay_alu instid0(VALU_DEP_1)
	v_cmpx_lt_i32_e64 v14, v13
	s_cbranch_execz .LBB109_4
; %bb.6:                                ;   in Loop: Header=BB109_5 Depth=1
	v_ashrrev_i32_e32 v1, 31, v0
	s_mov_b32 s20, 0
	s_delay_alu instid0(VALU_DEP_1)
	v_lshl_add_u64 v[8:9], v[0:1], 4, s[12:13]
	global_load_b128 v[16:19], v[8:9], off
	s_wait_loadcnt 0x0
	s_wait_xcnt 0x0
	v_mul_f64_e64 v[8:9], v[18:19], -v[4:5]
	v_mul_f64_e32 v[10:11], v[2:3], v[18:19]
	s_delay_alu instid0(VALU_DEP_2) | instskip(NEXT) | instid1(VALU_DEP_2)
	v_fmac_f64_e32 v[8:9], v[2:3], v[16:17]
	v_fmac_f64_e32 v[10:11], v[4:5], v[16:17]
.LBB109_7:                              ;   Parent Loop BB109_5 Depth=1
                                        ; =>  This Inner Loop Header: Depth=2
	s_clause 0x1
	global_load_b128 v[16:19], v14, s[10:11] scale_offset
	global_load_b32 v1, v14, s[8:9] scale_offset
	s_wait_xcnt 0x0
	v_add_nc_u32_e32 v14, 64, v14
	s_delay_alu instid0(VALU_DEP_1) | instskip(SKIP_3) | instid1(VALU_DEP_1)
	v_cmp_ge_i32_e32 vcc_lo, v14, v13
	s_or_b32 s20, vcc_lo, s20
	s_wait_loadcnt 0x1
	v_xor_b32_e32 v15, 0x80000000, v19
	v_cndmask_b32_e64 v19, v19, v15, s0
	s_delay_alu instid0(VALU_DEP_1) | instskip(SKIP_1) | instid1(VALU_DEP_2)
	v_mul_f64_e64 v[20:21], v[18:19], -v[10:11]
	v_mul_f64_e32 v[18:19], v[8:9], v[18:19]
	v_fmac_f64_e32 v[20:21], v[8:9], v[16:17]
	s_delay_alu instid0(VALU_DEP_2) | instskip(SKIP_2) | instid1(VALU_DEP_1)
	v_fmac_f64_e32 v[18:19], v[10:11], v[16:17]
	s_wait_loadcnt 0x0
	v_subrev_nc_u32_e32 v16, s16, v1
	v_ashrrev_i32_e32 v17, 31, v16
	s_delay_alu instid0(VALU_DEP_1)
	v_lshl_add_u64 v[16:17], v[16:17], 4, s[14:15]
	global_atomic_add_f64 v[16:17], v[20:21], off scope:SCOPE_DEV
	s_wait_xcnt 0x0
	global_atomic_add_f64 v[16:17], v[18:19], off offset:8 scope:SCOPE_DEV
	s_wait_xcnt 0x0
	s_and_not1_b32 exec_lo, exec_lo, s20
	s_cbranch_execnz .LBB109_7
	s_branch .LBB109_4
.LBB109_8:
	s_or_b32 exec_lo, exec_lo, s17
	s_mov_b32 s17, 0
.LBB109_9:
	s_delay_alu instid0(SALU_CYCLE_1)
	s_and_not1_b32 vcc_lo, exec_lo, s17
	s_cbranch_vccnz .LBB109_18
; %bb.10:
	s_and_b32 exec_lo, exec_lo, s1
	s_cbranch_execz .LBB109_18
; %bb.11:
	v_subrev_nc_u32_e32 v14, s16, v7
	s_mov_b32 s1, 0
	s_branch .LBB109_13
.LBB109_12:                             ;   in Loop: Header=BB109_13 Depth=1
	s_or_b32 exec_lo, exec_lo, s17
	v_add_nc_u32_e32 v6, s2, v6
	s_delay_alu instid0(VALU_DEP_1) | instskip(SKIP_1) | instid1(SALU_CYCLE_1)
	v_cmp_le_i32_e32 vcc_lo, s3, v6
	s_or_b32 s1, vcc_lo, s1
	s_and_not1_b32 exec_lo, exec_lo, s1
	s_cbranch_execz .LBB109_18
.LBB109_13:                             ; =>This Loop Header: Depth=1
                                        ;     Child Loop BB109_16 Depth 2
	s_wait_kmcnt 0x0
	s_clause 0x1
	global_load_b32 v0, v6, s[6:7] scale_offset
	global_load_b32 v1, v6, s[4:5] scale_offset
	s_mov_b32 s17, exec_lo
	s_wait_loadcnt 0x1
	v_subrev_nc_u32_e32 v15, s16, v0
	s_wait_loadcnt 0x0
	v_add_nc_u32_e32 v0, v1, v14
	s_wait_xcnt 0x0
	s_delay_alu instid0(VALU_DEP_1)
	v_cmpx_lt_i32_e64 v0, v15
	s_cbranch_execz .LBB109_12
; %bb.14:                               ;   in Loop: Header=BB109_13 Depth=1
	v_ashrrev_i32_e32 v7, 31, v6
	s_mov_b32 s18, 0
	s_delay_alu instid0(VALU_DEP_1) | instskip(SKIP_4) | instid1(VALU_DEP_2)
	v_lshl_add_u64 v[8:9], v[6:7], 4, s[12:13]
	global_load_b128 v[16:19], v[8:9], off
	s_wait_loadcnt 0x0
	v_mul_f64_e64 v[8:9], v[18:19], -v[4:5]
	v_mul_f64_e32 v[10:11], v[2:3], v[18:19]
	v_fmac_f64_e32 v[8:9], v[2:3], v[16:17]
	s_delay_alu instid0(VALU_DEP_2)
	v_fmac_f64_e32 v[10:11], v[4:5], v[16:17]
	s_branch .LBB109_16
.LBB109_15:                             ;   in Loop: Header=BB109_16 Depth=2
	s_wait_xcnt 0x0
	s_or_b32 exec_lo, exec_lo, s19
	v_add_nc_u32_e32 v0, 64, v0
	s_delay_alu instid0(VALU_DEP_1) | instskip(SKIP_1) | instid1(SALU_CYCLE_1)
	v_cmp_ge_i32_e32 vcc_lo, v0, v15
	s_or_b32 s18, vcc_lo, s18
	s_and_not1_b32 exec_lo, exec_lo, s18
	s_cbranch_execz .LBB109_12
.LBB109_16:                             ;   Parent Loop BB109_13 Depth=1
                                        ; =>  This Inner Loop Header: Depth=2
	global_load_b32 v1, v0, s[8:9] scale_offset
	s_mov_b32 s19, exec_lo
	s_wait_loadcnt 0x0
	v_subrev_nc_u32_e32 v12, s16, v1
	v_ashrrev_i32_e32 v1, 31, v0
	s_wait_xcnt 0x0
	s_delay_alu instid0(VALU_DEP_2)
	v_cmpx_ne_u32_e64 v12, v6
	s_cbranch_execz .LBB109_15
; %bb.17:                               ;   in Loop: Header=BB109_16 Depth=2
	s_delay_alu instid0(VALU_DEP_2)
	v_lshl_add_u64 v[16:17], v[0:1], 4, s[10:11]
	v_ashrrev_i32_e32 v13, 31, v12
	global_load_b128 v[16:19], v[16:17], off
	v_lshl_add_u64 v[12:13], v[12:13], 4, s[14:15]
	s_wait_loadcnt 0x0
	v_xor_b32_e32 v1, 0x80000000, v19
	s_delay_alu instid0(VALU_DEP_1) | instskip(NEXT) | instid1(VALU_DEP_1)
	v_cndmask_b32_e64 v19, v19, v1, s0
	v_mul_f64_e64 v[20:21], v[18:19], -v[10:11]
	v_mul_f64_e32 v[18:19], v[8:9], v[18:19]
	s_delay_alu instid0(VALU_DEP_2) | instskip(NEXT) | instid1(VALU_DEP_2)
	v_fmac_f64_e32 v[20:21], v[8:9], v[16:17]
	v_fmac_f64_e32 v[18:19], v[10:11], v[16:17]
	s_wait_xcnt 0x0
	global_atomic_add_f64 v[12:13], v[20:21], off scope:SCOPE_DEV
	s_wait_xcnt 0x0
	global_atomic_add_f64 v[12:13], v[18:19], off offset:8 scope:SCOPE_DEV
	s_branch .LBB109_15
.LBB109_18:
	s_endpgm
	.section	.rodata,"a",@progbits
	.p2align	6, 0x0
	.amdhsa_kernel _ZN9rocsparseL21csrmvt_general_kernelILj256ELj64Eii21rocsparse_complex_numIdES2_S2_S2_EEvbbT2_NS_24const_host_device_scalarIT6_EEPKT1_S9_PKS3_PKT3_PKT4_PT5_21rocsparse_index_base_b
		.amdhsa_group_segment_fixed_size 0
		.amdhsa_private_segment_fixed_size 0
		.amdhsa_kernarg_size 336
		.amdhsa_user_sgpr_count 2
		.amdhsa_user_sgpr_dispatch_ptr 0
		.amdhsa_user_sgpr_queue_ptr 0
		.amdhsa_user_sgpr_kernarg_segment_ptr 1
		.amdhsa_user_sgpr_dispatch_id 0
		.amdhsa_user_sgpr_kernarg_preload_length 0
		.amdhsa_user_sgpr_kernarg_preload_offset 0
		.amdhsa_user_sgpr_private_segment_size 0
		.amdhsa_wavefront_size32 1
		.amdhsa_uses_dynamic_stack 0
		.amdhsa_enable_private_segment 0
		.amdhsa_system_sgpr_workgroup_id_x 1
		.amdhsa_system_sgpr_workgroup_id_y 0
		.amdhsa_system_sgpr_workgroup_id_z 0
		.amdhsa_system_sgpr_workgroup_info 0
		.amdhsa_system_vgpr_workitem_id 0
		.amdhsa_next_free_vgpr 22
		.amdhsa_next_free_sgpr 21
		.amdhsa_named_barrier_count 0
		.amdhsa_reserve_vcc 1
		.amdhsa_float_round_mode_32 0
		.amdhsa_float_round_mode_16_64 0
		.amdhsa_float_denorm_mode_32 3
		.amdhsa_float_denorm_mode_16_64 3
		.amdhsa_fp16_overflow 0
		.amdhsa_memory_ordered 1
		.amdhsa_forward_progress 1
		.amdhsa_inst_pref_size 8
		.amdhsa_round_robin_scheduling 0
		.amdhsa_exception_fp_ieee_invalid_op 0
		.amdhsa_exception_fp_denorm_src 0
		.amdhsa_exception_fp_ieee_div_zero 0
		.amdhsa_exception_fp_ieee_overflow 0
		.amdhsa_exception_fp_ieee_underflow 0
		.amdhsa_exception_fp_ieee_inexact 0
		.amdhsa_exception_int_div_zero 0
	.end_amdhsa_kernel
	.section	.text._ZN9rocsparseL21csrmvt_general_kernelILj256ELj64Eii21rocsparse_complex_numIdES2_S2_S2_EEvbbT2_NS_24const_host_device_scalarIT6_EEPKT1_S9_PKS3_PKT3_PKT4_PT5_21rocsparse_index_base_b,"axG",@progbits,_ZN9rocsparseL21csrmvt_general_kernelILj256ELj64Eii21rocsparse_complex_numIdES2_S2_S2_EEvbbT2_NS_24const_host_device_scalarIT6_EEPKT1_S9_PKS3_PKT3_PKT4_PT5_21rocsparse_index_base_b,comdat
.Lfunc_end109:
	.size	_ZN9rocsparseL21csrmvt_general_kernelILj256ELj64Eii21rocsparse_complex_numIdES2_S2_S2_EEvbbT2_NS_24const_host_device_scalarIT6_EEPKT1_S9_PKS3_PKT3_PKT4_PT5_21rocsparse_index_base_b, .Lfunc_end109-_ZN9rocsparseL21csrmvt_general_kernelILj256ELj64Eii21rocsparse_complex_numIdES2_S2_S2_EEvbbT2_NS_24const_host_device_scalarIT6_EEPKT1_S9_PKS3_PKT3_PKT4_PT5_21rocsparse_index_base_b
                                        ; -- End function
	.set _ZN9rocsparseL21csrmvt_general_kernelILj256ELj64Eii21rocsparse_complex_numIdES2_S2_S2_EEvbbT2_NS_24const_host_device_scalarIT6_EEPKT1_S9_PKS3_PKT3_PKT4_PT5_21rocsparse_index_base_b.num_vgpr, 22
	.set _ZN9rocsparseL21csrmvt_general_kernelILj256ELj64Eii21rocsparse_complex_numIdES2_S2_S2_EEvbbT2_NS_24const_host_device_scalarIT6_EEPKT1_S9_PKS3_PKT3_PKT4_PT5_21rocsparse_index_base_b.num_agpr, 0
	.set _ZN9rocsparseL21csrmvt_general_kernelILj256ELj64Eii21rocsparse_complex_numIdES2_S2_S2_EEvbbT2_NS_24const_host_device_scalarIT6_EEPKT1_S9_PKS3_PKT3_PKT4_PT5_21rocsparse_index_base_b.numbered_sgpr, 21
	.set _ZN9rocsparseL21csrmvt_general_kernelILj256ELj64Eii21rocsparse_complex_numIdES2_S2_S2_EEvbbT2_NS_24const_host_device_scalarIT6_EEPKT1_S9_PKS3_PKT3_PKT4_PT5_21rocsparse_index_base_b.num_named_barrier, 0
	.set _ZN9rocsparseL21csrmvt_general_kernelILj256ELj64Eii21rocsparse_complex_numIdES2_S2_S2_EEvbbT2_NS_24const_host_device_scalarIT6_EEPKT1_S9_PKS3_PKT3_PKT4_PT5_21rocsparse_index_base_b.private_seg_size, 0
	.set _ZN9rocsparseL21csrmvt_general_kernelILj256ELj64Eii21rocsparse_complex_numIdES2_S2_S2_EEvbbT2_NS_24const_host_device_scalarIT6_EEPKT1_S9_PKS3_PKT3_PKT4_PT5_21rocsparse_index_base_b.uses_vcc, 1
	.set _ZN9rocsparseL21csrmvt_general_kernelILj256ELj64Eii21rocsparse_complex_numIdES2_S2_S2_EEvbbT2_NS_24const_host_device_scalarIT6_EEPKT1_S9_PKS3_PKT3_PKT4_PT5_21rocsparse_index_base_b.uses_flat_scratch, 0
	.set _ZN9rocsparseL21csrmvt_general_kernelILj256ELj64Eii21rocsparse_complex_numIdES2_S2_S2_EEvbbT2_NS_24const_host_device_scalarIT6_EEPKT1_S9_PKS3_PKT3_PKT4_PT5_21rocsparse_index_base_b.has_dyn_sized_stack, 0
	.set _ZN9rocsparseL21csrmvt_general_kernelILj256ELj64Eii21rocsparse_complex_numIdES2_S2_S2_EEvbbT2_NS_24const_host_device_scalarIT6_EEPKT1_S9_PKS3_PKT3_PKT4_PT5_21rocsparse_index_base_b.has_recursion, 0
	.set _ZN9rocsparseL21csrmvt_general_kernelILj256ELj64Eii21rocsparse_complex_numIdES2_S2_S2_EEvbbT2_NS_24const_host_device_scalarIT6_EEPKT1_S9_PKS3_PKT3_PKT4_PT5_21rocsparse_index_base_b.has_indirect_call, 0
	.section	.AMDGPU.csdata,"",@progbits
; Kernel info:
; codeLenInByte = 996
; TotalNumSgprs: 23
; NumVgprs: 22
; ScratchSize: 0
; MemoryBound: 0
; FloatMode: 240
; IeeeMode: 1
; LDSByteSize: 0 bytes/workgroup (compile time only)
; SGPRBlocks: 0
; VGPRBlocks: 1
; NumSGPRsForWavesPerEU: 23
; NumVGPRsForWavesPerEU: 22
; NamedBarCnt: 0
; Occupancy: 16
; WaveLimiterHint : 1
; COMPUTE_PGM_RSRC2:SCRATCH_EN: 0
; COMPUTE_PGM_RSRC2:USER_SGPR: 2
; COMPUTE_PGM_RSRC2:TRAP_HANDLER: 0
; COMPUTE_PGM_RSRC2:TGID_X_EN: 1
; COMPUTE_PGM_RSRC2:TGID_Y_EN: 0
; COMPUTE_PGM_RSRC2:TGID_Z_EN: 0
; COMPUTE_PGM_RSRC2:TIDIG_COMP_CNT: 0
	.section	.text._ZN9rocsparseL21csrmvn_general_kernelILj256ELj2Eli21rocsparse_complex_numIdES2_S2_S2_EEvbT2_NS_24const_host_device_scalarIT6_EEPKT1_S9_PKS3_PKT3_PKT4_S6_PT5_21rocsparse_index_base_b,"axG",@progbits,_ZN9rocsparseL21csrmvn_general_kernelILj256ELj2Eli21rocsparse_complex_numIdES2_S2_S2_EEvbT2_NS_24const_host_device_scalarIT6_EEPKT1_S9_PKS3_PKT3_PKT4_S6_PT5_21rocsparse_index_base_b,comdat
	.globl	_ZN9rocsparseL21csrmvn_general_kernelILj256ELj2Eli21rocsparse_complex_numIdES2_S2_S2_EEvbT2_NS_24const_host_device_scalarIT6_EEPKT1_S9_PKS3_PKT3_PKT4_S6_PT5_21rocsparse_index_base_b ; -- Begin function _ZN9rocsparseL21csrmvn_general_kernelILj256ELj2Eli21rocsparse_complex_numIdES2_S2_S2_EEvbT2_NS_24const_host_device_scalarIT6_EEPKT1_S9_PKS3_PKT3_PKT4_S6_PT5_21rocsparse_index_base_b
	.p2align	8
	.type	_ZN9rocsparseL21csrmvn_general_kernelILj256ELj2Eli21rocsparse_complex_numIdES2_S2_S2_EEvbT2_NS_24const_host_device_scalarIT6_EEPKT1_S9_PKS3_PKT3_PKT4_S6_PT5_21rocsparse_index_base_b,@function
_ZN9rocsparseL21csrmvn_general_kernelILj256ELj2Eli21rocsparse_complex_numIdES2_S2_S2_EEvbT2_NS_24const_host_device_scalarIT6_EEPKT1_S9_PKS3_PKT3_PKT4_S6_PT5_21rocsparse_index_base_b: ; @_ZN9rocsparseL21csrmvn_general_kernelILj256ELj2Eli21rocsparse_complex_numIdES2_S2_S2_EEvbT2_NS_24const_host_device_scalarIT6_EEPKT1_S9_PKS3_PKT3_PKT4_S6_PT5_21rocsparse_index_base_b
; %bb.0:
	s_clause 0x1
	s_load_b64 s[12:13], s[0:1], 0x58
	s_load_b64 s[2:3], s[0:1], 0x8
	v_mov_b32_e32 v1, 0
	s_add_nc_u64 s[4:5], s[0:1], 8
	s_load_b64 s[6:7], s[0:1], 0x40
	s_wait_kmcnt 0x0
	s_bitcmp1_b32 s13, 0
	s_cselect_b32 s3, s5, s3
	s_cselect_b32 s2, s4, s2
	flat_load_b128 v[2:5], v1, s[2:3]
	s_wait_xcnt 0x0
	s_add_nc_u64 s[2:3], s[0:1], 64
	s_delay_alu instid0(SALU_CYCLE_1)
	s_cselect_b32 s3, s3, s7
	s_cselect_b32 s2, s2, s6
	flat_load_b128 v[6:9], v1, s[2:3]
	s_wait_loadcnt_dscnt 0x101
	v_cmp_eq_f64_e32 vcc_lo, 0, v[2:3]
	s_wait_xcnt 0x0
	v_cmp_eq_f64_e64 s2, 0, v[4:5]
	s_and_b32 s4, vcc_lo, s2
	s_mov_b32 s2, -1
	s_and_saveexec_b32 s3, s4
	s_cbranch_execz .LBB110_2
; %bb.1:
	s_wait_loadcnt_dscnt 0x0
	v_cmp_neq_f64_e32 vcc_lo, 1.0, v[6:7]
	v_cmp_neq_f64_e64 s2, 0, v[8:9]
	s_or_b32 s2, vcc_lo, s2
	s_delay_alu instid0(SALU_CYCLE_1)
	s_or_not1_b32 s2, s2, exec_lo
.LBB110_2:
	s_or_b32 exec_lo, exec_lo, s3
	s_and_saveexec_b32 s3, s2
	s_cbranch_execz .LBB110_14
; %bb.3:
	s_bfe_u32 s2, ttmp6, 0x4000c
	s_load_b64 s[14:15], s[0:1], 0x0
	s_add_co_i32 s2, s2, 1
	s_and_b32 s3, ttmp6, 15
	s_mul_i32 s2, ttmp9, s2
	s_getreg_b32 s4, hwreg(HW_REG_IB_STS2, 6, 4)
	s_add_co_i32 s3, s3, s2
	s_cmp_eq_u32 s4, 0
	s_mov_b32 s13, 0
	s_cselect_b32 s2, ttmp9, s3
	s_delay_alu instid0(SALU_CYCLE_1) | instskip(NEXT) | instid1(VALU_DEP_1)
	v_lshl_or_b32 v1, s2, 8, v0
	v_lshrrev_b32_e32 v14, 1, v1
	s_wait_kmcnt 0x0
	s_delay_alu instid0(VALU_DEP_1)
	v_cmp_gt_i32_e32 vcc_lo, s15, v14
	s_and_b32 exec_lo, exec_lo, vcc_lo
	s_cbranch_execz .LBB110_14
; %bb.4:
	s_wait_loadcnt_dscnt 0x0
	v_cmp_neq_f64_e64 s2, 0, v[6:7]
	v_cmp_neq_f64_e64 s3, 0, v[8:9]
	s_clause 0x1
	s_load_b32 s20, s[0:1], 0x60
	s_load_b256 s[4:11], s[0:1], 0x18
	v_mbcnt_lo_u32_b32 v12, -1, 0
	s_clause 0x1
	s_load_b64 s[18:19], s[0:1], 0x38
	s_load_b64 s[16:17], s[0:1], 0x50
	v_dual_mov_b32 v11, 0 :: v_dual_bitop2_b32 v10, 1, v0 bitop3:0x40
	s_mov_b32 s22, s12
	v_xor_b32_e32 v13, 1, v12
	s_delay_alu instid0(VALU_DEP_2) | instskip(NEXT) | instid1(VALU_DEP_2)
	v_sub_nc_u64_e64 v[0:1], v[10:11], s[12:13]
	v_cmp_gt_i32_e32 vcc_lo, 32, v13
	v_cndmask_b32_e32 v11, v12, v13, vcc_lo
	v_cmp_eq_u32_e32 vcc_lo, 1, v10
	s_wait_kmcnt 0x0
	s_lshl_b32 s20, s20, 7
	s_bitcmp1_b32 s14, 0
	v_lshlrev_b32_e32 v24, 2, v11
	s_cselect_b32 s0, -1, 0
	s_ashr_i32 s23, s12, 31
	s_add_nc_u64 s[10:11], s[10:11], 8
	s_lshl_b64 s[22:23], s[22:23], 4
	s_delay_alu instid0(SALU_CYCLE_1)
	s_sub_nc_u64 s[18:19], s[18:19], s[22:23]
	s_or_b32 s2, s2, s3
	s_mov_b32 s3, s13
	s_branch .LBB110_7
.LBB110_5:                              ;   in Loop: Header=BB110_7 Depth=1
	s_wait_xcnt 0x0
	s_or_b32 exec_lo, exec_lo, s14
	global_store_b128 v[16:17], v[10:13], off
.LBB110_6:                              ;   in Loop: Header=BB110_7 Depth=1
	s_wait_xcnt 0x0
	s_or_b32 exec_lo, exec_lo, s1
	v_add_nc_u32_e32 v14, s20, v14
	s_delay_alu instid0(VALU_DEP_1) | instskip(SKIP_1) | instid1(SALU_CYCLE_1)
	v_cmp_le_i32_e64 s1, s15, v14
	s_or_b32 s3, s1, s3
	s_and_not1_b32 exec_lo, exec_lo, s3
	s_cbranch_execz .LBB110_14
.LBB110_7:                              ; =>This Loop Header: Depth=1
                                        ;     Child Loop BB110_9 Depth 2
	s_clause 0x1
	global_load_b64 v[10:11], v14, s[6:7] scale_offset
	global_load_b64 v[12:13], v14, s[4:5] scale_offset
	s_mov_b32 s14, exec_lo
	s_wait_loadcnt_dscnt 0x100
	v_sub_nc_u64_e64 v[16:17], v[10:11], s[12:13]
	s_wait_loadcnt 0x0
	v_add_nc_u64_e32 v[18:19], v[12:13], v[0:1]
	v_mov_b64_e32 v[12:13], 0
	v_mov_b64_e32 v[10:11], 0
	s_wait_xcnt 0x0
	s_delay_alu instid0(VALU_DEP_3)
	v_cmpx_lt_i64_e64 v[18:19], v[16:17]
	s_cbranch_execz .LBB110_11
; %bb.8:                                ;   in Loop: Header=BB110_7 Depth=1
	v_mov_b64_e32 v[12:13], 0
	v_mov_b64_e32 v[10:11], 0
	v_lshl_add_u64 v[20:21], v[18:19], 4, s[10:11]
	v_lshl_add_u64 v[22:23], v[18:19], 2, s[8:9]
	s_mov_b32 s21, 0
.LBB110_9:                              ;   Parent Loop BB110_7 Depth=1
                                        ; =>  This Inner Loop Header: Depth=2
	global_load_b32 v15, v[22:23], off
	global_load_b128 v[26:29], v[20:21], off offset:-8
	v_add_nc_u64_e32 v[18:19], 2, v[18:19]
	s_wait_xcnt 0x0
	v_add_nc_u64_e32 v[20:21], 32, v[20:21]
	v_add_nc_u64_e32 v[22:23], 8, v[22:23]
	s_delay_alu instid0(VALU_DEP_3)
	v_cmp_ge_i64_e64 s1, v[18:19], v[16:17]
	s_or_b32 s21, s1, s21
	s_wait_loadcnt 0x1
	global_load_b128 v[30:33], v15, s[18:19] scale_offset
	s_wait_loadcnt 0x1
	s_wait_xcnt 0x0
	v_xor_b32_e32 v15, 0x80000000, v29
	s_delay_alu instid0(VALU_DEP_1) | instskip(NEXT) | instid1(VALU_DEP_1)
	v_cndmask_b32_e64 v29, v29, v15, s0
	v_mul_f64_e64 v[34:35], v[28:29], -v[4:5]
	v_mul_f64_e32 v[28:29], v[2:3], v[28:29]
	s_delay_alu instid0(VALU_DEP_2) | instskip(NEXT) | instid1(VALU_DEP_2)
	v_fmac_f64_e32 v[34:35], v[2:3], v[26:27]
	v_fmac_f64_e32 v[28:29], v[4:5], v[26:27]
	s_wait_loadcnt 0x0
	s_delay_alu instid0(VALU_DEP_2) | instskip(NEXT) | instid1(VALU_DEP_2)
	v_fmac_f64_e32 v[10:11], v[34:35], v[30:31]
	v_fmac_f64_e32 v[12:13], v[28:29], v[30:31]
	s_delay_alu instid0(VALU_DEP_2) | instskip(NEXT) | instid1(VALU_DEP_2)
	v_fma_f64 v[10:11], -v[28:29], v[32:33], v[10:11]
	v_fmac_f64_e32 v[12:13], v[34:35], v[32:33]
	s_and_not1_b32 exec_lo, exec_lo, s21
	s_cbranch_execnz .LBB110_9
; %bb.10:                               ;   in Loop: Header=BB110_7 Depth=1
	s_or_b32 exec_lo, exec_lo, s21
.LBB110_11:                             ;   in Loop: Header=BB110_7 Depth=1
	s_delay_alu instid0(SALU_CYCLE_1)
	s_or_b32 exec_lo, exec_lo, s14
	ds_bpermute_b32 v18, v24, v10
	ds_bpermute_b32 v19, v24, v11
	ds_bpermute_b32 v16, v24, v12
	ds_bpermute_b32 v17, v24, v13
	v_ashrrev_i32_e32 v15, 31, v14
	s_and_saveexec_b32 s1, vcc_lo
	s_cbranch_execz .LBB110_6
; %bb.12:                               ;   in Loop: Header=BB110_7 Depth=1
	s_wait_dscnt 0x2
	v_add_f64_e32 v[10:11], v[10:11], v[18:19]
	s_wait_dscnt 0x0
	v_add_f64_e32 v[12:13], v[12:13], v[16:17]
	v_lshl_add_u64 v[16:17], v[14:15], 4, s[16:17]
	s_and_saveexec_b32 s14, s2
	s_cbranch_execz .LBB110_5
; %bb.13:                               ;   in Loop: Header=BB110_7 Depth=1
	global_load_b128 v[18:21], v[16:17], off
	s_wait_loadcnt 0x0
	v_fmac_f64_e32 v[10:11], v[6:7], v[18:19]
	v_fmac_f64_e32 v[12:13], v[8:9], v[18:19]
	s_delay_alu instid0(VALU_DEP_2) | instskip(NEXT) | instid1(VALU_DEP_2)
	v_fma_f64 v[10:11], -v[8:9], v[20:21], v[10:11]
	v_fmac_f64_e32 v[12:13], v[6:7], v[20:21]
	s_branch .LBB110_5
.LBB110_14:
	s_endpgm
	.section	.rodata,"a",@progbits
	.p2align	6, 0x0
	.amdhsa_kernel _ZN9rocsparseL21csrmvn_general_kernelILj256ELj2Eli21rocsparse_complex_numIdES2_S2_S2_EEvbT2_NS_24const_host_device_scalarIT6_EEPKT1_S9_PKS3_PKT3_PKT4_S6_PT5_21rocsparse_index_base_b
		.amdhsa_group_segment_fixed_size 0
		.amdhsa_private_segment_fixed_size 0
		.amdhsa_kernarg_size 352
		.amdhsa_user_sgpr_count 2
		.amdhsa_user_sgpr_dispatch_ptr 0
		.amdhsa_user_sgpr_queue_ptr 0
		.amdhsa_user_sgpr_kernarg_segment_ptr 1
		.amdhsa_user_sgpr_dispatch_id 0
		.amdhsa_user_sgpr_kernarg_preload_length 0
		.amdhsa_user_sgpr_kernarg_preload_offset 0
		.amdhsa_user_sgpr_private_segment_size 0
		.amdhsa_wavefront_size32 1
		.amdhsa_uses_dynamic_stack 0
		.amdhsa_enable_private_segment 0
		.amdhsa_system_sgpr_workgroup_id_x 1
		.amdhsa_system_sgpr_workgroup_id_y 0
		.amdhsa_system_sgpr_workgroup_id_z 0
		.amdhsa_system_sgpr_workgroup_info 0
		.amdhsa_system_vgpr_workitem_id 0
		.amdhsa_next_free_vgpr 36
		.amdhsa_next_free_sgpr 24
		.amdhsa_named_barrier_count 0
		.amdhsa_reserve_vcc 1
		.amdhsa_float_round_mode_32 0
		.amdhsa_float_round_mode_16_64 0
		.amdhsa_float_denorm_mode_32 3
		.amdhsa_float_denorm_mode_16_64 3
		.amdhsa_fp16_overflow 0
		.amdhsa_memory_ordered 1
		.amdhsa_forward_progress 1
		.amdhsa_inst_pref_size 7
		.amdhsa_round_robin_scheduling 0
		.amdhsa_exception_fp_ieee_invalid_op 0
		.amdhsa_exception_fp_denorm_src 0
		.amdhsa_exception_fp_ieee_div_zero 0
		.amdhsa_exception_fp_ieee_overflow 0
		.amdhsa_exception_fp_ieee_underflow 0
		.amdhsa_exception_fp_ieee_inexact 0
		.amdhsa_exception_int_div_zero 0
	.end_amdhsa_kernel
	.section	.text._ZN9rocsparseL21csrmvn_general_kernelILj256ELj2Eli21rocsparse_complex_numIdES2_S2_S2_EEvbT2_NS_24const_host_device_scalarIT6_EEPKT1_S9_PKS3_PKT3_PKT4_S6_PT5_21rocsparse_index_base_b,"axG",@progbits,_ZN9rocsparseL21csrmvn_general_kernelILj256ELj2Eli21rocsparse_complex_numIdES2_S2_S2_EEvbT2_NS_24const_host_device_scalarIT6_EEPKT1_S9_PKS3_PKT3_PKT4_S6_PT5_21rocsparse_index_base_b,comdat
.Lfunc_end110:
	.size	_ZN9rocsparseL21csrmvn_general_kernelILj256ELj2Eli21rocsparse_complex_numIdES2_S2_S2_EEvbT2_NS_24const_host_device_scalarIT6_EEPKT1_S9_PKS3_PKT3_PKT4_S6_PT5_21rocsparse_index_base_b, .Lfunc_end110-_ZN9rocsparseL21csrmvn_general_kernelILj256ELj2Eli21rocsparse_complex_numIdES2_S2_S2_EEvbT2_NS_24const_host_device_scalarIT6_EEPKT1_S9_PKS3_PKT3_PKT4_S6_PT5_21rocsparse_index_base_b
                                        ; -- End function
	.set _ZN9rocsparseL21csrmvn_general_kernelILj256ELj2Eli21rocsparse_complex_numIdES2_S2_S2_EEvbT2_NS_24const_host_device_scalarIT6_EEPKT1_S9_PKS3_PKT3_PKT4_S6_PT5_21rocsparse_index_base_b.num_vgpr, 36
	.set _ZN9rocsparseL21csrmvn_general_kernelILj256ELj2Eli21rocsparse_complex_numIdES2_S2_S2_EEvbT2_NS_24const_host_device_scalarIT6_EEPKT1_S9_PKS3_PKT3_PKT4_S6_PT5_21rocsparse_index_base_b.num_agpr, 0
	.set _ZN9rocsparseL21csrmvn_general_kernelILj256ELj2Eli21rocsparse_complex_numIdES2_S2_S2_EEvbT2_NS_24const_host_device_scalarIT6_EEPKT1_S9_PKS3_PKT3_PKT4_S6_PT5_21rocsparse_index_base_b.numbered_sgpr, 24
	.set _ZN9rocsparseL21csrmvn_general_kernelILj256ELj2Eli21rocsparse_complex_numIdES2_S2_S2_EEvbT2_NS_24const_host_device_scalarIT6_EEPKT1_S9_PKS3_PKT3_PKT4_S6_PT5_21rocsparse_index_base_b.num_named_barrier, 0
	.set _ZN9rocsparseL21csrmvn_general_kernelILj256ELj2Eli21rocsparse_complex_numIdES2_S2_S2_EEvbT2_NS_24const_host_device_scalarIT6_EEPKT1_S9_PKS3_PKT3_PKT4_S6_PT5_21rocsparse_index_base_b.private_seg_size, 0
	.set _ZN9rocsparseL21csrmvn_general_kernelILj256ELj2Eli21rocsparse_complex_numIdES2_S2_S2_EEvbT2_NS_24const_host_device_scalarIT6_EEPKT1_S9_PKS3_PKT3_PKT4_S6_PT5_21rocsparse_index_base_b.uses_vcc, 1
	.set _ZN9rocsparseL21csrmvn_general_kernelILj256ELj2Eli21rocsparse_complex_numIdES2_S2_S2_EEvbT2_NS_24const_host_device_scalarIT6_EEPKT1_S9_PKS3_PKT3_PKT4_S6_PT5_21rocsparse_index_base_b.uses_flat_scratch, 0
	.set _ZN9rocsparseL21csrmvn_general_kernelILj256ELj2Eli21rocsparse_complex_numIdES2_S2_S2_EEvbT2_NS_24const_host_device_scalarIT6_EEPKT1_S9_PKS3_PKT3_PKT4_S6_PT5_21rocsparse_index_base_b.has_dyn_sized_stack, 0
	.set _ZN9rocsparseL21csrmvn_general_kernelILj256ELj2Eli21rocsparse_complex_numIdES2_S2_S2_EEvbT2_NS_24const_host_device_scalarIT6_EEPKT1_S9_PKS3_PKT3_PKT4_S6_PT5_21rocsparse_index_base_b.has_recursion, 0
	.set _ZN9rocsparseL21csrmvn_general_kernelILj256ELj2Eli21rocsparse_complex_numIdES2_S2_S2_EEvbT2_NS_24const_host_device_scalarIT6_EEPKT1_S9_PKS3_PKT3_PKT4_S6_PT5_21rocsparse_index_base_b.has_indirect_call, 0
	.section	.AMDGPU.csdata,"",@progbits
; Kernel info:
; codeLenInByte = 884
; TotalNumSgprs: 26
; NumVgprs: 36
; ScratchSize: 0
; MemoryBound: 0
; FloatMode: 240
; IeeeMode: 1
; LDSByteSize: 0 bytes/workgroup (compile time only)
; SGPRBlocks: 0
; VGPRBlocks: 2
; NumSGPRsForWavesPerEU: 26
; NumVGPRsForWavesPerEU: 36
; NamedBarCnt: 0
; Occupancy: 16
; WaveLimiterHint : 1
; COMPUTE_PGM_RSRC2:SCRATCH_EN: 0
; COMPUTE_PGM_RSRC2:USER_SGPR: 2
; COMPUTE_PGM_RSRC2:TRAP_HANDLER: 0
; COMPUTE_PGM_RSRC2:TGID_X_EN: 1
; COMPUTE_PGM_RSRC2:TGID_Y_EN: 0
; COMPUTE_PGM_RSRC2:TGID_Z_EN: 0
; COMPUTE_PGM_RSRC2:TIDIG_COMP_CNT: 0
	.section	.text._ZN9rocsparseL21csrmvn_general_kernelILj256ELj4Eli21rocsparse_complex_numIdES2_S2_S2_EEvbT2_NS_24const_host_device_scalarIT6_EEPKT1_S9_PKS3_PKT3_PKT4_S6_PT5_21rocsparse_index_base_b,"axG",@progbits,_ZN9rocsparseL21csrmvn_general_kernelILj256ELj4Eli21rocsparse_complex_numIdES2_S2_S2_EEvbT2_NS_24const_host_device_scalarIT6_EEPKT1_S9_PKS3_PKT3_PKT4_S6_PT5_21rocsparse_index_base_b,comdat
	.globl	_ZN9rocsparseL21csrmvn_general_kernelILj256ELj4Eli21rocsparse_complex_numIdES2_S2_S2_EEvbT2_NS_24const_host_device_scalarIT6_EEPKT1_S9_PKS3_PKT3_PKT4_S6_PT5_21rocsparse_index_base_b ; -- Begin function _ZN9rocsparseL21csrmvn_general_kernelILj256ELj4Eli21rocsparse_complex_numIdES2_S2_S2_EEvbT2_NS_24const_host_device_scalarIT6_EEPKT1_S9_PKS3_PKT3_PKT4_S6_PT5_21rocsparse_index_base_b
	.p2align	8
	.type	_ZN9rocsparseL21csrmvn_general_kernelILj256ELj4Eli21rocsparse_complex_numIdES2_S2_S2_EEvbT2_NS_24const_host_device_scalarIT6_EEPKT1_S9_PKS3_PKT3_PKT4_S6_PT5_21rocsparse_index_base_b,@function
_ZN9rocsparseL21csrmvn_general_kernelILj256ELj4Eli21rocsparse_complex_numIdES2_S2_S2_EEvbT2_NS_24const_host_device_scalarIT6_EEPKT1_S9_PKS3_PKT3_PKT4_S6_PT5_21rocsparse_index_base_b: ; @_ZN9rocsparseL21csrmvn_general_kernelILj256ELj4Eli21rocsparse_complex_numIdES2_S2_S2_EEvbT2_NS_24const_host_device_scalarIT6_EEPKT1_S9_PKS3_PKT3_PKT4_S6_PT5_21rocsparse_index_base_b
; %bb.0:
	s_clause 0x1
	s_load_b64 s[12:13], s[0:1], 0x58
	s_load_b64 s[2:3], s[0:1], 0x8
	v_mov_b32_e32 v1, 0
	s_add_nc_u64 s[4:5], s[0:1], 8
	s_load_b64 s[6:7], s[0:1], 0x40
	s_wait_kmcnt 0x0
	s_bitcmp1_b32 s13, 0
	s_cselect_b32 s3, s5, s3
	s_cselect_b32 s2, s4, s2
	flat_load_b128 v[2:5], v1, s[2:3]
	s_wait_xcnt 0x0
	s_add_nc_u64 s[2:3], s[0:1], 64
	s_delay_alu instid0(SALU_CYCLE_1)
	s_cselect_b32 s3, s3, s7
	s_cselect_b32 s2, s2, s6
	flat_load_b128 v[6:9], v1, s[2:3]
	s_wait_loadcnt_dscnt 0x101
	v_cmp_eq_f64_e32 vcc_lo, 0, v[2:3]
	s_wait_xcnt 0x0
	v_cmp_eq_f64_e64 s2, 0, v[4:5]
	s_and_b32 s4, vcc_lo, s2
	s_mov_b32 s2, -1
	s_and_saveexec_b32 s3, s4
	s_cbranch_execz .LBB111_2
; %bb.1:
	s_wait_loadcnt_dscnt 0x0
	v_cmp_neq_f64_e32 vcc_lo, 1.0, v[6:7]
	v_cmp_neq_f64_e64 s2, 0, v[8:9]
	s_or_b32 s2, vcc_lo, s2
	s_delay_alu instid0(SALU_CYCLE_1)
	s_or_not1_b32 s2, s2, exec_lo
.LBB111_2:
	s_or_b32 exec_lo, exec_lo, s3
	s_and_saveexec_b32 s3, s2
	s_cbranch_execz .LBB111_14
; %bb.3:
	s_bfe_u32 s2, ttmp6, 0x4000c
	s_load_b64 s[14:15], s[0:1], 0x0
	s_add_co_i32 s2, s2, 1
	s_and_b32 s3, ttmp6, 15
	s_mul_i32 s2, ttmp9, s2
	s_getreg_b32 s4, hwreg(HW_REG_IB_STS2, 6, 4)
	s_add_co_i32 s3, s3, s2
	s_cmp_eq_u32 s4, 0
	s_mov_b32 s13, 0
	s_cselect_b32 s2, ttmp9, s3
	s_delay_alu instid0(SALU_CYCLE_1) | instskip(NEXT) | instid1(VALU_DEP_1)
	v_lshl_or_b32 v1, s2, 8, v0
	v_lshrrev_b32_e32 v14, 2, v1
	s_wait_kmcnt 0x0
	s_delay_alu instid0(VALU_DEP_1)
	v_cmp_gt_i32_e32 vcc_lo, s15, v14
	s_and_b32 exec_lo, exec_lo, vcc_lo
	s_cbranch_execz .LBB111_14
; %bb.4:
	s_wait_loadcnt_dscnt 0x0
	v_cmp_neq_f64_e64 s2, 0, v[6:7]
	v_cmp_neq_f64_e64 s3, 0, v[8:9]
	v_mbcnt_lo_u32_b32 v12, -1, 0
	s_clause 0x3
	s_load_b32 s20, s[0:1], 0x60
	s_load_b256 s[4:11], s[0:1], 0x18
	s_load_b64 s[18:19], s[0:1], 0x38
	s_load_b64 s[16:17], s[0:1], 0x50
	v_dual_mov_b32 v11, 0 :: v_dual_bitop2_b32 v10, 3, v0 bitop3:0x40
	v_xor_b32_e32 v15, 1, v12
	v_xor_b32_e32 v13, 2, v12
	s_mov_b32 s22, s12
	s_delay_alu instid0(VALU_DEP_3) | instskip(SKIP_3) | instid1(VALU_DEP_1)
	v_cmp_eq_u32_e32 vcc_lo, 3, v10
	v_sub_nc_u64_e64 v[0:1], v[10:11], s[12:13]
	s_wait_xcnt 0x0
	v_cmp_gt_i32_e64 s0, 32, v13
	v_cndmask_b32_e64 v10, v12, v13, s0
	v_cmp_gt_i32_e64 s0, 32, v15
	s_wait_kmcnt 0x0
	s_lshl_b32 s20, s20, 6
	s_bitcmp1_b32 s14, 0
	s_add_nc_u64 s[10:11], s[10:11], 8
	v_cndmask_b32_e64 v11, v12, v15, s0
	s_cselect_b32 s0, -1, 0
	s_ashr_i32 s23, s12, 31
	v_lshlrev_b32_e32 v24, 2, v10
	s_lshl_b64 s[22:23], s[22:23], 4
	v_lshlrev_b32_e32 v25, 2, v11
	s_sub_nc_u64 s[18:19], s[18:19], s[22:23]
	s_or_b32 s2, s2, s3
	s_mov_b32 s3, s13
	s_branch .LBB111_7
.LBB111_5:                              ;   in Loop: Header=BB111_7 Depth=1
	s_wait_xcnt 0x0
	s_or_b32 exec_lo, exec_lo, s14
	global_store_b128 v[16:17], v[10:13], off
.LBB111_6:                              ;   in Loop: Header=BB111_7 Depth=1
	s_wait_xcnt 0x0
	s_or_b32 exec_lo, exec_lo, s1
	v_add_nc_u32_e32 v14, s20, v14
	s_delay_alu instid0(VALU_DEP_1) | instskip(SKIP_1) | instid1(SALU_CYCLE_1)
	v_cmp_le_i32_e64 s1, s15, v14
	s_or_b32 s3, s1, s3
	s_and_not1_b32 exec_lo, exec_lo, s3
	s_cbranch_execz .LBB111_14
.LBB111_7:                              ; =>This Loop Header: Depth=1
                                        ;     Child Loop BB111_9 Depth 2
	s_wait_dscnt 0x2
	s_clause 0x1
	global_load_b64 v[10:11], v14, s[6:7] scale_offset
	global_load_b64 v[12:13], v14, s[4:5] scale_offset
	s_mov_b32 s14, exec_lo
	s_wait_loadcnt 0x1
	v_sub_nc_u64_e64 v[16:17], v[10:11], s[12:13]
	s_wait_loadcnt_dscnt 0x0
	v_add_nc_u64_e32 v[18:19], v[12:13], v[0:1]
	v_mov_b64_e32 v[10:11], 0
	v_mov_b64_e32 v[12:13], 0
	s_wait_xcnt 0x0
	s_delay_alu instid0(VALU_DEP_3)
	v_cmpx_lt_i64_e64 v[18:19], v[16:17]
	s_cbranch_execz .LBB111_11
; %bb.8:                                ;   in Loop: Header=BB111_7 Depth=1
	v_mov_b64_e32 v[10:11], 0
	v_mov_b64_e32 v[12:13], 0
	v_lshl_add_u64 v[20:21], v[18:19], 4, s[10:11]
	v_lshl_add_u64 v[22:23], v[18:19], 2, s[8:9]
	s_mov_b32 s21, 0
.LBB111_9:                              ;   Parent Loop BB111_7 Depth=1
                                        ; =>  This Inner Loop Header: Depth=2
	global_load_b32 v15, v[22:23], off
	global_load_b128 v[26:29], v[20:21], off offset:-8
	v_add_nc_u64_e32 v[18:19], 4, v[18:19]
	s_wait_xcnt 0x0
	v_add_nc_u64_e32 v[20:21], 64, v[20:21]
	v_add_nc_u64_e32 v[22:23], 16, v[22:23]
	s_delay_alu instid0(VALU_DEP_3)
	v_cmp_ge_i64_e64 s1, v[18:19], v[16:17]
	s_or_b32 s21, s1, s21
	s_wait_loadcnt 0x1
	global_load_b128 v[30:33], v15, s[18:19] scale_offset
	s_wait_loadcnt 0x1
	s_wait_xcnt 0x0
	v_xor_b32_e32 v15, 0x80000000, v29
	s_delay_alu instid0(VALU_DEP_1) | instskip(NEXT) | instid1(VALU_DEP_1)
	v_cndmask_b32_e64 v29, v29, v15, s0
	v_mul_f64_e64 v[34:35], v[28:29], -v[4:5]
	v_mul_f64_e32 v[28:29], v[2:3], v[28:29]
	s_delay_alu instid0(VALU_DEP_2) | instskip(NEXT) | instid1(VALU_DEP_2)
	v_fmac_f64_e32 v[34:35], v[2:3], v[26:27]
	v_fmac_f64_e32 v[28:29], v[4:5], v[26:27]
	s_wait_loadcnt 0x0
	s_delay_alu instid0(VALU_DEP_2) | instskip(NEXT) | instid1(VALU_DEP_2)
	v_fmac_f64_e32 v[12:13], v[34:35], v[30:31]
	v_fmac_f64_e32 v[10:11], v[28:29], v[30:31]
	s_delay_alu instid0(VALU_DEP_2) | instskip(NEXT) | instid1(VALU_DEP_2)
	v_fma_f64 v[12:13], -v[28:29], v[32:33], v[12:13]
	v_fmac_f64_e32 v[10:11], v[34:35], v[32:33]
	s_and_not1_b32 exec_lo, exec_lo, s21
	s_cbranch_execnz .LBB111_9
; %bb.10:                               ;   in Loop: Header=BB111_7 Depth=1
	s_or_b32 exec_lo, exec_lo, s21
.LBB111_11:                             ;   in Loop: Header=BB111_7 Depth=1
	s_delay_alu instid0(SALU_CYCLE_1)
	s_or_b32 exec_lo, exec_lo, s14
	ds_bpermute_b32 v16, v24, v12
	ds_bpermute_b32 v17, v24, v13
	;; [unrolled: 1-line block ×4, first 2 shown]
	s_wait_dscnt 0x2
	v_dual_add_f64 v[12:13], v[12:13], v[16:17] :: v_dual_ashrrev_i32 v15, 31, v14
	s_wait_dscnt 0x0
	v_add_f64_e32 v[16:17], v[10:11], v[18:19]
	ds_bpermute_b32 v10, v25, v12
	ds_bpermute_b32 v11, v25, v13
	;; [unrolled: 1-line block ×4, first 2 shown]
	s_and_saveexec_b32 s1, vcc_lo
	s_cbranch_execz .LBB111_6
; %bb.12:                               ;   in Loop: Header=BB111_7 Depth=1
	s_wait_dscnt 0x2
	v_add_f64_e32 v[10:11], v[12:13], v[10:11]
	s_wait_dscnt 0x0
	v_add_f64_e32 v[12:13], v[16:17], v[18:19]
	v_lshl_add_u64 v[16:17], v[14:15], 4, s[16:17]
	s_and_saveexec_b32 s14, s2
	s_cbranch_execz .LBB111_5
; %bb.13:                               ;   in Loop: Header=BB111_7 Depth=1
	global_load_b128 v[18:21], v[16:17], off
	s_wait_loadcnt 0x0
	v_fmac_f64_e32 v[10:11], v[6:7], v[18:19]
	v_fmac_f64_e32 v[12:13], v[8:9], v[18:19]
	s_delay_alu instid0(VALU_DEP_2) | instskip(NEXT) | instid1(VALU_DEP_2)
	v_fma_f64 v[10:11], -v[8:9], v[20:21], v[10:11]
	v_fmac_f64_e32 v[12:13], v[6:7], v[20:21]
	s_branch .LBB111_5
.LBB111_14:
	s_endpgm
	.section	.rodata,"a",@progbits
	.p2align	6, 0x0
	.amdhsa_kernel _ZN9rocsparseL21csrmvn_general_kernelILj256ELj4Eli21rocsparse_complex_numIdES2_S2_S2_EEvbT2_NS_24const_host_device_scalarIT6_EEPKT1_S9_PKS3_PKT3_PKT4_S6_PT5_21rocsparse_index_base_b
		.amdhsa_group_segment_fixed_size 0
		.amdhsa_private_segment_fixed_size 0
		.amdhsa_kernarg_size 352
		.amdhsa_user_sgpr_count 2
		.amdhsa_user_sgpr_dispatch_ptr 0
		.amdhsa_user_sgpr_queue_ptr 0
		.amdhsa_user_sgpr_kernarg_segment_ptr 1
		.amdhsa_user_sgpr_dispatch_id 0
		.amdhsa_user_sgpr_kernarg_preload_length 0
		.amdhsa_user_sgpr_kernarg_preload_offset 0
		.amdhsa_user_sgpr_private_segment_size 0
		.amdhsa_wavefront_size32 1
		.amdhsa_uses_dynamic_stack 0
		.amdhsa_enable_private_segment 0
		.amdhsa_system_sgpr_workgroup_id_x 1
		.amdhsa_system_sgpr_workgroup_id_y 0
		.amdhsa_system_sgpr_workgroup_id_z 0
		.amdhsa_system_sgpr_workgroup_info 0
		.amdhsa_system_vgpr_workitem_id 0
		.amdhsa_next_free_vgpr 36
		.amdhsa_next_free_sgpr 24
		.amdhsa_named_barrier_count 0
		.amdhsa_reserve_vcc 1
		.amdhsa_float_round_mode_32 0
		.amdhsa_float_round_mode_16_64 0
		.amdhsa_float_denorm_mode_32 3
		.amdhsa_float_denorm_mode_16_64 3
		.amdhsa_fp16_overflow 0
		.amdhsa_memory_ordered 1
		.amdhsa_forward_progress 1
		.amdhsa_inst_pref_size 8
		.amdhsa_round_robin_scheduling 0
		.amdhsa_exception_fp_ieee_invalid_op 0
		.amdhsa_exception_fp_denorm_src 0
		.amdhsa_exception_fp_ieee_div_zero 0
		.amdhsa_exception_fp_ieee_overflow 0
		.amdhsa_exception_fp_ieee_underflow 0
		.amdhsa_exception_fp_ieee_inexact 0
		.amdhsa_exception_int_div_zero 0
	.end_amdhsa_kernel
	.section	.text._ZN9rocsparseL21csrmvn_general_kernelILj256ELj4Eli21rocsparse_complex_numIdES2_S2_S2_EEvbT2_NS_24const_host_device_scalarIT6_EEPKT1_S9_PKS3_PKT3_PKT4_S6_PT5_21rocsparse_index_base_b,"axG",@progbits,_ZN9rocsparseL21csrmvn_general_kernelILj256ELj4Eli21rocsparse_complex_numIdES2_S2_S2_EEvbT2_NS_24const_host_device_scalarIT6_EEPKT1_S9_PKS3_PKT3_PKT4_S6_PT5_21rocsparse_index_base_b,comdat
.Lfunc_end111:
	.size	_ZN9rocsparseL21csrmvn_general_kernelILj256ELj4Eli21rocsparse_complex_numIdES2_S2_S2_EEvbT2_NS_24const_host_device_scalarIT6_EEPKT1_S9_PKS3_PKT3_PKT4_S6_PT5_21rocsparse_index_base_b, .Lfunc_end111-_ZN9rocsparseL21csrmvn_general_kernelILj256ELj4Eli21rocsparse_complex_numIdES2_S2_S2_EEvbT2_NS_24const_host_device_scalarIT6_EEPKT1_S9_PKS3_PKT3_PKT4_S6_PT5_21rocsparse_index_base_b
                                        ; -- End function
	.set _ZN9rocsparseL21csrmvn_general_kernelILj256ELj4Eli21rocsparse_complex_numIdES2_S2_S2_EEvbT2_NS_24const_host_device_scalarIT6_EEPKT1_S9_PKS3_PKT3_PKT4_S6_PT5_21rocsparse_index_base_b.num_vgpr, 36
	.set _ZN9rocsparseL21csrmvn_general_kernelILj256ELj4Eli21rocsparse_complex_numIdES2_S2_S2_EEvbT2_NS_24const_host_device_scalarIT6_EEPKT1_S9_PKS3_PKT3_PKT4_S6_PT5_21rocsparse_index_base_b.num_agpr, 0
	.set _ZN9rocsparseL21csrmvn_general_kernelILj256ELj4Eli21rocsparse_complex_numIdES2_S2_S2_EEvbT2_NS_24const_host_device_scalarIT6_EEPKT1_S9_PKS3_PKT3_PKT4_S6_PT5_21rocsparse_index_base_b.numbered_sgpr, 24
	.set _ZN9rocsparseL21csrmvn_general_kernelILj256ELj4Eli21rocsparse_complex_numIdES2_S2_S2_EEvbT2_NS_24const_host_device_scalarIT6_EEPKT1_S9_PKS3_PKT3_PKT4_S6_PT5_21rocsparse_index_base_b.num_named_barrier, 0
	.set _ZN9rocsparseL21csrmvn_general_kernelILj256ELj4Eli21rocsparse_complex_numIdES2_S2_S2_EEvbT2_NS_24const_host_device_scalarIT6_EEPKT1_S9_PKS3_PKT3_PKT4_S6_PT5_21rocsparse_index_base_b.private_seg_size, 0
	.set _ZN9rocsparseL21csrmvn_general_kernelILj256ELj4Eli21rocsparse_complex_numIdES2_S2_S2_EEvbT2_NS_24const_host_device_scalarIT6_EEPKT1_S9_PKS3_PKT3_PKT4_S6_PT5_21rocsparse_index_base_b.uses_vcc, 1
	.set _ZN9rocsparseL21csrmvn_general_kernelILj256ELj4Eli21rocsparse_complex_numIdES2_S2_S2_EEvbT2_NS_24const_host_device_scalarIT6_EEPKT1_S9_PKS3_PKT3_PKT4_S6_PT5_21rocsparse_index_base_b.uses_flat_scratch, 0
	.set _ZN9rocsparseL21csrmvn_general_kernelILj256ELj4Eli21rocsparse_complex_numIdES2_S2_S2_EEvbT2_NS_24const_host_device_scalarIT6_EEPKT1_S9_PKS3_PKT3_PKT4_S6_PT5_21rocsparse_index_base_b.has_dyn_sized_stack, 0
	.set _ZN9rocsparseL21csrmvn_general_kernelILj256ELj4Eli21rocsparse_complex_numIdES2_S2_S2_EEvbT2_NS_24const_host_device_scalarIT6_EEPKT1_S9_PKS3_PKT3_PKT4_S6_PT5_21rocsparse_index_base_b.has_recursion, 0
	.set _ZN9rocsparseL21csrmvn_general_kernelILj256ELj4Eli21rocsparse_complex_numIdES2_S2_S2_EEvbT2_NS_24const_host_device_scalarIT6_EEPKT1_S9_PKS3_PKT3_PKT4_S6_PT5_21rocsparse_index_base_b.has_indirect_call, 0
	.section	.AMDGPU.csdata,"",@progbits
; Kernel info:
; codeLenInByte = 968
; TotalNumSgprs: 26
; NumVgprs: 36
; ScratchSize: 0
; MemoryBound: 0
; FloatMode: 240
; IeeeMode: 1
; LDSByteSize: 0 bytes/workgroup (compile time only)
; SGPRBlocks: 0
; VGPRBlocks: 2
; NumSGPRsForWavesPerEU: 26
; NumVGPRsForWavesPerEU: 36
; NamedBarCnt: 0
; Occupancy: 16
; WaveLimiterHint : 1
; COMPUTE_PGM_RSRC2:SCRATCH_EN: 0
; COMPUTE_PGM_RSRC2:USER_SGPR: 2
; COMPUTE_PGM_RSRC2:TRAP_HANDLER: 0
; COMPUTE_PGM_RSRC2:TGID_X_EN: 1
; COMPUTE_PGM_RSRC2:TGID_Y_EN: 0
; COMPUTE_PGM_RSRC2:TGID_Z_EN: 0
; COMPUTE_PGM_RSRC2:TIDIG_COMP_CNT: 0
	.section	.text._ZN9rocsparseL21csrmvn_general_kernelILj256ELj8Eli21rocsparse_complex_numIdES2_S2_S2_EEvbT2_NS_24const_host_device_scalarIT6_EEPKT1_S9_PKS3_PKT3_PKT4_S6_PT5_21rocsparse_index_base_b,"axG",@progbits,_ZN9rocsparseL21csrmvn_general_kernelILj256ELj8Eli21rocsparse_complex_numIdES2_S2_S2_EEvbT2_NS_24const_host_device_scalarIT6_EEPKT1_S9_PKS3_PKT3_PKT4_S6_PT5_21rocsparse_index_base_b,comdat
	.globl	_ZN9rocsparseL21csrmvn_general_kernelILj256ELj8Eli21rocsparse_complex_numIdES2_S2_S2_EEvbT2_NS_24const_host_device_scalarIT6_EEPKT1_S9_PKS3_PKT3_PKT4_S6_PT5_21rocsparse_index_base_b ; -- Begin function _ZN9rocsparseL21csrmvn_general_kernelILj256ELj8Eli21rocsparse_complex_numIdES2_S2_S2_EEvbT2_NS_24const_host_device_scalarIT6_EEPKT1_S9_PKS3_PKT3_PKT4_S6_PT5_21rocsparse_index_base_b
	.p2align	8
	.type	_ZN9rocsparseL21csrmvn_general_kernelILj256ELj8Eli21rocsparse_complex_numIdES2_S2_S2_EEvbT2_NS_24const_host_device_scalarIT6_EEPKT1_S9_PKS3_PKT3_PKT4_S6_PT5_21rocsparse_index_base_b,@function
_ZN9rocsparseL21csrmvn_general_kernelILj256ELj8Eli21rocsparse_complex_numIdES2_S2_S2_EEvbT2_NS_24const_host_device_scalarIT6_EEPKT1_S9_PKS3_PKT3_PKT4_S6_PT5_21rocsparse_index_base_b: ; @_ZN9rocsparseL21csrmvn_general_kernelILj256ELj8Eli21rocsparse_complex_numIdES2_S2_S2_EEvbT2_NS_24const_host_device_scalarIT6_EEPKT1_S9_PKS3_PKT3_PKT4_S6_PT5_21rocsparse_index_base_b
; %bb.0:
	s_clause 0x1
	s_load_b64 s[12:13], s[0:1], 0x58
	s_load_b64 s[2:3], s[0:1], 0x8
	v_mov_b32_e32 v1, 0
	s_add_nc_u64 s[4:5], s[0:1], 8
	s_load_b64 s[6:7], s[0:1], 0x40
	s_wait_kmcnt 0x0
	s_bitcmp1_b32 s13, 0
	s_cselect_b32 s3, s5, s3
	s_cselect_b32 s2, s4, s2
	flat_load_b128 v[2:5], v1, s[2:3]
	s_wait_xcnt 0x0
	s_add_nc_u64 s[2:3], s[0:1], 64
	s_delay_alu instid0(SALU_CYCLE_1)
	s_cselect_b32 s3, s3, s7
	s_cselect_b32 s2, s2, s6
	flat_load_b128 v[6:9], v1, s[2:3]
	s_wait_loadcnt_dscnt 0x101
	v_cmp_eq_f64_e32 vcc_lo, 0, v[2:3]
	s_wait_xcnt 0x0
	v_cmp_eq_f64_e64 s2, 0, v[4:5]
	s_and_b32 s4, vcc_lo, s2
	s_mov_b32 s2, -1
	s_and_saveexec_b32 s3, s4
	s_cbranch_execz .LBB112_2
; %bb.1:
	s_wait_loadcnt_dscnt 0x0
	v_cmp_neq_f64_e32 vcc_lo, 1.0, v[6:7]
	v_cmp_neq_f64_e64 s2, 0, v[8:9]
	s_or_b32 s2, vcc_lo, s2
	s_delay_alu instid0(SALU_CYCLE_1)
	s_or_not1_b32 s2, s2, exec_lo
.LBB112_2:
	s_or_b32 exec_lo, exec_lo, s3
	s_and_saveexec_b32 s3, s2
	s_cbranch_execz .LBB112_14
; %bb.3:
	s_bfe_u32 s2, ttmp6, 0x4000c
	s_load_b64 s[14:15], s[0:1], 0x0
	s_add_co_i32 s2, s2, 1
	s_and_b32 s3, ttmp6, 15
	s_mul_i32 s2, ttmp9, s2
	s_getreg_b32 s4, hwreg(HW_REG_IB_STS2, 6, 4)
	s_add_co_i32 s3, s3, s2
	s_cmp_eq_u32 s4, 0
	s_mov_b32 s13, 0
	s_cselect_b32 s2, ttmp9, s3
	s_delay_alu instid0(SALU_CYCLE_1) | instskip(NEXT) | instid1(VALU_DEP_1)
	v_lshl_or_b32 v1, s2, 8, v0
	v_lshrrev_b32_e32 v14, 3, v1
	s_wait_kmcnt 0x0
	s_delay_alu instid0(VALU_DEP_1)
	v_cmp_gt_i32_e32 vcc_lo, s15, v14
	s_and_b32 exec_lo, exec_lo, vcc_lo
	s_cbranch_execz .LBB112_14
; %bb.4:
	v_dual_mov_b32 v11, 0 :: v_dual_bitop2_b32 v10, 7, v0 bitop3:0x40
	v_mbcnt_lo_u32_b32 v12, -1, 0
	s_wait_loadcnt_dscnt 0x0
	v_cmp_neq_f64_e64 s2, 0, v[6:7]
	v_cmp_neq_f64_e64 s3, 0, v[8:9]
	s_clause 0x1
	s_load_b32 s20, s[0:1], 0x60
	s_load_b256 s[4:11], s[0:1], 0x18
	v_sub_nc_u64_e64 v[0:1], v[10:11], s[12:13]
	v_xor_b32_e32 v11, 2, v12
	v_xor_b32_e32 v13, 4, v12
	s_clause 0x1
	s_load_b64 s[16:17], s[0:1], 0x50
	s_load_b64 s[18:19], s[0:1], 0x38
	v_cmp_eq_u32_e32 vcc_lo, 7, v10
	s_mov_b32 s22, s12
	s_wait_xcnt 0x0
	v_cmp_gt_i32_e64 s0, 32, v13
	s_delay_alu instid0(VALU_DEP_1) | instskip(SKIP_1) | instid1(VALU_DEP_2)
	v_dual_cndmask_b32 v10, v12, v13, s0 :: v_dual_bitop2_b32 v15, 1, v12 bitop3:0x14
	v_cmp_gt_i32_e64 s0, 32, v11
	v_lshlrev_b32_e32 v24, 2, v10
	s_wait_kmcnt 0x0
	s_lshl_b32 s20, s20, 5
	v_cndmask_b32_e64 v11, v12, v11, s0
	v_cmp_gt_i32_e64 s0, 32, v15
	s_bitcmp1_b32 s14, 0
	s_add_nc_u64 s[10:11], s[10:11], 8
	v_cndmask_b32_e64 v12, v12, v15, s0
	s_cselect_b32 s0, -1, 0
	s_ashr_i32 s23, s12, 31
	v_lshlrev_b32_e32 v25, 2, v11
	s_lshl_b64 s[22:23], s[22:23], 4
	v_lshlrev_b32_e32 v26, 2, v12
	s_sub_nc_u64 s[18:19], s[18:19], s[22:23]
	s_or_b32 s2, s2, s3
	s_mov_b32 s3, s13
	s_branch .LBB112_7
.LBB112_5:                              ;   in Loop: Header=BB112_7 Depth=1
	s_wait_xcnt 0x0
	s_or_b32 exec_lo, exec_lo, s14
	global_store_b128 v[16:17], v[10:13], off
.LBB112_6:                              ;   in Loop: Header=BB112_7 Depth=1
	s_wait_xcnt 0x0
	s_or_b32 exec_lo, exec_lo, s1
	v_add_nc_u32_e32 v14, s20, v14
	s_delay_alu instid0(VALU_DEP_1) | instskip(SKIP_1) | instid1(SALU_CYCLE_1)
	v_cmp_le_i32_e64 s1, s15, v14
	s_or_b32 s3, s1, s3
	s_and_not1_b32 exec_lo, exec_lo, s3
	s_cbranch_execz .LBB112_14
.LBB112_7:                              ; =>This Loop Header: Depth=1
                                        ;     Child Loop BB112_9 Depth 2
	s_clause 0x1
	global_load_b64 v[10:11], v14, s[6:7] scale_offset
	global_load_b64 v[12:13], v14, s[4:5] scale_offset
	s_mov_b32 s14, exec_lo
	s_wait_loadcnt_dscnt 0x100
	v_sub_nc_u64_e64 v[16:17], v[10:11], s[12:13]
	s_wait_loadcnt 0x0
	v_add_nc_u64_e32 v[18:19], v[12:13], v[0:1]
	v_mov_b64_e32 v[10:11], 0
	v_mov_b64_e32 v[12:13], 0
	s_wait_xcnt 0x0
	s_delay_alu instid0(VALU_DEP_3)
	v_cmpx_lt_i64_e64 v[18:19], v[16:17]
	s_cbranch_execz .LBB112_11
; %bb.8:                                ;   in Loop: Header=BB112_7 Depth=1
	v_mov_b64_e32 v[10:11], 0
	v_mov_b64_e32 v[12:13], 0
	v_lshl_add_u64 v[20:21], v[18:19], 4, s[10:11]
	v_lshl_add_u64 v[22:23], v[18:19], 2, s[8:9]
	s_mov_b32 s21, 0
.LBB112_9:                              ;   Parent Loop BB112_7 Depth=1
                                        ; =>  This Inner Loop Header: Depth=2
	global_load_b32 v15, v[22:23], off
	global_load_b128 v[28:31], v[20:21], off offset:-8
	v_add_nc_u64_e32 v[18:19], 8, v[18:19]
	s_wait_xcnt 0x0
	v_add_nc_u64_e32 v[20:21], 0x80, v[20:21]
	v_add_nc_u64_e32 v[22:23], 32, v[22:23]
	s_delay_alu instid0(VALU_DEP_3)
	v_cmp_ge_i64_e64 s1, v[18:19], v[16:17]
	s_or_b32 s21, s1, s21
	s_wait_loadcnt 0x1
	global_load_b128 v[32:35], v15, s[18:19] scale_offset
	s_wait_loadcnt 0x1
	s_wait_xcnt 0x0
	v_xor_b32_e32 v15, 0x80000000, v31
	s_delay_alu instid0(VALU_DEP_1) | instskip(NEXT) | instid1(VALU_DEP_1)
	v_cndmask_b32_e64 v31, v31, v15, s0
	v_mul_f64_e64 v[36:37], v[30:31], -v[4:5]
	v_mul_f64_e32 v[30:31], v[2:3], v[30:31]
	s_delay_alu instid0(VALU_DEP_2) | instskip(NEXT) | instid1(VALU_DEP_2)
	v_fmac_f64_e32 v[36:37], v[2:3], v[28:29]
	v_fmac_f64_e32 v[30:31], v[4:5], v[28:29]
	s_wait_loadcnt 0x0
	s_delay_alu instid0(VALU_DEP_2) | instskip(NEXT) | instid1(VALU_DEP_2)
	v_fmac_f64_e32 v[12:13], v[36:37], v[32:33]
	v_fmac_f64_e32 v[10:11], v[30:31], v[32:33]
	s_delay_alu instid0(VALU_DEP_2) | instskip(NEXT) | instid1(VALU_DEP_2)
	v_fma_f64 v[12:13], -v[30:31], v[34:35], v[12:13]
	v_fmac_f64_e32 v[10:11], v[36:37], v[34:35]
	s_and_not1_b32 exec_lo, exec_lo, s21
	s_cbranch_execnz .LBB112_9
; %bb.10:                               ;   in Loop: Header=BB112_7 Depth=1
	s_or_b32 exec_lo, exec_lo, s21
.LBB112_11:                             ;   in Loop: Header=BB112_7 Depth=1
	s_delay_alu instid0(SALU_CYCLE_1)
	s_or_b32 exec_lo, exec_lo, s14
	ds_bpermute_b32 v16, v24, v12
	ds_bpermute_b32 v17, v24, v13
	;; [unrolled: 1-line block ×4, first 2 shown]
	s_wait_dscnt 0x2
	v_dual_add_f64 v[12:13], v[12:13], v[16:17] :: v_dual_ashrrev_i32 v15, 31, v14
	s_wait_dscnt 0x0
	v_add_f64_e32 v[16:17], v[10:11], v[18:19]
	ds_bpermute_b32 v10, v25, v12
	ds_bpermute_b32 v11, v25, v13
	;; [unrolled: 1-line block ×4, first 2 shown]
	s_wait_dscnt 0x2
	v_add_f64_e32 v[10:11], v[12:13], v[10:11]
	s_wait_dscnt 0x0
	v_add_f64_e32 v[12:13], v[16:17], v[18:19]
	ds_bpermute_b32 v18, v26, v10
	ds_bpermute_b32 v19, v26, v11
	;; [unrolled: 1-line block ×4, first 2 shown]
	s_and_saveexec_b32 s1, vcc_lo
	s_cbranch_execz .LBB112_6
; %bb.12:                               ;   in Loop: Header=BB112_7 Depth=1
	s_wait_dscnt 0x2
	v_add_f64_e32 v[10:11], v[10:11], v[18:19]
	s_wait_dscnt 0x0
	v_add_f64_e32 v[12:13], v[12:13], v[16:17]
	v_lshl_add_u64 v[16:17], v[14:15], 4, s[16:17]
	s_and_saveexec_b32 s14, s2
	s_cbranch_execz .LBB112_5
; %bb.13:                               ;   in Loop: Header=BB112_7 Depth=1
	global_load_b128 v[18:21], v[16:17], off
	s_wait_loadcnt 0x0
	v_fmac_f64_e32 v[10:11], v[6:7], v[18:19]
	v_fmac_f64_e32 v[12:13], v[8:9], v[18:19]
	s_delay_alu instid0(VALU_DEP_2) | instskip(NEXT) | instid1(VALU_DEP_2)
	v_fma_f64 v[10:11], -v[8:9], v[20:21], v[10:11]
	v_fmac_f64_e32 v[12:13], v[6:7], v[20:21]
	s_branch .LBB112_5
.LBB112_14:
	s_endpgm
	.section	.rodata,"a",@progbits
	.p2align	6, 0x0
	.amdhsa_kernel _ZN9rocsparseL21csrmvn_general_kernelILj256ELj8Eli21rocsparse_complex_numIdES2_S2_S2_EEvbT2_NS_24const_host_device_scalarIT6_EEPKT1_S9_PKS3_PKT3_PKT4_S6_PT5_21rocsparse_index_base_b
		.amdhsa_group_segment_fixed_size 0
		.amdhsa_private_segment_fixed_size 0
		.amdhsa_kernarg_size 352
		.amdhsa_user_sgpr_count 2
		.amdhsa_user_sgpr_dispatch_ptr 0
		.amdhsa_user_sgpr_queue_ptr 0
		.amdhsa_user_sgpr_kernarg_segment_ptr 1
		.amdhsa_user_sgpr_dispatch_id 0
		.amdhsa_user_sgpr_kernarg_preload_length 0
		.amdhsa_user_sgpr_kernarg_preload_offset 0
		.amdhsa_user_sgpr_private_segment_size 0
		.amdhsa_wavefront_size32 1
		.amdhsa_uses_dynamic_stack 0
		.amdhsa_enable_private_segment 0
		.amdhsa_system_sgpr_workgroup_id_x 1
		.amdhsa_system_sgpr_workgroup_id_y 0
		.amdhsa_system_sgpr_workgroup_id_z 0
		.amdhsa_system_sgpr_workgroup_info 0
		.amdhsa_system_vgpr_workitem_id 0
		.amdhsa_next_free_vgpr 38
		.amdhsa_next_free_sgpr 24
		.amdhsa_named_barrier_count 0
		.amdhsa_reserve_vcc 1
		.amdhsa_float_round_mode_32 0
		.amdhsa_float_round_mode_16_64 0
		.amdhsa_float_denorm_mode_32 3
		.amdhsa_float_denorm_mode_16_64 3
		.amdhsa_fp16_overflow 0
		.amdhsa_memory_ordered 1
		.amdhsa_forward_progress 1
		.amdhsa_inst_pref_size 9
		.amdhsa_round_robin_scheduling 0
		.amdhsa_exception_fp_ieee_invalid_op 0
		.amdhsa_exception_fp_denorm_src 0
		.amdhsa_exception_fp_ieee_div_zero 0
		.amdhsa_exception_fp_ieee_overflow 0
		.amdhsa_exception_fp_ieee_underflow 0
		.amdhsa_exception_fp_ieee_inexact 0
		.amdhsa_exception_int_div_zero 0
	.end_amdhsa_kernel
	.section	.text._ZN9rocsparseL21csrmvn_general_kernelILj256ELj8Eli21rocsparse_complex_numIdES2_S2_S2_EEvbT2_NS_24const_host_device_scalarIT6_EEPKT1_S9_PKS3_PKT3_PKT4_S6_PT5_21rocsparse_index_base_b,"axG",@progbits,_ZN9rocsparseL21csrmvn_general_kernelILj256ELj8Eli21rocsparse_complex_numIdES2_S2_S2_EEvbT2_NS_24const_host_device_scalarIT6_EEPKT1_S9_PKS3_PKT3_PKT4_S6_PT5_21rocsparse_index_base_b,comdat
.Lfunc_end112:
	.size	_ZN9rocsparseL21csrmvn_general_kernelILj256ELj8Eli21rocsparse_complex_numIdES2_S2_S2_EEvbT2_NS_24const_host_device_scalarIT6_EEPKT1_S9_PKS3_PKT3_PKT4_S6_PT5_21rocsparse_index_base_b, .Lfunc_end112-_ZN9rocsparseL21csrmvn_general_kernelILj256ELj8Eli21rocsparse_complex_numIdES2_S2_S2_EEvbT2_NS_24const_host_device_scalarIT6_EEPKT1_S9_PKS3_PKT3_PKT4_S6_PT5_21rocsparse_index_base_b
                                        ; -- End function
	.set _ZN9rocsparseL21csrmvn_general_kernelILj256ELj8Eli21rocsparse_complex_numIdES2_S2_S2_EEvbT2_NS_24const_host_device_scalarIT6_EEPKT1_S9_PKS3_PKT3_PKT4_S6_PT5_21rocsparse_index_base_b.num_vgpr, 38
	.set _ZN9rocsparseL21csrmvn_general_kernelILj256ELj8Eli21rocsparse_complex_numIdES2_S2_S2_EEvbT2_NS_24const_host_device_scalarIT6_EEPKT1_S9_PKS3_PKT3_PKT4_S6_PT5_21rocsparse_index_base_b.num_agpr, 0
	.set _ZN9rocsparseL21csrmvn_general_kernelILj256ELj8Eli21rocsparse_complex_numIdES2_S2_S2_EEvbT2_NS_24const_host_device_scalarIT6_EEPKT1_S9_PKS3_PKT3_PKT4_S6_PT5_21rocsparse_index_base_b.numbered_sgpr, 24
	.set _ZN9rocsparseL21csrmvn_general_kernelILj256ELj8Eli21rocsparse_complex_numIdES2_S2_S2_EEvbT2_NS_24const_host_device_scalarIT6_EEPKT1_S9_PKS3_PKT3_PKT4_S6_PT5_21rocsparse_index_base_b.num_named_barrier, 0
	.set _ZN9rocsparseL21csrmvn_general_kernelILj256ELj8Eli21rocsparse_complex_numIdES2_S2_S2_EEvbT2_NS_24const_host_device_scalarIT6_EEPKT1_S9_PKS3_PKT3_PKT4_S6_PT5_21rocsparse_index_base_b.private_seg_size, 0
	.set _ZN9rocsparseL21csrmvn_general_kernelILj256ELj8Eli21rocsparse_complex_numIdES2_S2_S2_EEvbT2_NS_24const_host_device_scalarIT6_EEPKT1_S9_PKS3_PKT3_PKT4_S6_PT5_21rocsparse_index_base_b.uses_vcc, 1
	.set _ZN9rocsparseL21csrmvn_general_kernelILj256ELj8Eli21rocsparse_complex_numIdES2_S2_S2_EEvbT2_NS_24const_host_device_scalarIT6_EEPKT1_S9_PKS3_PKT3_PKT4_S6_PT5_21rocsparse_index_base_b.uses_flat_scratch, 0
	.set _ZN9rocsparseL21csrmvn_general_kernelILj256ELj8Eli21rocsparse_complex_numIdES2_S2_S2_EEvbT2_NS_24const_host_device_scalarIT6_EEPKT1_S9_PKS3_PKT3_PKT4_S6_PT5_21rocsparse_index_base_b.has_dyn_sized_stack, 0
	.set _ZN9rocsparseL21csrmvn_general_kernelILj256ELj8Eli21rocsparse_complex_numIdES2_S2_S2_EEvbT2_NS_24const_host_device_scalarIT6_EEPKT1_S9_PKS3_PKT3_PKT4_S6_PT5_21rocsparse_index_base_b.has_recursion, 0
	.set _ZN9rocsparseL21csrmvn_general_kernelILj256ELj8Eli21rocsparse_complex_numIdES2_S2_S2_EEvbT2_NS_24const_host_device_scalarIT6_EEPKT1_S9_PKS3_PKT3_PKT4_S6_PT5_21rocsparse_index_base_b.has_indirect_call, 0
	.section	.AMDGPU.csdata,"",@progbits
; Kernel info:
; codeLenInByte = 1044
; TotalNumSgprs: 26
; NumVgprs: 38
; ScratchSize: 0
; MemoryBound: 0
; FloatMode: 240
; IeeeMode: 1
; LDSByteSize: 0 bytes/workgroup (compile time only)
; SGPRBlocks: 0
; VGPRBlocks: 2
; NumSGPRsForWavesPerEU: 26
; NumVGPRsForWavesPerEU: 38
; NamedBarCnt: 0
; Occupancy: 16
; WaveLimiterHint : 1
; COMPUTE_PGM_RSRC2:SCRATCH_EN: 0
; COMPUTE_PGM_RSRC2:USER_SGPR: 2
; COMPUTE_PGM_RSRC2:TRAP_HANDLER: 0
; COMPUTE_PGM_RSRC2:TGID_X_EN: 1
; COMPUTE_PGM_RSRC2:TGID_Y_EN: 0
; COMPUTE_PGM_RSRC2:TGID_Z_EN: 0
; COMPUTE_PGM_RSRC2:TIDIG_COMP_CNT: 0
	.section	.text._ZN9rocsparseL21csrmvn_general_kernelILj256ELj16Eli21rocsparse_complex_numIdES2_S2_S2_EEvbT2_NS_24const_host_device_scalarIT6_EEPKT1_S9_PKS3_PKT3_PKT4_S6_PT5_21rocsparse_index_base_b,"axG",@progbits,_ZN9rocsparseL21csrmvn_general_kernelILj256ELj16Eli21rocsparse_complex_numIdES2_S2_S2_EEvbT2_NS_24const_host_device_scalarIT6_EEPKT1_S9_PKS3_PKT3_PKT4_S6_PT5_21rocsparse_index_base_b,comdat
	.globl	_ZN9rocsparseL21csrmvn_general_kernelILj256ELj16Eli21rocsparse_complex_numIdES2_S2_S2_EEvbT2_NS_24const_host_device_scalarIT6_EEPKT1_S9_PKS3_PKT3_PKT4_S6_PT5_21rocsparse_index_base_b ; -- Begin function _ZN9rocsparseL21csrmvn_general_kernelILj256ELj16Eli21rocsparse_complex_numIdES2_S2_S2_EEvbT2_NS_24const_host_device_scalarIT6_EEPKT1_S9_PKS3_PKT3_PKT4_S6_PT5_21rocsparse_index_base_b
	.p2align	8
	.type	_ZN9rocsparseL21csrmvn_general_kernelILj256ELj16Eli21rocsparse_complex_numIdES2_S2_S2_EEvbT2_NS_24const_host_device_scalarIT6_EEPKT1_S9_PKS3_PKT3_PKT4_S6_PT5_21rocsparse_index_base_b,@function
_ZN9rocsparseL21csrmvn_general_kernelILj256ELj16Eli21rocsparse_complex_numIdES2_S2_S2_EEvbT2_NS_24const_host_device_scalarIT6_EEPKT1_S9_PKS3_PKT3_PKT4_S6_PT5_21rocsparse_index_base_b: ; @_ZN9rocsparseL21csrmvn_general_kernelILj256ELj16Eli21rocsparse_complex_numIdES2_S2_S2_EEvbT2_NS_24const_host_device_scalarIT6_EEPKT1_S9_PKS3_PKT3_PKT4_S6_PT5_21rocsparse_index_base_b
; %bb.0:
	s_clause 0x1
	s_load_b64 s[12:13], s[0:1], 0x58
	s_load_b64 s[2:3], s[0:1], 0x8
	v_mov_b32_e32 v1, 0
	s_add_nc_u64 s[4:5], s[0:1], 8
	s_load_b64 s[6:7], s[0:1], 0x40
	s_wait_kmcnt 0x0
	s_bitcmp1_b32 s13, 0
	s_cselect_b32 s3, s5, s3
	s_cselect_b32 s2, s4, s2
	flat_load_b128 v[2:5], v1, s[2:3]
	s_wait_xcnt 0x0
	s_add_nc_u64 s[2:3], s[0:1], 64
	s_delay_alu instid0(SALU_CYCLE_1)
	s_cselect_b32 s3, s3, s7
	s_cselect_b32 s2, s2, s6
	flat_load_b128 v[6:9], v1, s[2:3]
	s_wait_loadcnt_dscnt 0x101
	v_cmp_eq_f64_e32 vcc_lo, 0, v[2:3]
	s_wait_xcnt 0x0
	v_cmp_eq_f64_e64 s2, 0, v[4:5]
	s_and_b32 s4, vcc_lo, s2
	s_mov_b32 s2, -1
	s_and_saveexec_b32 s3, s4
	s_cbranch_execz .LBB113_2
; %bb.1:
	s_wait_loadcnt_dscnt 0x0
	v_cmp_neq_f64_e32 vcc_lo, 1.0, v[6:7]
	v_cmp_neq_f64_e64 s2, 0, v[8:9]
	s_or_b32 s2, vcc_lo, s2
	s_delay_alu instid0(SALU_CYCLE_1)
	s_or_not1_b32 s2, s2, exec_lo
.LBB113_2:
	s_or_b32 exec_lo, exec_lo, s3
	s_and_saveexec_b32 s3, s2
	s_cbranch_execz .LBB113_14
; %bb.3:
	s_bfe_u32 s2, ttmp6, 0x4000c
	s_load_b64 s[14:15], s[0:1], 0x0
	s_add_co_i32 s2, s2, 1
	s_and_b32 s3, ttmp6, 15
	s_mul_i32 s2, ttmp9, s2
	s_getreg_b32 s4, hwreg(HW_REG_IB_STS2, 6, 4)
	s_add_co_i32 s3, s3, s2
	s_cmp_eq_u32 s4, 0
	s_mov_b32 s13, 0
	s_cselect_b32 s2, ttmp9, s3
	s_delay_alu instid0(SALU_CYCLE_1) | instskip(NEXT) | instid1(VALU_DEP_1)
	v_lshl_or_b32 v1, s2, 8, v0
	v_lshrrev_b32_e32 v14, 4, v1
	s_wait_kmcnt 0x0
	s_delay_alu instid0(VALU_DEP_1)
	v_cmp_gt_i32_e32 vcc_lo, s15, v14
	s_and_b32 exec_lo, exec_lo, vcc_lo
	s_cbranch_execz .LBB113_14
; %bb.4:
	v_dual_mov_b32 v11, 0 :: v_dual_bitop2_b32 v10, 15, v0 bitop3:0x40
	v_mbcnt_lo_u32_b32 v12, -1, 0
	s_wait_loadcnt_dscnt 0x0
	v_cmp_neq_f64_e64 s2, 0, v[6:7]
	v_cmp_neq_f64_e64 s3, 0, v[8:9]
	s_load_b32 s20, s[0:1], 0x60
	v_sub_nc_u64_e64 v[0:1], v[10:11], s[12:13]
	v_xor_b32_e32 v11, 4, v12
	v_xor_b32_e32 v13, 8, v12
	s_clause 0x2
	s_load_b256 s[4:11], s[0:1], 0x18
	s_load_b64 s[16:17], s[0:1], 0x50
	s_load_b64 s[18:19], s[0:1], 0x38
	s_mov_b32 s22, s12
	v_cmp_gt_i32_e32 vcc_lo, 32, v13
	v_dual_cndmask_b32 v13, v12, v13, vcc_lo :: v_dual_bitop2_b32 v15, 2, v12 bitop3:0x14
	v_cmp_gt_i32_e32 vcc_lo, 32, v11
	s_delay_alu instid0(VALU_DEP_2) | instskip(SKIP_1) | instid1(VALU_DEP_3)
	v_lshlrev_b32_e32 v24, 2, v13
	s_wait_xcnt 0x0
	v_cmp_gt_i32_e64 s0, 32, v15
	v_dual_cndmask_b32 v11, v12, v11, vcc_lo :: v_dual_bitop2_b32 v16, 1, v12 bitop3:0x14
	s_wait_kmcnt 0x0
	s_lshl_b32 s20, s20, 4
	s_bitcmp1_b32 s14, 0
	v_cndmask_b32_e64 v15, v12, v15, s0
	v_cmp_gt_i32_e64 s0, 32, v16
	s_cselect_b32 vcc_lo, -1, 0
	s_ashr_i32 s23, s12, 31
	v_lshlrev_b32_e32 v25, 2, v11
	s_lshl_b64 s[22:23], s[22:23], 4
	v_dual_cndmask_b32 v12, v12, v16, s0 :: v_dual_lshlrev_b32 v26, 2, v15
	v_cmp_eq_u32_e64 s0, 15, v10
	s_sub_nc_u64 s[18:19], s[18:19], s[22:23]
	s_or_b32 s14, s2, s3
	v_lshlrev_b32_e32 v27, 2, v12
	s_add_nc_u64 s[2:3], s[10:11], 8
	s_mov_b32 s10, s13
	s_branch .LBB113_7
.LBB113_5:                              ;   in Loop: Header=BB113_7 Depth=1
	s_wait_xcnt 0x0
	s_or_b32 exec_lo, exec_lo, s11
	global_store_b128 v[16:17], v[10:13], off
.LBB113_6:                              ;   in Loop: Header=BB113_7 Depth=1
	s_wait_xcnt 0x0
	s_or_b32 exec_lo, exec_lo, s1
	v_add_nc_u32_e32 v14, s20, v14
	s_delay_alu instid0(VALU_DEP_1) | instskip(SKIP_1) | instid1(SALU_CYCLE_1)
	v_cmp_le_i32_e64 s1, s15, v14
	s_or_b32 s10, s1, s10
	s_and_not1_b32 exec_lo, exec_lo, s10
	s_cbranch_execz .LBB113_14
.LBB113_7:                              ; =>This Loop Header: Depth=1
                                        ;     Child Loop BB113_9 Depth 2
	s_clause 0x1
	global_load_b64 v[10:11], v14, s[6:7] scale_offset
	global_load_b64 v[12:13], v14, s[4:5] scale_offset
	s_mov_b32 s11, exec_lo
	s_wait_loadcnt_dscnt 0x100
	v_sub_nc_u64_e64 v[16:17], v[10:11], s[12:13]
	s_wait_loadcnt 0x0
	v_add_nc_u64_e32 v[18:19], v[12:13], v[0:1]
	v_mov_b64_e32 v[10:11], 0
	v_mov_b64_e32 v[12:13], 0
	s_wait_xcnt 0x0
	s_delay_alu instid0(VALU_DEP_3)
	v_cmpx_lt_i64_e64 v[18:19], v[16:17]
	s_cbranch_execz .LBB113_11
; %bb.8:                                ;   in Loop: Header=BB113_7 Depth=1
	v_mov_b64_e32 v[10:11], 0
	v_mov_b64_e32 v[12:13], 0
	v_lshl_add_u64 v[20:21], v[18:19], 4, s[2:3]
	v_lshl_add_u64 v[22:23], v[18:19], 2, s[8:9]
	s_mov_b32 s21, 0
.LBB113_9:                              ;   Parent Loop BB113_7 Depth=1
                                        ; =>  This Inner Loop Header: Depth=2
	global_load_b32 v15, v[22:23], off
	global_load_b128 v[28:31], v[20:21], off offset:-8
	v_add_nc_u64_e32 v[18:19], 16, v[18:19]
	s_wait_xcnt 0x0
	v_add_nc_u64_e32 v[20:21], 0x100, v[20:21]
	v_add_nc_u64_e32 v[22:23], 64, v[22:23]
	s_delay_alu instid0(VALU_DEP_3)
	v_cmp_ge_i64_e64 s1, v[18:19], v[16:17]
	s_or_b32 s21, s1, s21
	s_wait_loadcnt 0x1
	global_load_b128 v[32:35], v15, s[18:19] scale_offset
	s_wait_loadcnt 0x1
	s_wait_xcnt 0x0
	v_xor_b32_e32 v15, 0x80000000, v31
	s_delay_alu instid0(VALU_DEP_1) | instskip(NEXT) | instid1(VALU_DEP_1)
	v_cndmask_b32_e32 v31, v31, v15, vcc_lo
	v_mul_f64_e64 v[36:37], v[30:31], -v[4:5]
	v_mul_f64_e32 v[30:31], v[2:3], v[30:31]
	s_delay_alu instid0(VALU_DEP_2) | instskip(NEXT) | instid1(VALU_DEP_2)
	v_fmac_f64_e32 v[36:37], v[2:3], v[28:29]
	v_fmac_f64_e32 v[30:31], v[4:5], v[28:29]
	s_wait_loadcnt 0x0
	s_delay_alu instid0(VALU_DEP_2) | instskip(NEXT) | instid1(VALU_DEP_2)
	v_fmac_f64_e32 v[12:13], v[36:37], v[32:33]
	v_fmac_f64_e32 v[10:11], v[30:31], v[32:33]
	s_delay_alu instid0(VALU_DEP_2) | instskip(NEXT) | instid1(VALU_DEP_2)
	v_fma_f64 v[12:13], -v[30:31], v[34:35], v[12:13]
	v_fmac_f64_e32 v[10:11], v[36:37], v[34:35]
	s_and_not1_b32 exec_lo, exec_lo, s21
	s_cbranch_execnz .LBB113_9
; %bb.10:                               ;   in Loop: Header=BB113_7 Depth=1
	s_or_b32 exec_lo, exec_lo, s21
.LBB113_11:                             ;   in Loop: Header=BB113_7 Depth=1
	s_delay_alu instid0(SALU_CYCLE_1)
	s_or_b32 exec_lo, exec_lo, s11
	ds_bpermute_b32 v16, v24, v12
	ds_bpermute_b32 v17, v24, v13
	ds_bpermute_b32 v18, v24, v10
	ds_bpermute_b32 v19, v24, v11
	s_wait_dscnt 0x2
	v_dual_add_f64 v[12:13], v[12:13], v[16:17] :: v_dual_ashrrev_i32 v15, 31, v14
	s_wait_dscnt 0x0
	v_add_f64_e32 v[10:11], v[10:11], v[18:19]
	ds_bpermute_b32 v16, v25, v12
	ds_bpermute_b32 v17, v25, v13
	;; [unrolled: 1-line block ×4, first 2 shown]
	s_wait_dscnt 0x2
	v_add_f64_e32 v[12:13], v[12:13], v[16:17]
	s_wait_dscnt 0x0
	v_add_f64_e32 v[16:17], v[10:11], v[18:19]
	ds_bpermute_b32 v10, v26, v12
	ds_bpermute_b32 v11, v26, v13
	;; [unrolled: 1-line block ×4, first 2 shown]
	s_wait_dscnt 0x2
	v_add_f64_e32 v[10:11], v[12:13], v[10:11]
	s_wait_dscnt 0x0
	v_add_f64_e32 v[12:13], v[16:17], v[18:19]
	ds_bpermute_b32 v18, v27, v10
	ds_bpermute_b32 v19, v27, v11
	;; [unrolled: 1-line block ×4, first 2 shown]
	s_and_saveexec_b32 s1, s0
	s_cbranch_execz .LBB113_6
; %bb.12:                               ;   in Loop: Header=BB113_7 Depth=1
	s_wait_dscnt 0x2
	v_add_f64_e32 v[10:11], v[10:11], v[18:19]
	s_wait_dscnt 0x0
	v_add_f64_e32 v[12:13], v[12:13], v[16:17]
	v_lshl_add_u64 v[16:17], v[14:15], 4, s[16:17]
	s_and_saveexec_b32 s11, s14
	s_cbranch_execz .LBB113_5
; %bb.13:                               ;   in Loop: Header=BB113_7 Depth=1
	global_load_b128 v[18:21], v[16:17], off
	s_wait_loadcnt 0x0
	v_fmac_f64_e32 v[10:11], v[6:7], v[18:19]
	v_fmac_f64_e32 v[12:13], v[8:9], v[18:19]
	s_delay_alu instid0(VALU_DEP_2) | instskip(NEXT) | instid1(VALU_DEP_2)
	v_fma_f64 v[10:11], -v[8:9], v[20:21], v[10:11]
	v_fmac_f64_e32 v[12:13], v[6:7], v[20:21]
	s_branch .LBB113_5
.LBB113_14:
	s_endpgm
	.section	.rodata,"a",@progbits
	.p2align	6, 0x0
	.amdhsa_kernel _ZN9rocsparseL21csrmvn_general_kernelILj256ELj16Eli21rocsparse_complex_numIdES2_S2_S2_EEvbT2_NS_24const_host_device_scalarIT6_EEPKT1_S9_PKS3_PKT3_PKT4_S6_PT5_21rocsparse_index_base_b
		.amdhsa_group_segment_fixed_size 0
		.amdhsa_private_segment_fixed_size 0
		.amdhsa_kernarg_size 352
		.amdhsa_user_sgpr_count 2
		.amdhsa_user_sgpr_dispatch_ptr 0
		.amdhsa_user_sgpr_queue_ptr 0
		.amdhsa_user_sgpr_kernarg_segment_ptr 1
		.amdhsa_user_sgpr_dispatch_id 0
		.amdhsa_user_sgpr_kernarg_preload_length 0
		.amdhsa_user_sgpr_kernarg_preload_offset 0
		.amdhsa_user_sgpr_private_segment_size 0
		.amdhsa_wavefront_size32 1
		.amdhsa_uses_dynamic_stack 0
		.amdhsa_enable_private_segment 0
		.amdhsa_system_sgpr_workgroup_id_x 1
		.amdhsa_system_sgpr_workgroup_id_y 0
		.amdhsa_system_sgpr_workgroup_id_z 0
		.amdhsa_system_sgpr_workgroup_info 0
		.amdhsa_system_vgpr_workitem_id 0
		.amdhsa_next_free_vgpr 38
		.amdhsa_next_free_sgpr 24
		.amdhsa_named_barrier_count 0
		.amdhsa_reserve_vcc 1
		.amdhsa_float_round_mode_32 0
		.amdhsa_float_round_mode_16_64 0
		.amdhsa_float_denorm_mode_32 3
		.amdhsa_float_denorm_mode_16_64 3
		.amdhsa_fp16_overflow 0
		.amdhsa_memory_ordered 1
		.amdhsa_forward_progress 1
		.amdhsa_inst_pref_size 9
		.amdhsa_round_robin_scheduling 0
		.amdhsa_exception_fp_ieee_invalid_op 0
		.amdhsa_exception_fp_denorm_src 0
		.amdhsa_exception_fp_ieee_div_zero 0
		.amdhsa_exception_fp_ieee_overflow 0
		.amdhsa_exception_fp_ieee_underflow 0
		.amdhsa_exception_fp_ieee_inexact 0
		.amdhsa_exception_int_div_zero 0
	.end_amdhsa_kernel
	.section	.text._ZN9rocsparseL21csrmvn_general_kernelILj256ELj16Eli21rocsparse_complex_numIdES2_S2_S2_EEvbT2_NS_24const_host_device_scalarIT6_EEPKT1_S9_PKS3_PKT3_PKT4_S6_PT5_21rocsparse_index_base_b,"axG",@progbits,_ZN9rocsparseL21csrmvn_general_kernelILj256ELj16Eli21rocsparse_complex_numIdES2_S2_S2_EEvbT2_NS_24const_host_device_scalarIT6_EEPKT1_S9_PKS3_PKT3_PKT4_S6_PT5_21rocsparse_index_base_b,comdat
.Lfunc_end113:
	.size	_ZN9rocsparseL21csrmvn_general_kernelILj256ELj16Eli21rocsparse_complex_numIdES2_S2_S2_EEvbT2_NS_24const_host_device_scalarIT6_EEPKT1_S9_PKS3_PKT3_PKT4_S6_PT5_21rocsparse_index_base_b, .Lfunc_end113-_ZN9rocsparseL21csrmvn_general_kernelILj256ELj16Eli21rocsparse_complex_numIdES2_S2_S2_EEvbT2_NS_24const_host_device_scalarIT6_EEPKT1_S9_PKS3_PKT3_PKT4_S6_PT5_21rocsparse_index_base_b
                                        ; -- End function
	.set _ZN9rocsparseL21csrmvn_general_kernelILj256ELj16Eli21rocsparse_complex_numIdES2_S2_S2_EEvbT2_NS_24const_host_device_scalarIT6_EEPKT1_S9_PKS3_PKT3_PKT4_S6_PT5_21rocsparse_index_base_b.num_vgpr, 38
	.set _ZN9rocsparseL21csrmvn_general_kernelILj256ELj16Eli21rocsparse_complex_numIdES2_S2_S2_EEvbT2_NS_24const_host_device_scalarIT6_EEPKT1_S9_PKS3_PKT3_PKT4_S6_PT5_21rocsparse_index_base_b.num_agpr, 0
	.set _ZN9rocsparseL21csrmvn_general_kernelILj256ELj16Eli21rocsparse_complex_numIdES2_S2_S2_EEvbT2_NS_24const_host_device_scalarIT6_EEPKT1_S9_PKS3_PKT3_PKT4_S6_PT5_21rocsparse_index_base_b.numbered_sgpr, 24
	.set _ZN9rocsparseL21csrmvn_general_kernelILj256ELj16Eli21rocsparse_complex_numIdES2_S2_S2_EEvbT2_NS_24const_host_device_scalarIT6_EEPKT1_S9_PKS3_PKT3_PKT4_S6_PT5_21rocsparse_index_base_b.num_named_barrier, 0
	.set _ZN9rocsparseL21csrmvn_general_kernelILj256ELj16Eli21rocsparse_complex_numIdES2_S2_S2_EEvbT2_NS_24const_host_device_scalarIT6_EEPKT1_S9_PKS3_PKT3_PKT4_S6_PT5_21rocsparse_index_base_b.private_seg_size, 0
	.set _ZN9rocsparseL21csrmvn_general_kernelILj256ELj16Eli21rocsparse_complex_numIdES2_S2_S2_EEvbT2_NS_24const_host_device_scalarIT6_EEPKT1_S9_PKS3_PKT3_PKT4_S6_PT5_21rocsparse_index_base_b.uses_vcc, 1
	.set _ZN9rocsparseL21csrmvn_general_kernelILj256ELj16Eli21rocsparse_complex_numIdES2_S2_S2_EEvbT2_NS_24const_host_device_scalarIT6_EEPKT1_S9_PKS3_PKT3_PKT4_S6_PT5_21rocsparse_index_base_b.uses_flat_scratch, 0
	.set _ZN9rocsparseL21csrmvn_general_kernelILj256ELj16Eli21rocsparse_complex_numIdES2_S2_S2_EEvbT2_NS_24const_host_device_scalarIT6_EEPKT1_S9_PKS3_PKT3_PKT4_S6_PT5_21rocsparse_index_base_b.has_dyn_sized_stack, 0
	.set _ZN9rocsparseL21csrmvn_general_kernelILj256ELj16Eli21rocsparse_complex_numIdES2_S2_S2_EEvbT2_NS_24const_host_device_scalarIT6_EEPKT1_S9_PKS3_PKT3_PKT4_S6_PT5_21rocsparse_index_base_b.has_recursion, 0
	.set _ZN9rocsparseL21csrmvn_general_kernelILj256ELj16Eli21rocsparse_complex_numIdES2_S2_S2_EEvbT2_NS_24const_host_device_scalarIT6_EEPKT1_S9_PKS3_PKT3_PKT4_S6_PT5_21rocsparse_index_base_b.has_indirect_call, 0
	.section	.AMDGPU.csdata,"",@progbits
; Kernel info:
; codeLenInByte = 1104
; TotalNumSgprs: 26
; NumVgprs: 38
; ScratchSize: 0
; MemoryBound: 0
; FloatMode: 240
; IeeeMode: 1
; LDSByteSize: 0 bytes/workgroup (compile time only)
; SGPRBlocks: 0
; VGPRBlocks: 2
; NumSGPRsForWavesPerEU: 26
; NumVGPRsForWavesPerEU: 38
; NamedBarCnt: 0
; Occupancy: 16
; WaveLimiterHint : 1
; COMPUTE_PGM_RSRC2:SCRATCH_EN: 0
; COMPUTE_PGM_RSRC2:USER_SGPR: 2
; COMPUTE_PGM_RSRC2:TRAP_HANDLER: 0
; COMPUTE_PGM_RSRC2:TGID_X_EN: 1
; COMPUTE_PGM_RSRC2:TGID_Y_EN: 0
; COMPUTE_PGM_RSRC2:TGID_Z_EN: 0
; COMPUTE_PGM_RSRC2:TIDIG_COMP_CNT: 0
	.section	.text._ZN9rocsparseL21csrmvn_general_kernelILj256ELj32Eli21rocsparse_complex_numIdES2_S2_S2_EEvbT2_NS_24const_host_device_scalarIT6_EEPKT1_S9_PKS3_PKT3_PKT4_S6_PT5_21rocsparse_index_base_b,"axG",@progbits,_ZN9rocsparseL21csrmvn_general_kernelILj256ELj32Eli21rocsparse_complex_numIdES2_S2_S2_EEvbT2_NS_24const_host_device_scalarIT6_EEPKT1_S9_PKS3_PKT3_PKT4_S6_PT5_21rocsparse_index_base_b,comdat
	.globl	_ZN9rocsparseL21csrmvn_general_kernelILj256ELj32Eli21rocsparse_complex_numIdES2_S2_S2_EEvbT2_NS_24const_host_device_scalarIT6_EEPKT1_S9_PKS3_PKT3_PKT4_S6_PT5_21rocsparse_index_base_b ; -- Begin function _ZN9rocsparseL21csrmvn_general_kernelILj256ELj32Eli21rocsparse_complex_numIdES2_S2_S2_EEvbT2_NS_24const_host_device_scalarIT6_EEPKT1_S9_PKS3_PKT3_PKT4_S6_PT5_21rocsparse_index_base_b
	.p2align	8
	.type	_ZN9rocsparseL21csrmvn_general_kernelILj256ELj32Eli21rocsparse_complex_numIdES2_S2_S2_EEvbT2_NS_24const_host_device_scalarIT6_EEPKT1_S9_PKS3_PKT3_PKT4_S6_PT5_21rocsparse_index_base_b,@function
_ZN9rocsparseL21csrmvn_general_kernelILj256ELj32Eli21rocsparse_complex_numIdES2_S2_S2_EEvbT2_NS_24const_host_device_scalarIT6_EEPKT1_S9_PKS3_PKT3_PKT4_S6_PT5_21rocsparse_index_base_b: ; @_ZN9rocsparseL21csrmvn_general_kernelILj256ELj32Eli21rocsparse_complex_numIdES2_S2_S2_EEvbT2_NS_24const_host_device_scalarIT6_EEPKT1_S9_PKS3_PKT3_PKT4_S6_PT5_21rocsparse_index_base_b
; %bb.0:
	s_clause 0x1
	s_load_b64 s[12:13], s[0:1], 0x58
	s_load_b64 s[2:3], s[0:1], 0x8
	v_mov_b32_e32 v1, 0
	s_add_nc_u64 s[4:5], s[0:1], 8
	s_load_b64 s[6:7], s[0:1], 0x40
	s_wait_kmcnt 0x0
	s_bitcmp1_b32 s13, 0
	s_cselect_b32 s3, s5, s3
	s_cselect_b32 s2, s4, s2
	flat_load_b128 v[2:5], v1, s[2:3]
	s_wait_xcnt 0x0
	s_add_nc_u64 s[2:3], s[0:1], 64
	s_delay_alu instid0(SALU_CYCLE_1)
	s_cselect_b32 s3, s3, s7
	s_cselect_b32 s2, s2, s6
	flat_load_b128 v[6:9], v1, s[2:3]
	s_wait_loadcnt_dscnt 0x101
	v_cmp_eq_f64_e32 vcc_lo, 0, v[2:3]
	s_wait_xcnt 0x0
	v_cmp_eq_f64_e64 s2, 0, v[4:5]
	s_and_b32 s4, vcc_lo, s2
	s_mov_b32 s2, -1
	s_and_saveexec_b32 s3, s4
	s_cbranch_execz .LBB114_2
; %bb.1:
	s_wait_loadcnt_dscnt 0x0
	v_cmp_neq_f64_e32 vcc_lo, 1.0, v[6:7]
	v_cmp_neq_f64_e64 s2, 0, v[8:9]
	s_or_b32 s2, vcc_lo, s2
	s_delay_alu instid0(SALU_CYCLE_1)
	s_or_not1_b32 s2, s2, exec_lo
.LBB114_2:
	s_or_b32 exec_lo, exec_lo, s3
	s_and_saveexec_b32 s3, s2
	s_cbranch_execz .LBB114_14
; %bb.3:
	s_bfe_u32 s2, ttmp6, 0x4000c
	s_load_b64 s[14:15], s[0:1], 0x0
	s_add_co_i32 s2, s2, 1
	s_and_b32 s3, ttmp6, 15
	s_mul_i32 s2, ttmp9, s2
	s_getreg_b32 s4, hwreg(HW_REG_IB_STS2, 6, 4)
	s_add_co_i32 s3, s3, s2
	s_cmp_eq_u32 s4, 0
	s_mov_b32 s13, 0
	s_cselect_b32 s2, ttmp9, s3
	s_delay_alu instid0(SALU_CYCLE_1) | instskip(NEXT) | instid1(VALU_DEP_1)
	v_lshl_or_b32 v1, s2, 8, v0
	v_lshrrev_b32_e32 v14, 5, v1
	s_wait_kmcnt 0x0
	s_delay_alu instid0(VALU_DEP_1)
	v_cmp_gt_i32_e32 vcc_lo, s15, v14
	s_and_b32 exec_lo, exec_lo, vcc_lo
	s_cbranch_execz .LBB114_14
; %bb.4:
	v_mbcnt_lo_u32_b32 v12, -1, 0
	v_dual_mov_b32 v11, 0 :: v_dual_bitop2_b32 v10, 31, v0 bitop3:0x40
	s_clause 0x3
	s_load_b32 s20, s[0:1], 0x60
	s_load_b64 s[16:17], s[0:1], 0x50
	s_load_b64 s[18:19], s[0:1], 0x38
	s_load_b256 s[4:11], s[0:1], 0x18
	v_xor_b32_e32 v13, 8, v12
	s_wait_loadcnt_dscnt 0x0
	v_cmp_neq_f64_e64 s2, 0, v[6:7]
	v_sub_nc_u64_e64 v[0:1], v[10:11], s[12:13]
	v_cmp_neq_f64_e64 s3, 0, v[8:9]
	s_mov_b32 s22, s12
	s_wait_xcnt 0x0
	v_cmp_gt_i32_e64 s0, 32, v13
	s_delay_alu instid0(VALU_DEP_1) | instskip(NEXT) | instid1(VALU_DEP_1)
	v_dual_cndmask_b32 v13, v12, v13, s0 :: v_dual_bitop2_b32 v11, 16, v12 bitop3:0x14
	v_cmp_gt_i32_e32 vcc_lo, 32, v11
	s_delay_alu instid0(VALU_DEP_2)
	v_dual_lshlrev_b32 v25, 2, v13 :: v_dual_cndmask_b32 v11, v12, v11, vcc_lo
	v_xor_b32_e32 v17, 1, v12
	s_wait_kmcnt 0x0
	s_lshl_b32 s20, s20, 3
	s_bitcmp1_b32 s14, 0
	v_dual_lshlrev_b32 v24, 2, v11 :: v_dual_bitop2_b32 v15, 4, v12 bitop3:0x14
	s_cselect_b32 vcc_lo, -1, 0
	s_ashr_i32 s23, s12, 31
	s_delay_alu instid0(SALU_CYCLE_1) | instskip(NEXT) | instid1(VALU_DEP_1)
	s_lshl_b64 s[22:23], s[22:23], 4
	v_cmp_gt_i32_e64 s0, 32, v15
	v_xor_b32_e32 v16, 2, v12
	s_sub_nc_u64 s[18:19], s[18:19], s[22:23]
	v_cndmask_b32_e64 v15, v12, v15, s0
	s_delay_alu instid0(VALU_DEP_2)
	v_cmp_gt_i32_e64 s0, 32, v16
	s_or_b32 s14, s2, s3
	s_add_nc_u64 s[2:3], s[10:11], 8
	s_mov_b32 s10, s13
	v_cndmask_b32_e64 v16, v12, v16, s0
	v_cmp_gt_i32_e64 s0, 32, v17
	s_delay_alu instid0(VALU_DEP_2) | instskip(NEXT) | instid1(VALU_DEP_2)
	v_dual_lshlrev_b32 v26, 2, v15 :: v_dual_lshlrev_b32 v27, 2, v16
	v_cndmask_b32_e64 v12, v12, v17, s0
	v_cmp_eq_u32_e64 s0, 31, v10
	s_delay_alu instid0(VALU_DEP_2)
	v_lshlrev_b32_e32 v28, 2, v12
	s_branch .LBB114_7
.LBB114_5:                              ;   in Loop: Header=BB114_7 Depth=1
	s_wait_xcnt 0x0
	s_or_b32 exec_lo, exec_lo, s11
	global_store_b128 v[16:17], v[10:13], off
.LBB114_6:                              ;   in Loop: Header=BB114_7 Depth=1
	s_wait_xcnt 0x0
	s_or_b32 exec_lo, exec_lo, s1
	v_add_nc_u32_e32 v14, s20, v14
	s_delay_alu instid0(VALU_DEP_1) | instskip(SKIP_1) | instid1(SALU_CYCLE_1)
	v_cmp_le_i32_e64 s1, s15, v14
	s_or_b32 s10, s1, s10
	s_and_not1_b32 exec_lo, exec_lo, s10
	s_cbranch_execz .LBB114_14
.LBB114_7:                              ; =>This Loop Header: Depth=1
                                        ;     Child Loop BB114_9 Depth 2
	s_clause 0x1
	global_load_b64 v[10:11], v14, s[6:7] scale_offset
	global_load_b64 v[12:13], v14, s[4:5] scale_offset
	s_mov_b32 s11, exec_lo
	s_wait_loadcnt_dscnt 0x100
	v_sub_nc_u64_e64 v[16:17], v[10:11], s[12:13]
	s_wait_loadcnt 0x0
	v_add_nc_u64_e32 v[18:19], v[12:13], v[0:1]
	v_mov_b64_e32 v[10:11], 0
	v_mov_b64_e32 v[12:13], 0
	s_wait_xcnt 0x0
	s_delay_alu instid0(VALU_DEP_3)
	v_cmpx_lt_i64_e64 v[18:19], v[16:17]
	s_cbranch_execz .LBB114_11
; %bb.8:                                ;   in Loop: Header=BB114_7 Depth=1
	v_mov_b64_e32 v[10:11], 0
	v_mov_b64_e32 v[12:13], 0
	v_lshl_add_u64 v[20:21], v[18:19], 4, s[2:3]
	v_lshl_add_u64 v[22:23], v[18:19], 2, s[8:9]
	s_mov_b32 s21, 0
.LBB114_9:                              ;   Parent Loop BB114_7 Depth=1
                                        ; =>  This Inner Loop Header: Depth=2
	global_load_b32 v15, v[22:23], off
	global_load_b128 v[30:33], v[20:21], off offset:-8
	v_add_nc_u64_e32 v[18:19], 32, v[18:19]
	s_wait_xcnt 0x0
	v_add_nc_u64_e32 v[20:21], 0x200, v[20:21]
	v_add_nc_u64_e32 v[22:23], 0x80, v[22:23]
	s_delay_alu instid0(VALU_DEP_3)
	v_cmp_ge_i64_e64 s1, v[18:19], v[16:17]
	s_or_b32 s21, s1, s21
	s_wait_loadcnt 0x1
	global_load_b128 v[34:37], v15, s[18:19] scale_offset
	s_wait_loadcnt 0x1
	s_wait_xcnt 0x0
	v_xor_b32_e32 v15, 0x80000000, v33
	s_delay_alu instid0(VALU_DEP_1) | instskip(NEXT) | instid1(VALU_DEP_1)
	v_cndmask_b32_e32 v33, v33, v15, vcc_lo
	v_mul_f64_e64 v[38:39], v[32:33], -v[4:5]
	v_mul_f64_e32 v[32:33], v[2:3], v[32:33]
	s_delay_alu instid0(VALU_DEP_2) | instskip(NEXT) | instid1(VALU_DEP_2)
	v_fmac_f64_e32 v[38:39], v[2:3], v[30:31]
	v_fmac_f64_e32 v[32:33], v[4:5], v[30:31]
	s_wait_loadcnt 0x0
	s_delay_alu instid0(VALU_DEP_2) | instskip(NEXT) | instid1(VALU_DEP_2)
	v_fmac_f64_e32 v[12:13], v[38:39], v[34:35]
	v_fmac_f64_e32 v[10:11], v[32:33], v[34:35]
	s_delay_alu instid0(VALU_DEP_2) | instskip(NEXT) | instid1(VALU_DEP_2)
	v_fma_f64 v[12:13], -v[32:33], v[36:37], v[12:13]
	v_fmac_f64_e32 v[10:11], v[38:39], v[36:37]
	s_and_not1_b32 exec_lo, exec_lo, s21
	s_cbranch_execnz .LBB114_9
; %bb.10:                               ;   in Loop: Header=BB114_7 Depth=1
	s_or_b32 exec_lo, exec_lo, s21
.LBB114_11:                             ;   in Loop: Header=BB114_7 Depth=1
	s_delay_alu instid0(SALU_CYCLE_1)
	s_or_b32 exec_lo, exec_lo, s11
	ds_bpermute_b32 v16, v24, v12
	ds_bpermute_b32 v17, v24, v13
	;; [unrolled: 1-line block ×4, first 2 shown]
	s_wait_dscnt 0x2
	v_dual_add_f64 v[12:13], v[12:13], v[16:17] :: v_dual_ashrrev_i32 v15, 31, v14
	s_wait_dscnt 0x0
	v_add_f64_e32 v[10:11], v[10:11], v[18:19]
	ds_bpermute_b32 v16, v25, v12
	ds_bpermute_b32 v17, v25, v13
	ds_bpermute_b32 v18, v25, v10
	ds_bpermute_b32 v19, v25, v11
	s_wait_dscnt 0x2
	v_add_f64_e32 v[12:13], v[12:13], v[16:17]
	s_wait_dscnt 0x0
	v_add_f64_e32 v[10:11], v[10:11], v[18:19]
	ds_bpermute_b32 v16, v26, v12
	ds_bpermute_b32 v17, v26, v13
	ds_bpermute_b32 v18, v26, v10
	ds_bpermute_b32 v19, v26, v11
	s_wait_dscnt 0x2
	v_add_f64_e32 v[12:13], v[12:13], v[16:17]
	;; [unrolled: 8-line block ×3, first 2 shown]
	s_wait_dscnt 0x0
	v_add_f64_e32 v[12:13], v[16:17], v[18:19]
	ds_bpermute_b32 v18, v28, v10
	ds_bpermute_b32 v19, v28, v11
	;; [unrolled: 1-line block ×4, first 2 shown]
	s_and_saveexec_b32 s1, s0
	s_cbranch_execz .LBB114_6
; %bb.12:                               ;   in Loop: Header=BB114_7 Depth=1
	s_wait_dscnt 0x2
	v_add_f64_e32 v[10:11], v[10:11], v[18:19]
	s_wait_dscnt 0x0
	v_add_f64_e32 v[12:13], v[12:13], v[16:17]
	v_lshl_add_u64 v[16:17], v[14:15], 4, s[16:17]
	s_and_saveexec_b32 s11, s14
	s_cbranch_execz .LBB114_5
; %bb.13:                               ;   in Loop: Header=BB114_7 Depth=1
	global_load_b128 v[18:21], v[16:17], off
	s_wait_loadcnt 0x0
	v_fmac_f64_e32 v[10:11], v[6:7], v[18:19]
	v_fmac_f64_e32 v[12:13], v[8:9], v[18:19]
	s_delay_alu instid0(VALU_DEP_2) | instskip(NEXT) | instid1(VALU_DEP_2)
	v_fma_f64 v[10:11], -v[8:9], v[20:21], v[10:11]
	v_fmac_f64_e32 v[12:13], v[6:7], v[20:21]
	s_branch .LBB114_5
.LBB114_14:
	s_endpgm
	.section	.rodata,"a",@progbits
	.p2align	6, 0x0
	.amdhsa_kernel _ZN9rocsparseL21csrmvn_general_kernelILj256ELj32Eli21rocsparse_complex_numIdES2_S2_S2_EEvbT2_NS_24const_host_device_scalarIT6_EEPKT1_S9_PKS3_PKT3_PKT4_S6_PT5_21rocsparse_index_base_b
		.amdhsa_group_segment_fixed_size 0
		.amdhsa_private_segment_fixed_size 0
		.amdhsa_kernarg_size 352
		.amdhsa_user_sgpr_count 2
		.amdhsa_user_sgpr_dispatch_ptr 0
		.amdhsa_user_sgpr_queue_ptr 0
		.amdhsa_user_sgpr_kernarg_segment_ptr 1
		.amdhsa_user_sgpr_dispatch_id 0
		.amdhsa_user_sgpr_kernarg_preload_length 0
		.amdhsa_user_sgpr_kernarg_preload_offset 0
		.amdhsa_user_sgpr_private_segment_size 0
		.amdhsa_wavefront_size32 1
		.amdhsa_uses_dynamic_stack 0
		.amdhsa_enable_private_segment 0
		.amdhsa_system_sgpr_workgroup_id_x 1
		.amdhsa_system_sgpr_workgroup_id_y 0
		.amdhsa_system_sgpr_workgroup_id_z 0
		.amdhsa_system_sgpr_workgroup_info 0
		.amdhsa_system_vgpr_workitem_id 0
		.amdhsa_next_free_vgpr 40
		.amdhsa_next_free_sgpr 24
		.amdhsa_named_barrier_count 0
		.amdhsa_reserve_vcc 1
		.amdhsa_float_round_mode_32 0
		.amdhsa_float_round_mode_16_64 0
		.amdhsa_float_denorm_mode_32 3
		.amdhsa_float_denorm_mode_16_64 3
		.amdhsa_fp16_overflow 0
		.amdhsa_memory_ordered 1
		.amdhsa_forward_progress 1
		.amdhsa_inst_pref_size 10
		.amdhsa_round_robin_scheduling 0
		.amdhsa_exception_fp_ieee_invalid_op 0
		.amdhsa_exception_fp_denorm_src 0
		.amdhsa_exception_fp_ieee_div_zero 0
		.amdhsa_exception_fp_ieee_overflow 0
		.amdhsa_exception_fp_ieee_underflow 0
		.amdhsa_exception_fp_ieee_inexact 0
		.amdhsa_exception_int_div_zero 0
	.end_amdhsa_kernel
	.section	.text._ZN9rocsparseL21csrmvn_general_kernelILj256ELj32Eli21rocsparse_complex_numIdES2_S2_S2_EEvbT2_NS_24const_host_device_scalarIT6_EEPKT1_S9_PKS3_PKT3_PKT4_S6_PT5_21rocsparse_index_base_b,"axG",@progbits,_ZN9rocsparseL21csrmvn_general_kernelILj256ELj32Eli21rocsparse_complex_numIdES2_S2_S2_EEvbT2_NS_24const_host_device_scalarIT6_EEPKT1_S9_PKS3_PKT3_PKT4_S6_PT5_21rocsparse_index_base_b,comdat
.Lfunc_end114:
	.size	_ZN9rocsparseL21csrmvn_general_kernelILj256ELj32Eli21rocsparse_complex_numIdES2_S2_S2_EEvbT2_NS_24const_host_device_scalarIT6_EEPKT1_S9_PKS3_PKT3_PKT4_S6_PT5_21rocsparse_index_base_b, .Lfunc_end114-_ZN9rocsparseL21csrmvn_general_kernelILj256ELj32Eli21rocsparse_complex_numIdES2_S2_S2_EEvbT2_NS_24const_host_device_scalarIT6_EEPKT1_S9_PKS3_PKT3_PKT4_S6_PT5_21rocsparse_index_base_b
                                        ; -- End function
	.set _ZN9rocsparseL21csrmvn_general_kernelILj256ELj32Eli21rocsparse_complex_numIdES2_S2_S2_EEvbT2_NS_24const_host_device_scalarIT6_EEPKT1_S9_PKS3_PKT3_PKT4_S6_PT5_21rocsparse_index_base_b.num_vgpr, 40
	.set _ZN9rocsparseL21csrmvn_general_kernelILj256ELj32Eli21rocsparse_complex_numIdES2_S2_S2_EEvbT2_NS_24const_host_device_scalarIT6_EEPKT1_S9_PKS3_PKT3_PKT4_S6_PT5_21rocsparse_index_base_b.num_agpr, 0
	.set _ZN9rocsparseL21csrmvn_general_kernelILj256ELj32Eli21rocsparse_complex_numIdES2_S2_S2_EEvbT2_NS_24const_host_device_scalarIT6_EEPKT1_S9_PKS3_PKT3_PKT4_S6_PT5_21rocsparse_index_base_b.numbered_sgpr, 24
	.set _ZN9rocsparseL21csrmvn_general_kernelILj256ELj32Eli21rocsparse_complex_numIdES2_S2_S2_EEvbT2_NS_24const_host_device_scalarIT6_EEPKT1_S9_PKS3_PKT3_PKT4_S6_PT5_21rocsparse_index_base_b.num_named_barrier, 0
	.set _ZN9rocsparseL21csrmvn_general_kernelILj256ELj32Eli21rocsparse_complex_numIdES2_S2_S2_EEvbT2_NS_24const_host_device_scalarIT6_EEPKT1_S9_PKS3_PKT3_PKT4_S6_PT5_21rocsparse_index_base_b.private_seg_size, 0
	.set _ZN9rocsparseL21csrmvn_general_kernelILj256ELj32Eli21rocsparse_complex_numIdES2_S2_S2_EEvbT2_NS_24const_host_device_scalarIT6_EEPKT1_S9_PKS3_PKT3_PKT4_S6_PT5_21rocsparse_index_base_b.uses_vcc, 1
	.set _ZN9rocsparseL21csrmvn_general_kernelILj256ELj32Eli21rocsparse_complex_numIdES2_S2_S2_EEvbT2_NS_24const_host_device_scalarIT6_EEPKT1_S9_PKS3_PKT3_PKT4_S6_PT5_21rocsparse_index_base_b.uses_flat_scratch, 0
	.set _ZN9rocsparseL21csrmvn_general_kernelILj256ELj32Eli21rocsparse_complex_numIdES2_S2_S2_EEvbT2_NS_24const_host_device_scalarIT6_EEPKT1_S9_PKS3_PKT3_PKT4_S6_PT5_21rocsparse_index_base_b.has_dyn_sized_stack, 0
	.set _ZN9rocsparseL21csrmvn_general_kernelILj256ELj32Eli21rocsparse_complex_numIdES2_S2_S2_EEvbT2_NS_24const_host_device_scalarIT6_EEPKT1_S9_PKS3_PKT3_PKT4_S6_PT5_21rocsparse_index_base_b.has_recursion, 0
	.set _ZN9rocsparseL21csrmvn_general_kernelILj256ELj32Eli21rocsparse_complex_numIdES2_S2_S2_EEvbT2_NS_24const_host_device_scalarIT6_EEPKT1_S9_PKS3_PKT3_PKT4_S6_PT5_21rocsparse_index_base_b.has_indirect_call, 0
	.section	.AMDGPU.csdata,"",@progbits
; Kernel info:
; codeLenInByte = 1212
; TotalNumSgprs: 26
; NumVgprs: 40
; ScratchSize: 0
; MemoryBound: 0
; FloatMode: 240
; IeeeMode: 1
; LDSByteSize: 0 bytes/workgroup (compile time only)
; SGPRBlocks: 0
; VGPRBlocks: 2
; NumSGPRsForWavesPerEU: 26
; NumVGPRsForWavesPerEU: 40
; NamedBarCnt: 0
; Occupancy: 16
; WaveLimiterHint : 1
; COMPUTE_PGM_RSRC2:SCRATCH_EN: 0
; COMPUTE_PGM_RSRC2:USER_SGPR: 2
; COMPUTE_PGM_RSRC2:TRAP_HANDLER: 0
; COMPUTE_PGM_RSRC2:TGID_X_EN: 1
; COMPUTE_PGM_RSRC2:TGID_Y_EN: 0
; COMPUTE_PGM_RSRC2:TGID_Z_EN: 0
; COMPUTE_PGM_RSRC2:TIDIG_COMP_CNT: 0
	.section	.text._ZN9rocsparseL21csrmvn_general_kernelILj256ELj64Eli21rocsparse_complex_numIdES2_S2_S2_EEvbT2_NS_24const_host_device_scalarIT6_EEPKT1_S9_PKS3_PKT3_PKT4_S6_PT5_21rocsparse_index_base_b,"axG",@progbits,_ZN9rocsparseL21csrmvn_general_kernelILj256ELj64Eli21rocsparse_complex_numIdES2_S2_S2_EEvbT2_NS_24const_host_device_scalarIT6_EEPKT1_S9_PKS3_PKT3_PKT4_S6_PT5_21rocsparse_index_base_b,comdat
	.globl	_ZN9rocsparseL21csrmvn_general_kernelILj256ELj64Eli21rocsparse_complex_numIdES2_S2_S2_EEvbT2_NS_24const_host_device_scalarIT6_EEPKT1_S9_PKS3_PKT3_PKT4_S6_PT5_21rocsparse_index_base_b ; -- Begin function _ZN9rocsparseL21csrmvn_general_kernelILj256ELj64Eli21rocsparse_complex_numIdES2_S2_S2_EEvbT2_NS_24const_host_device_scalarIT6_EEPKT1_S9_PKS3_PKT3_PKT4_S6_PT5_21rocsparse_index_base_b
	.p2align	8
	.type	_ZN9rocsparseL21csrmvn_general_kernelILj256ELj64Eli21rocsparse_complex_numIdES2_S2_S2_EEvbT2_NS_24const_host_device_scalarIT6_EEPKT1_S9_PKS3_PKT3_PKT4_S6_PT5_21rocsparse_index_base_b,@function
_ZN9rocsparseL21csrmvn_general_kernelILj256ELj64Eli21rocsparse_complex_numIdES2_S2_S2_EEvbT2_NS_24const_host_device_scalarIT6_EEPKT1_S9_PKS3_PKT3_PKT4_S6_PT5_21rocsparse_index_base_b: ; @_ZN9rocsparseL21csrmvn_general_kernelILj256ELj64Eli21rocsparse_complex_numIdES2_S2_S2_EEvbT2_NS_24const_host_device_scalarIT6_EEPKT1_S9_PKS3_PKT3_PKT4_S6_PT5_21rocsparse_index_base_b
; %bb.0:
	s_clause 0x1
	s_load_b64 s[12:13], s[0:1], 0x58
	s_load_b64 s[2:3], s[0:1], 0x8
	v_mov_b32_e32 v1, 0
	s_add_nc_u64 s[4:5], s[0:1], 8
	s_load_b64 s[6:7], s[0:1], 0x40
	s_wait_kmcnt 0x0
	s_bitcmp1_b32 s13, 0
	s_cselect_b32 s3, s5, s3
	s_cselect_b32 s2, s4, s2
	flat_load_b128 v[2:5], v1, s[2:3]
	s_wait_xcnt 0x0
	s_add_nc_u64 s[2:3], s[0:1], 64
	s_delay_alu instid0(SALU_CYCLE_1)
	s_cselect_b32 s3, s3, s7
	s_cselect_b32 s2, s2, s6
	flat_load_b128 v[6:9], v1, s[2:3]
	s_wait_loadcnt_dscnt 0x101
	v_cmp_eq_f64_e32 vcc_lo, 0, v[2:3]
	s_wait_xcnt 0x0
	v_cmp_eq_f64_e64 s2, 0, v[4:5]
	s_and_b32 s4, vcc_lo, s2
	s_mov_b32 s2, -1
	s_and_saveexec_b32 s3, s4
	s_cbranch_execz .LBB115_2
; %bb.1:
	s_wait_loadcnt_dscnt 0x0
	v_cmp_neq_f64_e32 vcc_lo, 1.0, v[6:7]
	v_cmp_neq_f64_e64 s2, 0, v[8:9]
	s_or_b32 s2, vcc_lo, s2
	s_delay_alu instid0(SALU_CYCLE_1)
	s_or_not1_b32 s2, s2, exec_lo
.LBB115_2:
	s_or_b32 exec_lo, exec_lo, s3
	s_and_saveexec_b32 s3, s2
	s_cbranch_execz .LBB115_14
; %bb.3:
	s_bfe_u32 s2, ttmp6, 0x4000c
	s_load_b64 s[14:15], s[0:1], 0x0
	s_add_co_i32 s2, s2, 1
	s_and_b32 s3, ttmp6, 15
	s_mul_i32 s2, ttmp9, s2
	s_getreg_b32 s4, hwreg(HW_REG_IB_STS2, 6, 4)
	s_add_co_i32 s3, s3, s2
	s_cmp_eq_u32 s4, 0
	s_mov_b32 s13, 0
	s_cselect_b32 s2, ttmp9, s3
	s_delay_alu instid0(SALU_CYCLE_1) | instskip(NEXT) | instid1(VALU_DEP_1)
	v_lshl_or_b32 v1, s2, 8, v0
	v_lshrrev_b32_e32 v14, 6, v1
	s_wait_kmcnt 0x0
	s_delay_alu instid0(VALU_DEP_1)
	v_cmp_gt_i32_e32 vcc_lo, s15, v14
	s_and_b32 exec_lo, exec_lo, vcc_lo
	s_cbranch_execz .LBB115_14
; %bb.4:
	v_mbcnt_lo_u32_b32 v12, -1, 0
	v_dual_mov_b32 v11, 0 :: v_dual_bitop2_b32 v10, 63, v0 bitop3:0x40
	s_clause 0x3
	s_load_b32 s3, s[0:1], 0x60
	s_load_b256 s[4:11], s[0:1], 0x18
	s_load_b64 s[16:17], s[0:1], 0x50
	s_load_b64 s[18:19], s[0:1], 0x38
	s_wait_loadcnt_dscnt 0x0
	v_cmp_neq_f64_e64 s1, 0, v[6:7]
	v_xor_b32_e32 v13, 16, v12
	v_cmp_neq_f64_e64 s2, 0, v[8:9]
	v_sub_nc_u64_e64 v[0:1], v[10:11], s[12:13]
	s_mov_b32 s22, s12
	v_cmp_gt_i32_e64 s0, 32, v13
	s_delay_alu instid0(VALU_DEP_1) | instskip(NEXT) | instid1(VALU_DEP_1)
	v_dual_cndmask_b32 v13, v12, v13, s0 :: v_dual_bitop2_b32 v11, 32, v12 bitop3:0x54
	v_cmp_gt_i32_e32 vcc_lo, 32, v11
	s_wait_kmcnt 0x0
	s_lshl_b32 s20, s3, 2
	v_dual_cndmask_b32 v11, v12, v11, vcc_lo :: v_dual_bitop2_b32 v15, 8, v12 bitop3:0x14
	s_bitcmp1_b32 s14, 0
	v_lshlrev_b32_e32 v25, 2, v13
	s_cselect_b32 vcc_lo, -1, 0
	s_delay_alu instid0(VALU_DEP_2) | instskip(SKIP_3) | instid1(SALU_CYCLE_1)
	v_lshlrev_b32_e32 v24, 2, v11
	v_cmp_gt_i32_e64 s0, 32, v15
	v_xor_b32_e32 v16, 4, v12
	s_ashr_i32 s23, s12, 31
	s_lshl_b64 s[22:23], s[22:23], 4
	v_dual_cndmask_b32 v11, v12, v15, s0 :: v_dual_bitop2_b32 v15, 1, v12 bitop3:0x14
	v_xor_b32_e32 v17, 2, v12
	v_cmp_gt_i32_e64 s0, 32, v16
	s_sub_nc_u64 s[18:19], s[18:19], s[22:23]
	s_or_b32 s14, s1, s2
	s_add_nc_u64 s[2:3], s[10:11], 8
	v_cndmask_b32_e64 v16, v12, v16, s0
	v_cmp_gt_i32_e64 s0, 32, v17
	v_lshlrev_b32_e32 v26, 2, v11
	s_mov_b32 s10, s13
	v_dual_lshlrev_b32 v27, 2, v16 :: v_dual_cndmask_b32 v17, v12, v17, s0
	v_cmp_gt_i32_e64 s0, 32, v15
	s_delay_alu instid0(VALU_DEP_1) | instskip(SKIP_1) | instid1(VALU_DEP_2)
	v_dual_cndmask_b32 v12, v12, v15, s0 :: v_dual_lshlrev_b32 v28, 2, v17
	v_cmp_eq_u32_e64 s0, 63, v10
	v_lshlrev_b32_e32 v29, 2, v12
	s_branch .LBB115_7
.LBB115_5:                              ;   in Loop: Header=BB115_7 Depth=1
	s_wait_xcnt 0x0
	s_or_b32 exec_lo, exec_lo, s11
	global_store_b128 v[16:17], v[10:13], off
.LBB115_6:                              ;   in Loop: Header=BB115_7 Depth=1
	s_wait_xcnt 0x0
	s_or_b32 exec_lo, exec_lo, s1
	v_add_nc_u32_e32 v14, s20, v14
	s_delay_alu instid0(VALU_DEP_1) | instskip(SKIP_1) | instid1(SALU_CYCLE_1)
	v_cmp_le_i32_e64 s1, s15, v14
	s_or_b32 s10, s1, s10
	s_and_not1_b32 exec_lo, exec_lo, s10
	s_cbranch_execz .LBB115_14
.LBB115_7:                              ; =>This Loop Header: Depth=1
                                        ;     Child Loop BB115_9 Depth 2
	s_clause 0x1
	global_load_b64 v[10:11], v14, s[6:7] scale_offset
	global_load_b64 v[12:13], v14, s[4:5] scale_offset
	s_mov_b32 s11, exec_lo
	s_wait_loadcnt_dscnt 0x100
	v_sub_nc_u64_e64 v[16:17], v[10:11], s[12:13]
	s_wait_loadcnt 0x0
	v_add_nc_u64_e32 v[18:19], v[12:13], v[0:1]
	v_mov_b64_e32 v[10:11], 0
	v_mov_b64_e32 v[12:13], 0
	s_wait_xcnt 0x0
	s_delay_alu instid0(VALU_DEP_3)
	v_cmpx_lt_i64_e64 v[18:19], v[16:17]
	s_cbranch_execz .LBB115_11
; %bb.8:                                ;   in Loop: Header=BB115_7 Depth=1
	v_mov_b64_e32 v[10:11], 0
	v_mov_b64_e32 v[12:13], 0
	v_lshl_add_u64 v[20:21], v[18:19], 4, s[2:3]
	v_lshl_add_u64 v[22:23], v[18:19], 2, s[8:9]
	s_mov_b32 s21, 0
.LBB115_9:                              ;   Parent Loop BB115_7 Depth=1
                                        ; =>  This Inner Loop Header: Depth=2
	global_load_b32 v15, v[22:23], off
	global_load_b128 v[30:33], v[20:21], off offset:-8
	v_add_nc_u64_e32 v[18:19], 64, v[18:19]
	s_wait_xcnt 0x0
	v_add_nc_u64_e32 v[20:21], 0x400, v[20:21]
	v_add_nc_u64_e32 v[22:23], 0x100, v[22:23]
	s_delay_alu instid0(VALU_DEP_3)
	v_cmp_ge_i64_e64 s1, v[18:19], v[16:17]
	s_or_b32 s21, s1, s21
	s_wait_loadcnt 0x1
	global_load_b128 v[34:37], v15, s[18:19] scale_offset
	s_wait_loadcnt 0x1
	s_wait_xcnt 0x0
	v_xor_b32_e32 v15, 0x80000000, v33
	s_delay_alu instid0(VALU_DEP_1) | instskip(NEXT) | instid1(VALU_DEP_1)
	v_cndmask_b32_e32 v33, v33, v15, vcc_lo
	v_mul_f64_e64 v[38:39], v[32:33], -v[4:5]
	v_mul_f64_e32 v[32:33], v[2:3], v[32:33]
	s_delay_alu instid0(VALU_DEP_2) | instskip(NEXT) | instid1(VALU_DEP_2)
	v_fmac_f64_e32 v[38:39], v[2:3], v[30:31]
	v_fmac_f64_e32 v[32:33], v[4:5], v[30:31]
	s_wait_loadcnt 0x0
	s_delay_alu instid0(VALU_DEP_2) | instskip(NEXT) | instid1(VALU_DEP_2)
	v_fmac_f64_e32 v[12:13], v[38:39], v[34:35]
	v_fmac_f64_e32 v[10:11], v[32:33], v[34:35]
	s_delay_alu instid0(VALU_DEP_2) | instskip(NEXT) | instid1(VALU_DEP_2)
	v_fma_f64 v[12:13], -v[32:33], v[36:37], v[12:13]
	v_fmac_f64_e32 v[10:11], v[38:39], v[36:37]
	s_and_not1_b32 exec_lo, exec_lo, s21
	s_cbranch_execnz .LBB115_9
; %bb.10:                               ;   in Loop: Header=BB115_7 Depth=1
	s_or_b32 exec_lo, exec_lo, s21
.LBB115_11:                             ;   in Loop: Header=BB115_7 Depth=1
	s_delay_alu instid0(SALU_CYCLE_1)
	s_or_b32 exec_lo, exec_lo, s11
	ds_bpermute_b32 v16, v24, v12
	ds_bpermute_b32 v17, v24, v13
	;; [unrolled: 1-line block ×4, first 2 shown]
	s_wait_dscnt 0x2
	v_dual_add_f64 v[12:13], v[12:13], v[16:17] :: v_dual_ashrrev_i32 v15, 31, v14
	s_wait_dscnt 0x0
	v_add_f64_e32 v[10:11], v[10:11], v[18:19]
	ds_bpermute_b32 v16, v25, v12
	ds_bpermute_b32 v17, v25, v13
	ds_bpermute_b32 v18, v25, v10
	ds_bpermute_b32 v19, v25, v11
	s_wait_dscnt 0x2
	v_add_f64_e32 v[12:13], v[12:13], v[16:17]
	s_wait_dscnt 0x0
	v_add_f64_e32 v[10:11], v[10:11], v[18:19]
	ds_bpermute_b32 v16, v26, v12
	ds_bpermute_b32 v17, v26, v13
	ds_bpermute_b32 v18, v26, v10
	ds_bpermute_b32 v19, v26, v11
	s_wait_dscnt 0x2
	v_add_f64_e32 v[12:13], v[12:13], v[16:17]
	;; [unrolled: 8-line block ×4, first 2 shown]
	s_wait_dscnt 0x0
	v_add_f64_e32 v[12:13], v[16:17], v[18:19]
	ds_bpermute_b32 v18, v29, v10
	ds_bpermute_b32 v19, v29, v11
	;; [unrolled: 1-line block ×4, first 2 shown]
	s_and_saveexec_b32 s1, s0
	s_cbranch_execz .LBB115_6
; %bb.12:                               ;   in Loop: Header=BB115_7 Depth=1
	s_wait_dscnt 0x2
	v_add_f64_e32 v[10:11], v[10:11], v[18:19]
	s_wait_dscnt 0x0
	v_add_f64_e32 v[12:13], v[12:13], v[16:17]
	v_lshl_add_u64 v[16:17], v[14:15], 4, s[16:17]
	s_and_saveexec_b32 s11, s14
	s_cbranch_execz .LBB115_5
; %bb.13:                               ;   in Loop: Header=BB115_7 Depth=1
	global_load_b128 v[18:21], v[16:17], off
	s_wait_loadcnt 0x0
	v_fmac_f64_e32 v[10:11], v[6:7], v[18:19]
	v_fmac_f64_e32 v[12:13], v[8:9], v[18:19]
	s_delay_alu instid0(VALU_DEP_2) | instskip(NEXT) | instid1(VALU_DEP_2)
	v_fma_f64 v[10:11], -v[8:9], v[20:21], v[10:11]
	v_fmac_f64_e32 v[12:13], v[6:7], v[20:21]
	s_branch .LBB115_5
.LBB115_14:
	s_endpgm
	.section	.rodata,"a",@progbits
	.p2align	6, 0x0
	.amdhsa_kernel _ZN9rocsparseL21csrmvn_general_kernelILj256ELj64Eli21rocsparse_complex_numIdES2_S2_S2_EEvbT2_NS_24const_host_device_scalarIT6_EEPKT1_S9_PKS3_PKT3_PKT4_S6_PT5_21rocsparse_index_base_b
		.amdhsa_group_segment_fixed_size 0
		.amdhsa_private_segment_fixed_size 0
		.amdhsa_kernarg_size 352
		.amdhsa_user_sgpr_count 2
		.amdhsa_user_sgpr_dispatch_ptr 0
		.amdhsa_user_sgpr_queue_ptr 0
		.amdhsa_user_sgpr_kernarg_segment_ptr 1
		.amdhsa_user_sgpr_dispatch_id 0
		.amdhsa_user_sgpr_kernarg_preload_length 0
		.amdhsa_user_sgpr_kernarg_preload_offset 0
		.amdhsa_user_sgpr_private_segment_size 0
		.amdhsa_wavefront_size32 1
		.amdhsa_uses_dynamic_stack 0
		.amdhsa_enable_private_segment 0
		.amdhsa_system_sgpr_workgroup_id_x 1
		.amdhsa_system_sgpr_workgroup_id_y 0
		.amdhsa_system_sgpr_workgroup_id_z 0
		.amdhsa_system_sgpr_workgroup_info 0
		.amdhsa_system_vgpr_workitem_id 0
		.amdhsa_next_free_vgpr 40
		.amdhsa_next_free_sgpr 24
		.amdhsa_named_barrier_count 0
		.amdhsa_reserve_vcc 1
		.amdhsa_float_round_mode_32 0
		.amdhsa_float_round_mode_16_64 0
		.amdhsa_float_denorm_mode_32 3
		.amdhsa_float_denorm_mode_16_64 3
		.amdhsa_fp16_overflow 0
		.amdhsa_memory_ordered 1
		.amdhsa_forward_progress 1
		.amdhsa_inst_pref_size 10
		.amdhsa_round_robin_scheduling 0
		.amdhsa_exception_fp_ieee_invalid_op 0
		.amdhsa_exception_fp_denorm_src 0
		.amdhsa_exception_fp_ieee_div_zero 0
		.amdhsa_exception_fp_ieee_overflow 0
		.amdhsa_exception_fp_ieee_underflow 0
		.amdhsa_exception_fp_ieee_inexact 0
		.amdhsa_exception_int_div_zero 0
	.end_amdhsa_kernel
	.section	.text._ZN9rocsparseL21csrmvn_general_kernelILj256ELj64Eli21rocsparse_complex_numIdES2_S2_S2_EEvbT2_NS_24const_host_device_scalarIT6_EEPKT1_S9_PKS3_PKT3_PKT4_S6_PT5_21rocsparse_index_base_b,"axG",@progbits,_ZN9rocsparseL21csrmvn_general_kernelILj256ELj64Eli21rocsparse_complex_numIdES2_S2_S2_EEvbT2_NS_24const_host_device_scalarIT6_EEPKT1_S9_PKS3_PKT3_PKT4_S6_PT5_21rocsparse_index_base_b,comdat
.Lfunc_end115:
	.size	_ZN9rocsparseL21csrmvn_general_kernelILj256ELj64Eli21rocsparse_complex_numIdES2_S2_S2_EEvbT2_NS_24const_host_device_scalarIT6_EEPKT1_S9_PKS3_PKT3_PKT4_S6_PT5_21rocsparse_index_base_b, .Lfunc_end115-_ZN9rocsparseL21csrmvn_general_kernelILj256ELj64Eli21rocsparse_complex_numIdES2_S2_S2_EEvbT2_NS_24const_host_device_scalarIT6_EEPKT1_S9_PKS3_PKT3_PKT4_S6_PT5_21rocsparse_index_base_b
                                        ; -- End function
	.set _ZN9rocsparseL21csrmvn_general_kernelILj256ELj64Eli21rocsparse_complex_numIdES2_S2_S2_EEvbT2_NS_24const_host_device_scalarIT6_EEPKT1_S9_PKS3_PKT3_PKT4_S6_PT5_21rocsparse_index_base_b.num_vgpr, 40
	.set _ZN9rocsparseL21csrmvn_general_kernelILj256ELj64Eli21rocsparse_complex_numIdES2_S2_S2_EEvbT2_NS_24const_host_device_scalarIT6_EEPKT1_S9_PKS3_PKT3_PKT4_S6_PT5_21rocsparse_index_base_b.num_agpr, 0
	.set _ZN9rocsparseL21csrmvn_general_kernelILj256ELj64Eli21rocsparse_complex_numIdES2_S2_S2_EEvbT2_NS_24const_host_device_scalarIT6_EEPKT1_S9_PKS3_PKT3_PKT4_S6_PT5_21rocsparse_index_base_b.numbered_sgpr, 24
	.set _ZN9rocsparseL21csrmvn_general_kernelILj256ELj64Eli21rocsparse_complex_numIdES2_S2_S2_EEvbT2_NS_24const_host_device_scalarIT6_EEPKT1_S9_PKS3_PKT3_PKT4_S6_PT5_21rocsparse_index_base_b.num_named_barrier, 0
	.set _ZN9rocsparseL21csrmvn_general_kernelILj256ELj64Eli21rocsparse_complex_numIdES2_S2_S2_EEvbT2_NS_24const_host_device_scalarIT6_EEPKT1_S9_PKS3_PKT3_PKT4_S6_PT5_21rocsparse_index_base_b.private_seg_size, 0
	.set _ZN9rocsparseL21csrmvn_general_kernelILj256ELj64Eli21rocsparse_complex_numIdES2_S2_S2_EEvbT2_NS_24const_host_device_scalarIT6_EEPKT1_S9_PKS3_PKT3_PKT4_S6_PT5_21rocsparse_index_base_b.uses_vcc, 1
	.set _ZN9rocsparseL21csrmvn_general_kernelILj256ELj64Eli21rocsparse_complex_numIdES2_S2_S2_EEvbT2_NS_24const_host_device_scalarIT6_EEPKT1_S9_PKS3_PKT3_PKT4_S6_PT5_21rocsparse_index_base_b.uses_flat_scratch, 0
	.set _ZN9rocsparseL21csrmvn_general_kernelILj256ELj64Eli21rocsparse_complex_numIdES2_S2_S2_EEvbT2_NS_24const_host_device_scalarIT6_EEPKT1_S9_PKS3_PKT3_PKT4_S6_PT5_21rocsparse_index_base_b.has_dyn_sized_stack, 0
	.set _ZN9rocsparseL21csrmvn_general_kernelILj256ELj64Eli21rocsparse_complex_numIdES2_S2_S2_EEvbT2_NS_24const_host_device_scalarIT6_EEPKT1_S9_PKS3_PKT3_PKT4_S6_PT5_21rocsparse_index_base_b.has_recursion, 0
	.set _ZN9rocsparseL21csrmvn_general_kernelILj256ELj64Eli21rocsparse_complex_numIdES2_S2_S2_EEvbT2_NS_24const_host_device_scalarIT6_EEPKT1_S9_PKS3_PKT3_PKT4_S6_PT5_21rocsparse_index_base_b.has_indirect_call, 0
	.section	.AMDGPU.csdata,"",@progbits
; Kernel info:
; codeLenInByte = 1260
; TotalNumSgprs: 26
; NumVgprs: 40
; ScratchSize: 0
; MemoryBound: 0
; FloatMode: 240
; IeeeMode: 1
; LDSByteSize: 0 bytes/workgroup (compile time only)
; SGPRBlocks: 0
; VGPRBlocks: 2
; NumSGPRsForWavesPerEU: 26
; NumVGPRsForWavesPerEU: 40
; NamedBarCnt: 0
; Occupancy: 16
; WaveLimiterHint : 1
; COMPUTE_PGM_RSRC2:SCRATCH_EN: 0
; COMPUTE_PGM_RSRC2:USER_SGPR: 2
; COMPUTE_PGM_RSRC2:TRAP_HANDLER: 0
; COMPUTE_PGM_RSRC2:TGID_X_EN: 1
; COMPUTE_PGM_RSRC2:TGID_Y_EN: 0
; COMPUTE_PGM_RSRC2:TGID_Z_EN: 0
; COMPUTE_PGM_RSRC2:TIDIG_COMP_CNT: 0
	.section	.text._ZN9rocsparseL21csrmvt_general_kernelILj256ELj4Eli21rocsparse_complex_numIdES2_S2_S2_EEvbbT2_NS_24const_host_device_scalarIT6_EEPKT1_S9_PKS3_PKT3_PKT4_PT5_21rocsparse_index_base_b,"axG",@progbits,_ZN9rocsparseL21csrmvt_general_kernelILj256ELj4Eli21rocsparse_complex_numIdES2_S2_S2_EEvbbT2_NS_24const_host_device_scalarIT6_EEPKT1_S9_PKS3_PKT3_PKT4_PT5_21rocsparse_index_base_b,comdat
	.globl	_ZN9rocsparseL21csrmvt_general_kernelILj256ELj4Eli21rocsparse_complex_numIdES2_S2_S2_EEvbbT2_NS_24const_host_device_scalarIT6_EEPKT1_S9_PKS3_PKT3_PKT4_PT5_21rocsparse_index_base_b ; -- Begin function _ZN9rocsparseL21csrmvt_general_kernelILj256ELj4Eli21rocsparse_complex_numIdES2_S2_S2_EEvbbT2_NS_24const_host_device_scalarIT6_EEPKT1_S9_PKS3_PKT3_PKT4_PT5_21rocsparse_index_base_b
	.p2align	8
	.type	_ZN9rocsparseL21csrmvt_general_kernelILj256ELj4Eli21rocsparse_complex_numIdES2_S2_S2_EEvbbT2_NS_24const_host_device_scalarIT6_EEPKT1_S9_PKS3_PKT3_PKT4_PT5_21rocsparse_index_base_b,@function
_ZN9rocsparseL21csrmvt_general_kernelILj256ELj4Eli21rocsparse_complex_numIdES2_S2_S2_EEvbbT2_NS_24const_host_device_scalarIT6_EEPKT1_S9_PKS3_PKT3_PKT4_PT5_21rocsparse_index_base_b: ; @_ZN9rocsparseL21csrmvt_general_kernelILj256ELj4Eli21rocsparse_complex_numIdES2_S2_S2_EEvbbT2_NS_24const_host_device_scalarIT6_EEPKT1_S9_PKS3_PKT3_PKT4_PT5_21rocsparse_index_base_b
; %bb.0:
	s_clause 0x1
	s_load_b64 s[16:17], s[0:1], 0x48
	s_load_b64 s[2:3], s[0:1], 0x8
	v_mov_b32_e32 v1, 0
	s_add_nc_u64 s[4:5], s[0:1], 8
	s_wait_kmcnt 0x0
	s_bitcmp1_b32 s17, 0
	s_cselect_b32 s3, s5, s3
	s_cselect_b32 s2, s4, s2
	flat_load_b128 v[2:5], v1, s[2:3]
	s_wait_loadcnt_dscnt 0x0
	v_cmp_neq_f64_e32 vcc_lo, 0, v[2:3]
	v_cmp_neq_f64_e64 s2, 0, v[4:5]
	s_or_b32 s2, vcc_lo, s2
	s_delay_alu instid0(SALU_CYCLE_1)
	s_and_saveexec_b32 s3, s2
	s_cbranch_execz .LBB116_18
; %bb.1:
	s_clause 0x3
	s_load_b32 s4, s[0:1], 0x0
	s_load_b64 s[2:3], s[0:1], 0x0
	s_load_b32 s17, s[0:1], 0x50
	s_load_b128 s[12:15], s[0:1], 0x38
	s_getreg_b32 s19, hwreg(HW_REG_IB_STS2, 6, 4)
	s_wait_kmcnt 0x0
	s_and_b32 s18, s4, 1
	s_bitcmp1_b32 s2, 8
	s_load_b256 s[4:11], s[0:1], 0x18
	s_wait_xcnt 0x0
	s_cselect_b32 s0, -1, 0
	s_bfe_u32 s1, ttmp6, 0x4000c
	s_lshl_b32 s2, s17, 6
	s_add_co_i32 s1, s1, 1
	s_and_b32 s17, ttmp6, 15
	s_mul_i32 s1, ttmp9, s1
	s_delay_alu instid0(SALU_CYCLE_1)
	s_add_co_i32 s17, s17, s1
	s_cmp_eq_u32 s19, 0
	s_cselect_b32 s1, ttmp9, s17
	s_cmp_eq_u32 s18, 0
	v_lshl_or_b32 v1, s1, 8, v0
	s_mov_b32 s17, -1
	s_delay_alu instid0(VALU_DEP_1) | instskip(NEXT) | instid1(VALU_DEP_1)
	v_dual_lshrrev_b32 v6, 2, v1 :: v_dual_bitop2_b32 v0, 3, v0 bitop3:0x40
	v_cmp_gt_i32_e64 s1, s3, v6
	s_cbranch_scc0 .LBB116_9
; %bb.2:
	s_and_saveexec_b32 s20, s1
	s_cbranch_execz .LBB116_8
; %bb.3:
	v_dual_mov_b32 v1, 0 :: v_dual_mov_b32 v10, v6
	s_mov_b32 s17, 0
	s_wait_kmcnt 0x0
	s_add_nc_u64 s[18:19], s[10:11], 8
	s_mov_b32 s21, s17
	v_sub_nc_u64_e64 v[8:9], v[0:1], s[16:17]
	s_branch .LBB116_5
.LBB116_4:                              ;   in Loop: Header=BB116_5 Depth=1
	s_or_b32 exec_lo, exec_lo, s22
	v_add_nc_u32_e32 v10, s2, v10
	s_delay_alu instid0(VALU_DEP_1) | instskip(SKIP_1) | instid1(SALU_CYCLE_1)
	v_cmp_le_i32_e32 vcc_lo, s3, v10
	s_or_b32 s21, vcc_lo, s21
	s_and_not1_b32 exec_lo, exec_lo, s21
	s_cbranch_execz .LBB116_8
.LBB116_5:                              ; =>This Loop Header: Depth=1
                                        ;     Child Loop BB116_7 Depth 2
	s_clause 0x1
	global_load_b64 v[12:13], v10, s[6:7] scale_offset
	global_load_b64 v[14:15], v10, s[4:5] scale_offset
	s_mov_b32 s22, exec_lo
	s_wait_loadcnt 0x1
	v_sub_nc_u64_e64 v[12:13], v[12:13], s[16:17]
	s_wait_loadcnt 0x0
	v_add_nc_u64_e32 v[14:15], v[14:15], v[8:9]
	s_wait_xcnt 0x0
	s_delay_alu instid0(VALU_DEP_1)
	v_cmpx_lt_i64_e64 v[14:15], v[12:13]
	s_cbranch_execz .LBB116_4
; %bb.6:                                ;   in Loop: Header=BB116_5 Depth=1
	v_ashrrev_i32_e32 v11, 31, v10
	s_mov_b32 s23, 0
	s_delay_alu instid0(VALU_DEP_1)
	v_lshl_add_u64 v[16:17], v[10:11], 4, s[12:13]
	global_load_b128 v[20:23], v[16:17], off
	s_wait_loadcnt 0x0
	s_wait_xcnt 0x0
	v_mul_f64_e64 v[16:17], v[22:23], -v[4:5]
	v_mul_f64_e32 v[18:19], v[2:3], v[22:23]
	v_lshl_add_u64 v[22:23], v[14:15], 4, s[18:19]
	s_delay_alu instid0(VALU_DEP_3) | instskip(NEXT) | instid1(VALU_DEP_3)
	v_fmac_f64_e32 v[16:17], v[2:3], v[20:21]
	v_fmac_f64_e32 v[18:19], v[4:5], v[20:21]
	v_lshl_add_u64 v[20:21], v[14:15], 2, s[8:9]
.LBB116_7:                              ;   Parent Loop BB116_5 Depth=1
                                        ; =>  This Inner Loop Header: Depth=2
	global_load_b128 v[24:27], v[22:23], off offset:-8
	global_load_b32 v1, v[20:21], off
	v_add_nc_u64_e32 v[14:15], 4, v[14:15]
	s_wait_xcnt 0x0
	v_add_nc_u64_e32 v[20:21], 16, v[20:21]
	v_add_nc_u64_e32 v[22:23], 64, v[22:23]
	s_delay_alu instid0(VALU_DEP_3) | instskip(SKIP_3) | instid1(VALU_DEP_1)
	v_cmp_ge_i64_e32 vcc_lo, v[14:15], v[12:13]
	s_or_b32 s23, vcc_lo, s23
	s_wait_loadcnt 0x1
	v_xor_b32_e32 v7, 0x80000000, v27
	v_cndmask_b32_e64 v27, v27, v7, s0
	s_delay_alu instid0(VALU_DEP_1) | instskip(SKIP_1) | instid1(VALU_DEP_2)
	v_mul_f64_e64 v[28:29], v[26:27], -v[18:19]
	v_mul_f64_e32 v[26:27], v[16:17], v[26:27]
	v_fmac_f64_e32 v[28:29], v[16:17], v[24:25]
	s_delay_alu instid0(VALU_DEP_2) | instskip(SKIP_2) | instid1(VALU_DEP_1)
	v_fmac_f64_e32 v[26:27], v[18:19], v[24:25]
	s_wait_loadcnt 0x0
	v_subrev_nc_u32_e32 v24, s16, v1
	v_ashrrev_i32_e32 v25, 31, v24
	s_delay_alu instid0(VALU_DEP_1)
	v_lshl_add_u64 v[24:25], v[24:25], 4, s[14:15]
	global_atomic_add_f64 v[24:25], v[28:29], off scope:SCOPE_DEV
	s_wait_xcnt 0x0
	global_atomic_add_f64 v[24:25], v[26:27], off offset:8 scope:SCOPE_DEV
	s_wait_xcnt 0x0
	s_and_not1_b32 exec_lo, exec_lo, s23
	s_cbranch_execnz .LBB116_7
	s_branch .LBB116_4
.LBB116_8:
	s_or_b32 exec_lo, exec_lo, s20
	s_mov_b32 s17, 0
.LBB116_9:
	s_delay_alu instid0(SALU_CYCLE_1)
	s_and_not1_b32 vcc_lo, exec_lo, s17
	s_cbranch_vccnz .LBB116_18
; %bb.10:
	s_and_b32 exec_lo, exec_lo, s1
	s_cbranch_execz .LBB116_18
; %bb.11:
	v_mov_b32_e32 v1, 0
	s_mov_b32 s17, 0
	s_wait_kmcnt 0x0
	s_add_nc_u64 s[10:11], s[10:11], 8
	s_mov_b32 s1, s17
	v_sub_nc_u64_e64 v[0:1], v[0:1], s[16:17]
	s_branch .LBB116_13
.LBB116_12:                             ;   in Loop: Header=BB116_13 Depth=1
	s_or_b32 exec_lo, exec_lo, s18
	v_add_nc_u32_e32 v6, s2, v6
	s_delay_alu instid0(VALU_DEP_1) | instskip(SKIP_1) | instid1(SALU_CYCLE_1)
	v_cmp_le_i32_e32 vcc_lo, s3, v6
	s_or_b32 s1, vcc_lo, s1
	s_and_not1_b32 exec_lo, exec_lo, s1
	s_cbranch_execz .LBB116_18
.LBB116_13:                             ; =>This Loop Header: Depth=1
                                        ;     Child Loop BB116_16 Depth 2
	s_clause 0x1
	global_load_b64 v[8:9], v6, s[6:7] scale_offset
	global_load_b64 v[10:11], v6, s[4:5] scale_offset
	s_mov_b32 s18, exec_lo
	s_wait_loadcnt 0x1
	v_sub_nc_u64_e64 v[8:9], v[8:9], s[16:17]
	s_wait_loadcnt 0x0
	v_add_nc_u64_e32 v[10:11], v[10:11], v[0:1]
	s_wait_xcnt 0x0
	s_delay_alu instid0(VALU_DEP_1)
	v_cmpx_lt_i64_e64 v[10:11], v[8:9]
	s_cbranch_execz .LBB116_12
; %bb.14:                               ;   in Loop: Header=BB116_13 Depth=1
	v_ashrrev_i32_e32 v7, 31, v6
	s_mov_b32 s19, 0
	s_delay_alu instid0(VALU_DEP_1)
	v_lshl_add_u64 v[12:13], v[6:7], 4, s[12:13]
	global_load_b128 v[16:19], v[12:13], off
	s_wait_loadcnt 0x0
	v_mul_f64_e64 v[12:13], v[18:19], -v[4:5]
	v_mul_f64_e32 v[14:15], v[2:3], v[18:19]
	v_lshl_add_u64 v[18:19], v[10:11], 4, s[10:11]
	s_delay_alu instid0(VALU_DEP_3) | instskip(NEXT) | instid1(VALU_DEP_3)
	v_fmac_f64_e32 v[12:13], v[2:3], v[16:17]
	v_fmac_f64_e32 v[14:15], v[4:5], v[16:17]
	v_lshl_add_u64 v[16:17], v[10:11], 2, s[8:9]
	s_branch .LBB116_16
.LBB116_15:                             ;   in Loop: Header=BB116_16 Depth=2
	s_wait_xcnt 0x0
	s_or_b32 exec_lo, exec_lo, s20
	v_add_nc_u64_e32 v[10:11], 4, v[10:11]
	v_add_nc_u64_e32 v[16:17], 16, v[16:17]
	;; [unrolled: 1-line block ×3, first 2 shown]
	s_delay_alu instid0(VALU_DEP_3) | instskip(SKIP_1) | instid1(SALU_CYCLE_1)
	v_cmp_ge_i64_e32 vcc_lo, v[10:11], v[8:9]
	s_or_b32 s19, vcc_lo, s19
	s_and_not1_b32 exec_lo, exec_lo, s19
	s_cbranch_execz .LBB116_12
.LBB116_16:                             ;   Parent Loop BB116_13 Depth=1
                                        ; =>  This Inner Loop Header: Depth=2
	global_load_b32 v7, v[16:17], off
	s_mov_b32 s20, exec_lo
	s_wait_loadcnt 0x0
	v_subrev_nc_u32_e32 v20, s16, v7
	s_wait_xcnt 0x0
	s_delay_alu instid0(VALU_DEP_1)
	v_cmpx_ne_u32_e64 v20, v6
	s_cbranch_execz .LBB116_15
; %bb.17:                               ;   in Loop: Header=BB116_16 Depth=2
	global_load_b128 v[22:25], v[18:19], off offset:-8
	v_ashrrev_i32_e32 v21, 31, v20
	s_delay_alu instid0(VALU_DEP_1) | instskip(SKIP_2) | instid1(VALU_DEP_1)
	v_lshl_add_u64 v[20:21], v[20:21], 4, s[14:15]
	s_wait_loadcnt 0x0
	v_xor_b32_e32 v7, 0x80000000, v25
	v_cndmask_b32_e64 v25, v25, v7, s0
	s_delay_alu instid0(VALU_DEP_1) | instskip(SKIP_1) | instid1(VALU_DEP_2)
	v_mul_f64_e64 v[26:27], v[24:25], -v[14:15]
	v_mul_f64_e32 v[24:25], v[12:13], v[24:25]
	v_fmac_f64_e32 v[26:27], v[12:13], v[22:23]
	s_delay_alu instid0(VALU_DEP_2)
	v_fmac_f64_e32 v[24:25], v[14:15], v[22:23]
	s_wait_xcnt 0x0
	global_atomic_add_f64 v[20:21], v[26:27], off scope:SCOPE_DEV
	s_wait_xcnt 0x0
	global_atomic_add_f64 v[20:21], v[24:25], off offset:8 scope:SCOPE_DEV
	s_branch .LBB116_15
.LBB116_18:
	s_endpgm
	.section	.rodata,"a",@progbits
	.p2align	6, 0x0
	.amdhsa_kernel _ZN9rocsparseL21csrmvt_general_kernelILj256ELj4Eli21rocsparse_complex_numIdES2_S2_S2_EEvbbT2_NS_24const_host_device_scalarIT6_EEPKT1_S9_PKS3_PKT3_PKT4_PT5_21rocsparse_index_base_b
		.amdhsa_group_segment_fixed_size 0
		.amdhsa_private_segment_fixed_size 0
		.amdhsa_kernarg_size 336
		.amdhsa_user_sgpr_count 2
		.amdhsa_user_sgpr_dispatch_ptr 0
		.amdhsa_user_sgpr_queue_ptr 0
		.amdhsa_user_sgpr_kernarg_segment_ptr 1
		.amdhsa_user_sgpr_dispatch_id 0
		.amdhsa_user_sgpr_kernarg_preload_length 0
		.amdhsa_user_sgpr_kernarg_preload_offset 0
		.amdhsa_user_sgpr_private_segment_size 0
		.amdhsa_wavefront_size32 1
		.amdhsa_uses_dynamic_stack 0
		.amdhsa_enable_private_segment 0
		.amdhsa_system_sgpr_workgroup_id_x 1
		.amdhsa_system_sgpr_workgroup_id_y 0
		.amdhsa_system_sgpr_workgroup_id_z 0
		.amdhsa_system_sgpr_workgroup_info 0
		.amdhsa_system_vgpr_workitem_id 0
		.amdhsa_next_free_vgpr 30
		.amdhsa_next_free_sgpr 24
		.amdhsa_named_barrier_count 0
		.amdhsa_reserve_vcc 1
		.amdhsa_float_round_mode_32 0
		.amdhsa_float_round_mode_16_64 0
		.amdhsa_float_denorm_mode_32 3
		.amdhsa_float_denorm_mode_16_64 3
		.amdhsa_fp16_overflow 0
		.amdhsa_memory_ordered 1
		.amdhsa_forward_progress 1
		.amdhsa_inst_pref_size 9
		.amdhsa_round_robin_scheduling 0
		.amdhsa_exception_fp_ieee_invalid_op 0
		.amdhsa_exception_fp_denorm_src 0
		.amdhsa_exception_fp_ieee_div_zero 0
		.amdhsa_exception_fp_ieee_overflow 0
		.amdhsa_exception_fp_ieee_underflow 0
		.amdhsa_exception_fp_ieee_inexact 0
		.amdhsa_exception_int_div_zero 0
	.end_amdhsa_kernel
	.section	.text._ZN9rocsparseL21csrmvt_general_kernelILj256ELj4Eli21rocsparse_complex_numIdES2_S2_S2_EEvbbT2_NS_24const_host_device_scalarIT6_EEPKT1_S9_PKS3_PKT3_PKT4_PT5_21rocsparse_index_base_b,"axG",@progbits,_ZN9rocsparseL21csrmvt_general_kernelILj256ELj4Eli21rocsparse_complex_numIdES2_S2_S2_EEvbbT2_NS_24const_host_device_scalarIT6_EEPKT1_S9_PKS3_PKT3_PKT4_PT5_21rocsparse_index_base_b,comdat
.Lfunc_end116:
	.size	_ZN9rocsparseL21csrmvt_general_kernelILj256ELj4Eli21rocsparse_complex_numIdES2_S2_S2_EEvbbT2_NS_24const_host_device_scalarIT6_EEPKT1_S9_PKS3_PKT3_PKT4_PT5_21rocsparse_index_base_b, .Lfunc_end116-_ZN9rocsparseL21csrmvt_general_kernelILj256ELj4Eli21rocsparse_complex_numIdES2_S2_S2_EEvbbT2_NS_24const_host_device_scalarIT6_EEPKT1_S9_PKS3_PKT3_PKT4_PT5_21rocsparse_index_base_b
                                        ; -- End function
	.set _ZN9rocsparseL21csrmvt_general_kernelILj256ELj4Eli21rocsparse_complex_numIdES2_S2_S2_EEvbbT2_NS_24const_host_device_scalarIT6_EEPKT1_S9_PKS3_PKT3_PKT4_PT5_21rocsparse_index_base_b.num_vgpr, 30
	.set _ZN9rocsparseL21csrmvt_general_kernelILj256ELj4Eli21rocsparse_complex_numIdES2_S2_S2_EEvbbT2_NS_24const_host_device_scalarIT6_EEPKT1_S9_PKS3_PKT3_PKT4_PT5_21rocsparse_index_base_b.num_agpr, 0
	.set _ZN9rocsparseL21csrmvt_general_kernelILj256ELj4Eli21rocsparse_complex_numIdES2_S2_S2_EEvbbT2_NS_24const_host_device_scalarIT6_EEPKT1_S9_PKS3_PKT3_PKT4_PT5_21rocsparse_index_base_b.numbered_sgpr, 24
	.set _ZN9rocsparseL21csrmvt_general_kernelILj256ELj4Eli21rocsparse_complex_numIdES2_S2_S2_EEvbbT2_NS_24const_host_device_scalarIT6_EEPKT1_S9_PKS3_PKT3_PKT4_PT5_21rocsparse_index_base_b.num_named_barrier, 0
	.set _ZN9rocsparseL21csrmvt_general_kernelILj256ELj4Eli21rocsparse_complex_numIdES2_S2_S2_EEvbbT2_NS_24const_host_device_scalarIT6_EEPKT1_S9_PKS3_PKT3_PKT4_PT5_21rocsparse_index_base_b.private_seg_size, 0
	.set _ZN9rocsparseL21csrmvt_general_kernelILj256ELj4Eli21rocsparse_complex_numIdES2_S2_S2_EEvbbT2_NS_24const_host_device_scalarIT6_EEPKT1_S9_PKS3_PKT3_PKT4_PT5_21rocsparse_index_base_b.uses_vcc, 1
	.set _ZN9rocsparseL21csrmvt_general_kernelILj256ELj4Eli21rocsparse_complex_numIdES2_S2_S2_EEvbbT2_NS_24const_host_device_scalarIT6_EEPKT1_S9_PKS3_PKT3_PKT4_PT5_21rocsparse_index_base_b.uses_flat_scratch, 0
	.set _ZN9rocsparseL21csrmvt_general_kernelILj256ELj4Eli21rocsparse_complex_numIdES2_S2_S2_EEvbbT2_NS_24const_host_device_scalarIT6_EEPKT1_S9_PKS3_PKT3_PKT4_PT5_21rocsparse_index_base_b.has_dyn_sized_stack, 0
	.set _ZN9rocsparseL21csrmvt_general_kernelILj256ELj4Eli21rocsparse_complex_numIdES2_S2_S2_EEvbbT2_NS_24const_host_device_scalarIT6_EEPKT1_S9_PKS3_PKT3_PKT4_PT5_21rocsparse_index_base_b.has_recursion, 0
	.set _ZN9rocsparseL21csrmvt_general_kernelILj256ELj4Eli21rocsparse_complex_numIdES2_S2_S2_EEvbbT2_NS_24const_host_device_scalarIT6_EEPKT1_S9_PKS3_PKT3_PKT4_PT5_21rocsparse_index_base_b.has_indirect_call, 0
	.section	.AMDGPU.csdata,"",@progbits
; Kernel info:
; codeLenInByte = 1072
; TotalNumSgprs: 26
; NumVgprs: 30
; ScratchSize: 0
; MemoryBound: 0
; FloatMode: 240
; IeeeMode: 1
; LDSByteSize: 0 bytes/workgroup (compile time only)
; SGPRBlocks: 0
; VGPRBlocks: 1
; NumSGPRsForWavesPerEU: 26
; NumVGPRsForWavesPerEU: 30
; NamedBarCnt: 0
; Occupancy: 16
; WaveLimiterHint : 1
; COMPUTE_PGM_RSRC2:SCRATCH_EN: 0
; COMPUTE_PGM_RSRC2:USER_SGPR: 2
; COMPUTE_PGM_RSRC2:TRAP_HANDLER: 0
; COMPUTE_PGM_RSRC2:TGID_X_EN: 1
; COMPUTE_PGM_RSRC2:TGID_Y_EN: 0
; COMPUTE_PGM_RSRC2:TGID_Z_EN: 0
; COMPUTE_PGM_RSRC2:TIDIG_COMP_CNT: 0
	.section	.text._ZN9rocsparseL21csrmvt_general_kernelILj256ELj8Eli21rocsparse_complex_numIdES2_S2_S2_EEvbbT2_NS_24const_host_device_scalarIT6_EEPKT1_S9_PKS3_PKT3_PKT4_PT5_21rocsparse_index_base_b,"axG",@progbits,_ZN9rocsparseL21csrmvt_general_kernelILj256ELj8Eli21rocsparse_complex_numIdES2_S2_S2_EEvbbT2_NS_24const_host_device_scalarIT6_EEPKT1_S9_PKS3_PKT3_PKT4_PT5_21rocsparse_index_base_b,comdat
	.globl	_ZN9rocsparseL21csrmvt_general_kernelILj256ELj8Eli21rocsparse_complex_numIdES2_S2_S2_EEvbbT2_NS_24const_host_device_scalarIT6_EEPKT1_S9_PKS3_PKT3_PKT4_PT5_21rocsparse_index_base_b ; -- Begin function _ZN9rocsparseL21csrmvt_general_kernelILj256ELj8Eli21rocsparse_complex_numIdES2_S2_S2_EEvbbT2_NS_24const_host_device_scalarIT6_EEPKT1_S9_PKS3_PKT3_PKT4_PT5_21rocsparse_index_base_b
	.p2align	8
	.type	_ZN9rocsparseL21csrmvt_general_kernelILj256ELj8Eli21rocsparse_complex_numIdES2_S2_S2_EEvbbT2_NS_24const_host_device_scalarIT6_EEPKT1_S9_PKS3_PKT3_PKT4_PT5_21rocsparse_index_base_b,@function
_ZN9rocsparseL21csrmvt_general_kernelILj256ELj8Eli21rocsparse_complex_numIdES2_S2_S2_EEvbbT2_NS_24const_host_device_scalarIT6_EEPKT1_S9_PKS3_PKT3_PKT4_PT5_21rocsparse_index_base_b: ; @_ZN9rocsparseL21csrmvt_general_kernelILj256ELj8Eli21rocsparse_complex_numIdES2_S2_S2_EEvbbT2_NS_24const_host_device_scalarIT6_EEPKT1_S9_PKS3_PKT3_PKT4_PT5_21rocsparse_index_base_b
; %bb.0:
	s_clause 0x1
	s_load_b64 s[16:17], s[0:1], 0x48
	s_load_b64 s[2:3], s[0:1], 0x8
	v_mov_b32_e32 v1, 0
	s_add_nc_u64 s[4:5], s[0:1], 8
	s_wait_kmcnt 0x0
	s_bitcmp1_b32 s17, 0
	s_cselect_b32 s3, s5, s3
	s_cselect_b32 s2, s4, s2
	flat_load_b128 v[2:5], v1, s[2:3]
	s_wait_loadcnt_dscnt 0x0
	v_cmp_neq_f64_e32 vcc_lo, 0, v[2:3]
	v_cmp_neq_f64_e64 s2, 0, v[4:5]
	s_or_b32 s2, vcc_lo, s2
	s_delay_alu instid0(SALU_CYCLE_1)
	s_and_saveexec_b32 s3, s2
	s_cbranch_execz .LBB117_18
; %bb.1:
	s_clause 0x3
	s_load_b32 s4, s[0:1], 0x0
	s_load_b64 s[2:3], s[0:1], 0x0
	s_load_b32 s17, s[0:1], 0x50
	s_load_b128 s[12:15], s[0:1], 0x38
	s_getreg_b32 s19, hwreg(HW_REG_IB_STS2, 6, 4)
	s_wait_kmcnt 0x0
	s_and_b32 s18, s4, 1
	s_bitcmp1_b32 s2, 8
	s_load_b256 s[4:11], s[0:1], 0x18
	s_wait_xcnt 0x0
	s_cselect_b32 s0, -1, 0
	s_bfe_u32 s1, ttmp6, 0x4000c
	s_lshl_b32 s2, s17, 5
	s_add_co_i32 s1, s1, 1
	s_and_b32 s17, ttmp6, 15
	s_mul_i32 s1, ttmp9, s1
	s_delay_alu instid0(SALU_CYCLE_1)
	s_add_co_i32 s17, s17, s1
	s_cmp_eq_u32 s19, 0
	s_cselect_b32 s1, ttmp9, s17
	s_cmp_eq_u32 s18, 0
	v_lshl_or_b32 v1, s1, 8, v0
	s_mov_b32 s17, -1
	s_delay_alu instid0(VALU_DEP_1) | instskip(NEXT) | instid1(VALU_DEP_1)
	v_dual_lshrrev_b32 v6, 3, v1 :: v_dual_bitop2_b32 v0, 7, v0 bitop3:0x40
	v_cmp_gt_i32_e64 s1, s3, v6
	s_cbranch_scc0 .LBB117_9
; %bb.2:
	s_and_saveexec_b32 s20, s1
	s_cbranch_execz .LBB117_8
; %bb.3:
	v_dual_mov_b32 v1, 0 :: v_dual_mov_b32 v10, v6
	s_mov_b32 s17, 0
	s_wait_kmcnt 0x0
	s_add_nc_u64 s[18:19], s[10:11], 8
	s_mov_b32 s21, s17
	v_sub_nc_u64_e64 v[8:9], v[0:1], s[16:17]
	s_branch .LBB117_5
.LBB117_4:                              ;   in Loop: Header=BB117_5 Depth=1
	s_or_b32 exec_lo, exec_lo, s22
	v_add_nc_u32_e32 v10, s2, v10
	s_delay_alu instid0(VALU_DEP_1) | instskip(SKIP_1) | instid1(SALU_CYCLE_1)
	v_cmp_le_i32_e32 vcc_lo, s3, v10
	s_or_b32 s21, vcc_lo, s21
	s_and_not1_b32 exec_lo, exec_lo, s21
	s_cbranch_execz .LBB117_8
.LBB117_5:                              ; =>This Loop Header: Depth=1
                                        ;     Child Loop BB117_7 Depth 2
	s_clause 0x1
	global_load_b64 v[12:13], v10, s[6:7] scale_offset
	global_load_b64 v[14:15], v10, s[4:5] scale_offset
	s_mov_b32 s22, exec_lo
	s_wait_loadcnt 0x1
	v_sub_nc_u64_e64 v[12:13], v[12:13], s[16:17]
	s_wait_loadcnt 0x0
	v_add_nc_u64_e32 v[14:15], v[14:15], v[8:9]
	s_wait_xcnt 0x0
	s_delay_alu instid0(VALU_DEP_1)
	v_cmpx_lt_i64_e64 v[14:15], v[12:13]
	s_cbranch_execz .LBB117_4
; %bb.6:                                ;   in Loop: Header=BB117_5 Depth=1
	v_ashrrev_i32_e32 v11, 31, v10
	s_mov_b32 s23, 0
	s_delay_alu instid0(VALU_DEP_1)
	v_lshl_add_u64 v[16:17], v[10:11], 4, s[12:13]
	global_load_b128 v[20:23], v[16:17], off
	s_wait_loadcnt 0x0
	s_wait_xcnt 0x0
	v_mul_f64_e64 v[16:17], v[22:23], -v[4:5]
	v_mul_f64_e32 v[18:19], v[2:3], v[22:23]
	v_lshl_add_u64 v[22:23], v[14:15], 4, s[18:19]
	s_delay_alu instid0(VALU_DEP_3) | instskip(NEXT) | instid1(VALU_DEP_3)
	v_fmac_f64_e32 v[16:17], v[2:3], v[20:21]
	v_fmac_f64_e32 v[18:19], v[4:5], v[20:21]
	v_lshl_add_u64 v[20:21], v[14:15], 2, s[8:9]
.LBB117_7:                              ;   Parent Loop BB117_5 Depth=1
                                        ; =>  This Inner Loop Header: Depth=2
	global_load_b128 v[24:27], v[22:23], off offset:-8
	global_load_b32 v1, v[20:21], off
	v_add_nc_u64_e32 v[14:15], 8, v[14:15]
	s_wait_xcnt 0x0
	v_add_nc_u64_e32 v[20:21], 32, v[20:21]
	v_add_nc_u64_e32 v[22:23], 0x80, v[22:23]
	s_delay_alu instid0(VALU_DEP_3) | instskip(SKIP_3) | instid1(VALU_DEP_1)
	v_cmp_ge_i64_e32 vcc_lo, v[14:15], v[12:13]
	s_or_b32 s23, vcc_lo, s23
	s_wait_loadcnt 0x1
	v_xor_b32_e32 v7, 0x80000000, v27
	v_cndmask_b32_e64 v27, v27, v7, s0
	s_delay_alu instid0(VALU_DEP_1) | instskip(SKIP_1) | instid1(VALU_DEP_2)
	v_mul_f64_e64 v[28:29], v[26:27], -v[18:19]
	v_mul_f64_e32 v[26:27], v[16:17], v[26:27]
	v_fmac_f64_e32 v[28:29], v[16:17], v[24:25]
	s_delay_alu instid0(VALU_DEP_2) | instskip(SKIP_2) | instid1(VALU_DEP_1)
	v_fmac_f64_e32 v[26:27], v[18:19], v[24:25]
	s_wait_loadcnt 0x0
	v_subrev_nc_u32_e32 v24, s16, v1
	v_ashrrev_i32_e32 v25, 31, v24
	s_delay_alu instid0(VALU_DEP_1)
	v_lshl_add_u64 v[24:25], v[24:25], 4, s[14:15]
	global_atomic_add_f64 v[24:25], v[28:29], off scope:SCOPE_DEV
	s_wait_xcnt 0x0
	global_atomic_add_f64 v[24:25], v[26:27], off offset:8 scope:SCOPE_DEV
	s_wait_xcnt 0x0
	s_and_not1_b32 exec_lo, exec_lo, s23
	s_cbranch_execnz .LBB117_7
	s_branch .LBB117_4
.LBB117_8:
	s_or_b32 exec_lo, exec_lo, s20
	s_mov_b32 s17, 0
.LBB117_9:
	s_delay_alu instid0(SALU_CYCLE_1)
	s_and_not1_b32 vcc_lo, exec_lo, s17
	s_cbranch_vccnz .LBB117_18
; %bb.10:
	s_and_b32 exec_lo, exec_lo, s1
	s_cbranch_execz .LBB117_18
; %bb.11:
	v_mov_b32_e32 v1, 0
	s_mov_b32 s17, 0
	s_wait_kmcnt 0x0
	s_add_nc_u64 s[10:11], s[10:11], 8
	s_mov_b32 s1, s17
	v_sub_nc_u64_e64 v[0:1], v[0:1], s[16:17]
	s_branch .LBB117_13
.LBB117_12:                             ;   in Loop: Header=BB117_13 Depth=1
	s_or_b32 exec_lo, exec_lo, s18
	v_add_nc_u32_e32 v6, s2, v6
	s_delay_alu instid0(VALU_DEP_1) | instskip(SKIP_1) | instid1(SALU_CYCLE_1)
	v_cmp_le_i32_e32 vcc_lo, s3, v6
	s_or_b32 s1, vcc_lo, s1
	s_and_not1_b32 exec_lo, exec_lo, s1
	s_cbranch_execz .LBB117_18
.LBB117_13:                             ; =>This Loop Header: Depth=1
                                        ;     Child Loop BB117_16 Depth 2
	s_clause 0x1
	global_load_b64 v[8:9], v6, s[6:7] scale_offset
	global_load_b64 v[10:11], v6, s[4:5] scale_offset
	s_mov_b32 s18, exec_lo
	s_wait_loadcnt 0x1
	v_sub_nc_u64_e64 v[8:9], v[8:9], s[16:17]
	s_wait_loadcnt 0x0
	v_add_nc_u64_e32 v[10:11], v[10:11], v[0:1]
	s_wait_xcnt 0x0
	s_delay_alu instid0(VALU_DEP_1)
	v_cmpx_lt_i64_e64 v[10:11], v[8:9]
	s_cbranch_execz .LBB117_12
; %bb.14:                               ;   in Loop: Header=BB117_13 Depth=1
	v_ashrrev_i32_e32 v7, 31, v6
	s_mov_b32 s19, 0
	s_delay_alu instid0(VALU_DEP_1)
	v_lshl_add_u64 v[12:13], v[6:7], 4, s[12:13]
	global_load_b128 v[16:19], v[12:13], off
	s_wait_loadcnt 0x0
	v_mul_f64_e64 v[12:13], v[18:19], -v[4:5]
	v_mul_f64_e32 v[14:15], v[2:3], v[18:19]
	v_lshl_add_u64 v[18:19], v[10:11], 4, s[10:11]
	s_delay_alu instid0(VALU_DEP_3) | instskip(NEXT) | instid1(VALU_DEP_3)
	v_fmac_f64_e32 v[12:13], v[2:3], v[16:17]
	v_fmac_f64_e32 v[14:15], v[4:5], v[16:17]
	v_lshl_add_u64 v[16:17], v[10:11], 2, s[8:9]
	s_branch .LBB117_16
.LBB117_15:                             ;   in Loop: Header=BB117_16 Depth=2
	s_wait_xcnt 0x0
	s_or_b32 exec_lo, exec_lo, s20
	v_add_nc_u64_e32 v[10:11], 8, v[10:11]
	v_add_nc_u64_e32 v[16:17], 32, v[16:17]
	v_add_nc_u64_e32 v[18:19], 0x80, v[18:19]
	s_delay_alu instid0(VALU_DEP_3) | instskip(SKIP_1) | instid1(SALU_CYCLE_1)
	v_cmp_ge_i64_e32 vcc_lo, v[10:11], v[8:9]
	s_or_b32 s19, vcc_lo, s19
	s_and_not1_b32 exec_lo, exec_lo, s19
	s_cbranch_execz .LBB117_12
.LBB117_16:                             ;   Parent Loop BB117_13 Depth=1
                                        ; =>  This Inner Loop Header: Depth=2
	global_load_b32 v7, v[16:17], off
	s_mov_b32 s20, exec_lo
	s_wait_loadcnt 0x0
	v_subrev_nc_u32_e32 v20, s16, v7
	s_wait_xcnt 0x0
	s_delay_alu instid0(VALU_DEP_1)
	v_cmpx_ne_u32_e64 v20, v6
	s_cbranch_execz .LBB117_15
; %bb.17:                               ;   in Loop: Header=BB117_16 Depth=2
	global_load_b128 v[22:25], v[18:19], off offset:-8
	v_ashrrev_i32_e32 v21, 31, v20
	s_delay_alu instid0(VALU_DEP_1) | instskip(SKIP_2) | instid1(VALU_DEP_1)
	v_lshl_add_u64 v[20:21], v[20:21], 4, s[14:15]
	s_wait_loadcnt 0x0
	v_xor_b32_e32 v7, 0x80000000, v25
	v_cndmask_b32_e64 v25, v25, v7, s0
	s_delay_alu instid0(VALU_DEP_1) | instskip(SKIP_1) | instid1(VALU_DEP_2)
	v_mul_f64_e64 v[26:27], v[24:25], -v[14:15]
	v_mul_f64_e32 v[24:25], v[12:13], v[24:25]
	v_fmac_f64_e32 v[26:27], v[12:13], v[22:23]
	s_delay_alu instid0(VALU_DEP_2)
	v_fmac_f64_e32 v[24:25], v[14:15], v[22:23]
	s_wait_xcnt 0x0
	global_atomic_add_f64 v[20:21], v[26:27], off scope:SCOPE_DEV
	s_wait_xcnt 0x0
	global_atomic_add_f64 v[20:21], v[24:25], off offset:8 scope:SCOPE_DEV
	s_branch .LBB117_15
.LBB117_18:
	s_endpgm
	.section	.rodata,"a",@progbits
	.p2align	6, 0x0
	.amdhsa_kernel _ZN9rocsparseL21csrmvt_general_kernelILj256ELj8Eli21rocsparse_complex_numIdES2_S2_S2_EEvbbT2_NS_24const_host_device_scalarIT6_EEPKT1_S9_PKS3_PKT3_PKT4_PT5_21rocsparse_index_base_b
		.amdhsa_group_segment_fixed_size 0
		.amdhsa_private_segment_fixed_size 0
		.amdhsa_kernarg_size 336
		.amdhsa_user_sgpr_count 2
		.amdhsa_user_sgpr_dispatch_ptr 0
		.amdhsa_user_sgpr_queue_ptr 0
		.amdhsa_user_sgpr_kernarg_segment_ptr 1
		.amdhsa_user_sgpr_dispatch_id 0
		.amdhsa_user_sgpr_kernarg_preload_length 0
		.amdhsa_user_sgpr_kernarg_preload_offset 0
		.amdhsa_user_sgpr_private_segment_size 0
		.amdhsa_wavefront_size32 1
		.amdhsa_uses_dynamic_stack 0
		.amdhsa_enable_private_segment 0
		.amdhsa_system_sgpr_workgroup_id_x 1
		.amdhsa_system_sgpr_workgroup_id_y 0
		.amdhsa_system_sgpr_workgroup_id_z 0
		.amdhsa_system_sgpr_workgroup_info 0
		.amdhsa_system_vgpr_workitem_id 0
		.amdhsa_next_free_vgpr 30
		.amdhsa_next_free_sgpr 24
		.amdhsa_named_barrier_count 0
		.amdhsa_reserve_vcc 1
		.amdhsa_float_round_mode_32 0
		.amdhsa_float_round_mode_16_64 0
		.amdhsa_float_denorm_mode_32 3
		.amdhsa_float_denorm_mode_16_64 3
		.amdhsa_fp16_overflow 0
		.amdhsa_memory_ordered 1
		.amdhsa_forward_progress 1
		.amdhsa_inst_pref_size 9
		.amdhsa_round_robin_scheduling 0
		.amdhsa_exception_fp_ieee_invalid_op 0
		.amdhsa_exception_fp_denorm_src 0
		.amdhsa_exception_fp_ieee_div_zero 0
		.amdhsa_exception_fp_ieee_overflow 0
		.amdhsa_exception_fp_ieee_underflow 0
		.amdhsa_exception_fp_ieee_inexact 0
		.amdhsa_exception_int_div_zero 0
	.end_amdhsa_kernel
	.section	.text._ZN9rocsparseL21csrmvt_general_kernelILj256ELj8Eli21rocsparse_complex_numIdES2_S2_S2_EEvbbT2_NS_24const_host_device_scalarIT6_EEPKT1_S9_PKS3_PKT3_PKT4_PT5_21rocsparse_index_base_b,"axG",@progbits,_ZN9rocsparseL21csrmvt_general_kernelILj256ELj8Eli21rocsparse_complex_numIdES2_S2_S2_EEvbbT2_NS_24const_host_device_scalarIT6_EEPKT1_S9_PKS3_PKT3_PKT4_PT5_21rocsparse_index_base_b,comdat
.Lfunc_end117:
	.size	_ZN9rocsparseL21csrmvt_general_kernelILj256ELj8Eli21rocsparse_complex_numIdES2_S2_S2_EEvbbT2_NS_24const_host_device_scalarIT6_EEPKT1_S9_PKS3_PKT3_PKT4_PT5_21rocsparse_index_base_b, .Lfunc_end117-_ZN9rocsparseL21csrmvt_general_kernelILj256ELj8Eli21rocsparse_complex_numIdES2_S2_S2_EEvbbT2_NS_24const_host_device_scalarIT6_EEPKT1_S9_PKS3_PKT3_PKT4_PT5_21rocsparse_index_base_b
                                        ; -- End function
	.set _ZN9rocsparseL21csrmvt_general_kernelILj256ELj8Eli21rocsparse_complex_numIdES2_S2_S2_EEvbbT2_NS_24const_host_device_scalarIT6_EEPKT1_S9_PKS3_PKT3_PKT4_PT5_21rocsparse_index_base_b.num_vgpr, 30
	.set _ZN9rocsparseL21csrmvt_general_kernelILj256ELj8Eli21rocsparse_complex_numIdES2_S2_S2_EEvbbT2_NS_24const_host_device_scalarIT6_EEPKT1_S9_PKS3_PKT3_PKT4_PT5_21rocsparse_index_base_b.num_agpr, 0
	.set _ZN9rocsparseL21csrmvt_general_kernelILj256ELj8Eli21rocsparse_complex_numIdES2_S2_S2_EEvbbT2_NS_24const_host_device_scalarIT6_EEPKT1_S9_PKS3_PKT3_PKT4_PT5_21rocsparse_index_base_b.numbered_sgpr, 24
	.set _ZN9rocsparseL21csrmvt_general_kernelILj256ELj8Eli21rocsparse_complex_numIdES2_S2_S2_EEvbbT2_NS_24const_host_device_scalarIT6_EEPKT1_S9_PKS3_PKT3_PKT4_PT5_21rocsparse_index_base_b.num_named_barrier, 0
	.set _ZN9rocsparseL21csrmvt_general_kernelILj256ELj8Eli21rocsparse_complex_numIdES2_S2_S2_EEvbbT2_NS_24const_host_device_scalarIT6_EEPKT1_S9_PKS3_PKT3_PKT4_PT5_21rocsparse_index_base_b.private_seg_size, 0
	.set _ZN9rocsparseL21csrmvt_general_kernelILj256ELj8Eli21rocsparse_complex_numIdES2_S2_S2_EEvbbT2_NS_24const_host_device_scalarIT6_EEPKT1_S9_PKS3_PKT3_PKT4_PT5_21rocsparse_index_base_b.uses_vcc, 1
	.set _ZN9rocsparseL21csrmvt_general_kernelILj256ELj8Eli21rocsparse_complex_numIdES2_S2_S2_EEvbbT2_NS_24const_host_device_scalarIT6_EEPKT1_S9_PKS3_PKT3_PKT4_PT5_21rocsparse_index_base_b.uses_flat_scratch, 0
	.set _ZN9rocsparseL21csrmvt_general_kernelILj256ELj8Eli21rocsparse_complex_numIdES2_S2_S2_EEvbbT2_NS_24const_host_device_scalarIT6_EEPKT1_S9_PKS3_PKT3_PKT4_PT5_21rocsparse_index_base_b.has_dyn_sized_stack, 0
	.set _ZN9rocsparseL21csrmvt_general_kernelILj256ELj8Eli21rocsparse_complex_numIdES2_S2_S2_EEvbbT2_NS_24const_host_device_scalarIT6_EEPKT1_S9_PKS3_PKT3_PKT4_PT5_21rocsparse_index_base_b.has_recursion, 0
	.set _ZN9rocsparseL21csrmvt_general_kernelILj256ELj8Eli21rocsparse_complex_numIdES2_S2_S2_EEvbbT2_NS_24const_host_device_scalarIT6_EEPKT1_S9_PKS3_PKT3_PKT4_PT5_21rocsparse_index_base_b.has_indirect_call, 0
	.section	.AMDGPU.csdata,"",@progbits
; Kernel info:
; codeLenInByte = 1080
; TotalNumSgprs: 26
; NumVgprs: 30
; ScratchSize: 0
; MemoryBound: 0
; FloatMode: 240
; IeeeMode: 1
; LDSByteSize: 0 bytes/workgroup (compile time only)
; SGPRBlocks: 0
; VGPRBlocks: 1
; NumSGPRsForWavesPerEU: 26
; NumVGPRsForWavesPerEU: 30
; NamedBarCnt: 0
; Occupancy: 16
; WaveLimiterHint : 1
; COMPUTE_PGM_RSRC2:SCRATCH_EN: 0
; COMPUTE_PGM_RSRC2:USER_SGPR: 2
; COMPUTE_PGM_RSRC2:TRAP_HANDLER: 0
; COMPUTE_PGM_RSRC2:TGID_X_EN: 1
; COMPUTE_PGM_RSRC2:TGID_Y_EN: 0
; COMPUTE_PGM_RSRC2:TGID_Z_EN: 0
; COMPUTE_PGM_RSRC2:TIDIG_COMP_CNT: 0
	.section	.text._ZN9rocsparseL21csrmvt_general_kernelILj256ELj16Eli21rocsparse_complex_numIdES2_S2_S2_EEvbbT2_NS_24const_host_device_scalarIT6_EEPKT1_S9_PKS3_PKT3_PKT4_PT5_21rocsparse_index_base_b,"axG",@progbits,_ZN9rocsparseL21csrmvt_general_kernelILj256ELj16Eli21rocsparse_complex_numIdES2_S2_S2_EEvbbT2_NS_24const_host_device_scalarIT6_EEPKT1_S9_PKS3_PKT3_PKT4_PT5_21rocsparse_index_base_b,comdat
	.globl	_ZN9rocsparseL21csrmvt_general_kernelILj256ELj16Eli21rocsparse_complex_numIdES2_S2_S2_EEvbbT2_NS_24const_host_device_scalarIT6_EEPKT1_S9_PKS3_PKT3_PKT4_PT5_21rocsparse_index_base_b ; -- Begin function _ZN9rocsparseL21csrmvt_general_kernelILj256ELj16Eli21rocsparse_complex_numIdES2_S2_S2_EEvbbT2_NS_24const_host_device_scalarIT6_EEPKT1_S9_PKS3_PKT3_PKT4_PT5_21rocsparse_index_base_b
	.p2align	8
	.type	_ZN9rocsparseL21csrmvt_general_kernelILj256ELj16Eli21rocsparse_complex_numIdES2_S2_S2_EEvbbT2_NS_24const_host_device_scalarIT6_EEPKT1_S9_PKS3_PKT3_PKT4_PT5_21rocsparse_index_base_b,@function
_ZN9rocsparseL21csrmvt_general_kernelILj256ELj16Eli21rocsparse_complex_numIdES2_S2_S2_EEvbbT2_NS_24const_host_device_scalarIT6_EEPKT1_S9_PKS3_PKT3_PKT4_PT5_21rocsparse_index_base_b: ; @_ZN9rocsparseL21csrmvt_general_kernelILj256ELj16Eli21rocsparse_complex_numIdES2_S2_S2_EEvbbT2_NS_24const_host_device_scalarIT6_EEPKT1_S9_PKS3_PKT3_PKT4_PT5_21rocsparse_index_base_b
; %bb.0:
	s_clause 0x1
	s_load_b64 s[16:17], s[0:1], 0x48
	s_load_b64 s[2:3], s[0:1], 0x8
	v_mov_b32_e32 v1, 0
	s_add_nc_u64 s[4:5], s[0:1], 8
	s_wait_kmcnt 0x0
	s_bitcmp1_b32 s17, 0
	s_cselect_b32 s3, s5, s3
	s_cselect_b32 s2, s4, s2
	flat_load_b128 v[2:5], v1, s[2:3]
	s_wait_loadcnt_dscnt 0x0
	v_cmp_neq_f64_e32 vcc_lo, 0, v[2:3]
	v_cmp_neq_f64_e64 s2, 0, v[4:5]
	s_or_b32 s2, vcc_lo, s2
	s_delay_alu instid0(SALU_CYCLE_1)
	s_and_saveexec_b32 s3, s2
	s_cbranch_execz .LBB118_18
; %bb.1:
	s_clause 0x3
	s_load_b32 s4, s[0:1], 0x0
	s_load_b64 s[2:3], s[0:1], 0x0
	s_load_b32 s17, s[0:1], 0x50
	s_load_b128 s[12:15], s[0:1], 0x38
	s_getreg_b32 s19, hwreg(HW_REG_IB_STS2, 6, 4)
	s_wait_kmcnt 0x0
	s_and_b32 s18, s4, 1
	s_bitcmp1_b32 s2, 8
	s_load_b256 s[4:11], s[0:1], 0x18
	s_wait_xcnt 0x0
	s_cselect_b32 s0, -1, 0
	s_bfe_u32 s1, ttmp6, 0x4000c
	s_lshl_b32 s2, s17, 4
	s_add_co_i32 s1, s1, 1
	s_and_b32 s17, ttmp6, 15
	s_mul_i32 s1, ttmp9, s1
	s_delay_alu instid0(SALU_CYCLE_1)
	s_add_co_i32 s17, s17, s1
	s_cmp_eq_u32 s19, 0
	s_cselect_b32 s1, ttmp9, s17
	s_cmp_eq_u32 s18, 0
	v_lshl_or_b32 v1, s1, 8, v0
	s_mov_b32 s17, -1
	s_delay_alu instid0(VALU_DEP_1) | instskip(NEXT) | instid1(VALU_DEP_1)
	v_dual_lshrrev_b32 v6, 4, v1 :: v_dual_bitop2_b32 v0, 15, v0 bitop3:0x40
	v_cmp_gt_i32_e64 s1, s3, v6
	s_cbranch_scc0 .LBB118_9
; %bb.2:
	s_and_saveexec_b32 s20, s1
	s_cbranch_execz .LBB118_8
; %bb.3:
	v_dual_mov_b32 v1, 0 :: v_dual_mov_b32 v10, v6
	s_mov_b32 s17, 0
	s_wait_kmcnt 0x0
	s_add_nc_u64 s[18:19], s[10:11], 8
	s_mov_b32 s21, s17
	v_sub_nc_u64_e64 v[8:9], v[0:1], s[16:17]
	s_branch .LBB118_5
.LBB118_4:                              ;   in Loop: Header=BB118_5 Depth=1
	s_or_b32 exec_lo, exec_lo, s22
	v_add_nc_u32_e32 v10, s2, v10
	s_delay_alu instid0(VALU_DEP_1) | instskip(SKIP_1) | instid1(SALU_CYCLE_1)
	v_cmp_le_i32_e32 vcc_lo, s3, v10
	s_or_b32 s21, vcc_lo, s21
	s_and_not1_b32 exec_lo, exec_lo, s21
	s_cbranch_execz .LBB118_8
.LBB118_5:                              ; =>This Loop Header: Depth=1
                                        ;     Child Loop BB118_7 Depth 2
	s_clause 0x1
	global_load_b64 v[12:13], v10, s[6:7] scale_offset
	global_load_b64 v[14:15], v10, s[4:5] scale_offset
	s_mov_b32 s22, exec_lo
	s_wait_loadcnt 0x1
	v_sub_nc_u64_e64 v[12:13], v[12:13], s[16:17]
	s_wait_loadcnt 0x0
	v_add_nc_u64_e32 v[14:15], v[14:15], v[8:9]
	s_wait_xcnt 0x0
	s_delay_alu instid0(VALU_DEP_1)
	v_cmpx_lt_i64_e64 v[14:15], v[12:13]
	s_cbranch_execz .LBB118_4
; %bb.6:                                ;   in Loop: Header=BB118_5 Depth=1
	v_ashrrev_i32_e32 v11, 31, v10
	s_mov_b32 s23, 0
	s_delay_alu instid0(VALU_DEP_1)
	v_lshl_add_u64 v[16:17], v[10:11], 4, s[12:13]
	global_load_b128 v[20:23], v[16:17], off
	s_wait_loadcnt 0x0
	s_wait_xcnt 0x0
	v_mul_f64_e64 v[16:17], v[22:23], -v[4:5]
	v_mul_f64_e32 v[18:19], v[2:3], v[22:23]
	v_lshl_add_u64 v[22:23], v[14:15], 4, s[18:19]
	s_delay_alu instid0(VALU_DEP_3) | instskip(NEXT) | instid1(VALU_DEP_3)
	v_fmac_f64_e32 v[16:17], v[2:3], v[20:21]
	v_fmac_f64_e32 v[18:19], v[4:5], v[20:21]
	v_lshl_add_u64 v[20:21], v[14:15], 2, s[8:9]
.LBB118_7:                              ;   Parent Loop BB118_5 Depth=1
                                        ; =>  This Inner Loop Header: Depth=2
	global_load_b128 v[24:27], v[22:23], off offset:-8
	global_load_b32 v1, v[20:21], off
	v_add_nc_u64_e32 v[14:15], 16, v[14:15]
	s_wait_xcnt 0x0
	v_add_nc_u64_e32 v[20:21], 64, v[20:21]
	v_add_nc_u64_e32 v[22:23], 0x100, v[22:23]
	s_delay_alu instid0(VALU_DEP_3) | instskip(SKIP_3) | instid1(VALU_DEP_1)
	v_cmp_ge_i64_e32 vcc_lo, v[14:15], v[12:13]
	s_or_b32 s23, vcc_lo, s23
	s_wait_loadcnt 0x1
	v_xor_b32_e32 v7, 0x80000000, v27
	v_cndmask_b32_e64 v27, v27, v7, s0
	s_delay_alu instid0(VALU_DEP_1) | instskip(SKIP_1) | instid1(VALU_DEP_2)
	v_mul_f64_e64 v[28:29], v[26:27], -v[18:19]
	v_mul_f64_e32 v[26:27], v[16:17], v[26:27]
	v_fmac_f64_e32 v[28:29], v[16:17], v[24:25]
	s_delay_alu instid0(VALU_DEP_2) | instskip(SKIP_2) | instid1(VALU_DEP_1)
	v_fmac_f64_e32 v[26:27], v[18:19], v[24:25]
	s_wait_loadcnt 0x0
	v_subrev_nc_u32_e32 v24, s16, v1
	v_ashrrev_i32_e32 v25, 31, v24
	s_delay_alu instid0(VALU_DEP_1)
	v_lshl_add_u64 v[24:25], v[24:25], 4, s[14:15]
	global_atomic_add_f64 v[24:25], v[28:29], off scope:SCOPE_DEV
	s_wait_xcnt 0x0
	global_atomic_add_f64 v[24:25], v[26:27], off offset:8 scope:SCOPE_DEV
	s_wait_xcnt 0x0
	s_and_not1_b32 exec_lo, exec_lo, s23
	s_cbranch_execnz .LBB118_7
	s_branch .LBB118_4
.LBB118_8:
	s_or_b32 exec_lo, exec_lo, s20
	s_mov_b32 s17, 0
.LBB118_9:
	s_delay_alu instid0(SALU_CYCLE_1)
	s_and_not1_b32 vcc_lo, exec_lo, s17
	s_cbranch_vccnz .LBB118_18
; %bb.10:
	s_and_b32 exec_lo, exec_lo, s1
	s_cbranch_execz .LBB118_18
; %bb.11:
	v_mov_b32_e32 v1, 0
	s_mov_b32 s17, 0
	s_wait_kmcnt 0x0
	s_add_nc_u64 s[10:11], s[10:11], 8
	s_mov_b32 s1, s17
	v_sub_nc_u64_e64 v[0:1], v[0:1], s[16:17]
	s_branch .LBB118_13
.LBB118_12:                             ;   in Loop: Header=BB118_13 Depth=1
	s_or_b32 exec_lo, exec_lo, s18
	v_add_nc_u32_e32 v6, s2, v6
	s_delay_alu instid0(VALU_DEP_1) | instskip(SKIP_1) | instid1(SALU_CYCLE_1)
	v_cmp_le_i32_e32 vcc_lo, s3, v6
	s_or_b32 s1, vcc_lo, s1
	s_and_not1_b32 exec_lo, exec_lo, s1
	s_cbranch_execz .LBB118_18
.LBB118_13:                             ; =>This Loop Header: Depth=1
                                        ;     Child Loop BB118_16 Depth 2
	s_clause 0x1
	global_load_b64 v[8:9], v6, s[6:7] scale_offset
	global_load_b64 v[10:11], v6, s[4:5] scale_offset
	s_mov_b32 s18, exec_lo
	s_wait_loadcnt 0x1
	v_sub_nc_u64_e64 v[8:9], v[8:9], s[16:17]
	s_wait_loadcnt 0x0
	v_add_nc_u64_e32 v[10:11], v[10:11], v[0:1]
	s_wait_xcnt 0x0
	s_delay_alu instid0(VALU_DEP_1)
	v_cmpx_lt_i64_e64 v[10:11], v[8:9]
	s_cbranch_execz .LBB118_12
; %bb.14:                               ;   in Loop: Header=BB118_13 Depth=1
	v_ashrrev_i32_e32 v7, 31, v6
	s_mov_b32 s19, 0
	s_delay_alu instid0(VALU_DEP_1)
	v_lshl_add_u64 v[12:13], v[6:7], 4, s[12:13]
	global_load_b128 v[16:19], v[12:13], off
	s_wait_loadcnt 0x0
	v_mul_f64_e64 v[12:13], v[18:19], -v[4:5]
	v_mul_f64_e32 v[14:15], v[2:3], v[18:19]
	v_lshl_add_u64 v[18:19], v[10:11], 4, s[10:11]
	s_delay_alu instid0(VALU_DEP_3) | instskip(NEXT) | instid1(VALU_DEP_3)
	v_fmac_f64_e32 v[12:13], v[2:3], v[16:17]
	v_fmac_f64_e32 v[14:15], v[4:5], v[16:17]
	v_lshl_add_u64 v[16:17], v[10:11], 2, s[8:9]
	s_branch .LBB118_16
.LBB118_15:                             ;   in Loop: Header=BB118_16 Depth=2
	s_wait_xcnt 0x0
	s_or_b32 exec_lo, exec_lo, s20
	v_add_nc_u64_e32 v[10:11], 16, v[10:11]
	v_add_nc_u64_e32 v[16:17], 64, v[16:17]
	;; [unrolled: 1-line block ×3, first 2 shown]
	s_delay_alu instid0(VALU_DEP_3) | instskip(SKIP_1) | instid1(SALU_CYCLE_1)
	v_cmp_ge_i64_e32 vcc_lo, v[10:11], v[8:9]
	s_or_b32 s19, vcc_lo, s19
	s_and_not1_b32 exec_lo, exec_lo, s19
	s_cbranch_execz .LBB118_12
.LBB118_16:                             ;   Parent Loop BB118_13 Depth=1
                                        ; =>  This Inner Loop Header: Depth=2
	global_load_b32 v7, v[16:17], off
	s_mov_b32 s20, exec_lo
	s_wait_loadcnt 0x0
	v_subrev_nc_u32_e32 v20, s16, v7
	s_wait_xcnt 0x0
	s_delay_alu instid0(VALU_DEP_1)
	v_cmpx_ne_u32_e64 v20, v6
	s_cbranch_execz .LBB118_15
; %bb.17:                               ;   in Loop: Header=BB118_16 Depth=2
	global_load_b128 v[22:25], v[18:19], off offset:-8
	v_ashrrev_i32_e32 v21, 31, v20
	s_delay_alu instid0(VALU_DEP_1) | instskip(SKIP_2) | instid1(VALU_DEP_1)
	v_lshl_add_u64 v[20:21], v[20:21], 4, s[14:15]
	s_wait_loadcnt 0x0
	v_xor_b32_e32 v7, 0x80000000, v25
	v_cndmask_b32_e64 v25, v25, v7, s0
	s_delay_alu instid0(VALU_DEP_1) | instskip(SKIP_1) | instid1(VALU_DEP_2)
	v_mul_f64_e64 v[26:27], v[24:25], -v[14:15]
	v_mul_f64_e32 v[24:25], v[12:13], v[24:25]
	v_fmac_f64_e32 v[26:27], v[12:13], v[22:23]
	s_delay_alu instid0(VALU_DEP_2)
	v_fmac_f64_e32 v[24:25], v[14:15], v[22:23]
	s_wait_xcnt 0x0
	global_atomic_add_f64 v[20:21], v[26:27], off scope:SCOPE_DEV
	s_wait_xcnt 0x0
	global_atomic_add_f64 v[20:21], v[24:25], off offset:8 scope:SCOPE_DEV
	s_branch .LBB118_15
.LBB118_18:
	s_endpgm
	.section	.rodata,"a",@progbits
	.p2align	6, 0x0
	.amdhsa_kernel _ZN9rocsparseL21csrmvt_general_kernelILj256ELj16Eli21rocsparse_complex_numIdES2_S2_S2_EEvbbT2_NS_24const_host_device_scalarIT6_EEPKT1_S9_PKS3_PKT3_PKT4_PT5_21rocsparse_index_base_b
		.amdhsa_group_segment_fixed_size 0
		.amdhsa_private_segment_fixed_size 0
		.amdhsa_kernarg_size 336
		.amdhsa_user_sgpr_count 2
		.amdhsa_user_sgpr_dispatch_ptr 0
		.amdhsa_user_sgpr_queue_ptr 0
		.amdhsa_user_sgpr_kernarg_segment_ptr 1
		.amdhsa_user_sgpr_dispatch_id 0
		.amdhsa_user_sgpr_kernarg_preload_length 0
		.amdhsa_user_sgpr_kernarg_preload_offset 0
		.amdhsa_user_sgpr_private_segment_size 0
		.amdhsa_wavefront_size32 1
		.amdhsa_uses_dynamic_stack 0
		.amdhsa_enable_private_segment 0
		.amdhsa_system_sgpr_workgroup_id_x 1
		.amdhsa_system_sgpr_workgroup_id_y 0
		.amdhsa_system_sgpr_workgroup_id_z 0
		.amdhsa_system_sgpr_workgroup_info 0
		.amdhsa_system_vgpr_workitem_id 0
		.amdhsa_next_free_vgpr 30
		.amdhsa_next_free_sgpr 24
		.amdhsa_named_barrier_count 0
		.amdhsa_reserve_vcc 1
		.amdhsa_float_round_mode_32 0
		.amdhsa_float_round_mode_16_64 0
		.amdhsa_float_denorm_mode_32 3
		.amdhsa_float_denorm_mode_16_64 3
		.amdhsa_fp16_overflow 0
		.amdhsa_memory_ordered 1
		.amdhsa_forward_progress 1
		.amdhsa_inst_pref_size 9
		.amdhsa_round_robin_scheduling 0
		.amdhsa_exception_fp_ieee_invalid_op 0
		.amdhsa_exception_fp_denorm_src 0
		.amdhsa_exception_fp_ieee_div_zero 0
		.amdhsa_exception_fp_ieee_overflow 0
		.amdhsa_exception_fp_ieee_underflow 0
		.amdhsa_exception_fp_ieee_inexact 0
		.amdhsa_exception_int_div_zero 0
	.end_amdhsa_kernel
	.section	.text._ZN9rocsparseL21csrmvt_general_kernelILj256ELj16Eli21rocsparse_complex_numIdES2_S2_S2_EEvbbT2_NS_24const_host_device_scalarIT6_EEPKT1_S9_PKS3_PKT3_PKT4_PT5_21rocsparse_index_base_b,"axG",@progbits,_ZN9rocsparseL21csrmvt_general_kernelILj256ELj16Eli21rocsparse_complex_numIdES2_S2_S2_EEvbbT2_NS_24const_host_device_scalarIT6_EEPKT1_S9_PKS3_PKT3_PKT4_PT5_21rocsparse_index_base_b,comdat
.Lfunc_end118:
	.size	_ZN9rocsparseL21csrmvt_general_kernelILj256ELj16Eli21rocsparse_complex_numIdES2_S2_S2_EEvbbT2_NS_24const_host_device_scalarIT6_EEPKT1_S9_PKS3_PKT3_PKT4_PT5_21rocsparse_index_base_b, .Lfunc_end118-_ZN9rocsparseL21csrmvt_general_kernelILj256ELj16Eli21rocsparse_complex_numIdES2_S2_S2_EEvbbT2_NS_24const_host_device_scalarIT6_EEPKT1_S9_PKS3_PKT3_PKT4_PT5_21rocsparse_index_base_b
                                        ; -- End function
	.set _ZN9rocsparseL21csrmvt_general_kernelILj256ELj16Eli21rocsparse_complex_numIdES2_S2_S2_EEvbbT2_NS_24const_host_device_scalarIT6_EEPKT1_S9_PKS3_PKT3_PKT4_PT5_21rocsparse_index_base_b.num_vgpr, 30
	.set _ZN9rocsparseL21csrmvt_general_kernelILj256ELj16Eli21rocsparse_complex_numIdES2_S2_S2_EEvbbT2_NS_24const_host_device_scalarIT6_EEPKT1_S9_PKS3_PKT3_PKT4_PT5_21rocsparse_index_base_b.num_agpr, 0
	.set _ZN9rocsparseL21csrmvt_general_kernelILj256ELj16Eli21rocsparse_complex_numIdES2_S2_S2_EEvbbT2_NS_24const_host_device_scalarIT6_EEPKT1_S9_PKS3_PKT3_PKT4_PT5_21rocsparse_index_base_b.numbered_sgpr, 24
	.set _ZN9rocsparseL21csrmvt_general_kernelILj256ELj16Eli21rocsparse_complex_numIdES2_S2_S2_EEvbbT2_NS_24const_host_device_scalarIT6_EEPKT1_S9_PKS3_PKT3_PKT4_PT5_21rocsparse_index_base_b.num_named_barrier, 0
	.set _ZN9rocsparseL21csrmvt_general_kernelILj256ELj16Eli21rocsparse_complex_numIdES2_S2_S2_EEvbbT2_NS_24const_host_device_scalarIT6_EEPKT1_S9_PKS3_PKT3_PKT4_PT5_21rocsparse_index_base_b.private_seg_size, 0
	.set _ZN9rocsparseL21csrmvt_general_kernelILj256ELj16Eli21rocsparse_complex_numIdES2_S2_S2_EEvbbT2_NS_24const_host_device_scalarIT6_EEPKT1_S9_PKS3_PKT3_PKT4_PT5_21rocsparse_index_base_b.uses_vcc, 1
	.set _ZN9rocsparseL21csrmvt_general_kernelILj256ELj16Eli21rocsparse_complex_numIdES2_S2_S2_EEvbbT2_NS_24const_host_device_scalarIT6_EEPKT1_S9_PKS3_PKT3_PKT4_PT5_21rocsparse_index_base_b.uses_flat_scratch, 0
	.set _ZN9rocsparseL21csrmvt_general_kernelILj256ELj16Eli21rocsparse_complex_numIdES2_S2_S2_EEvbbT2_NS_24const_host_device_scalarIT6_EEPKT1_S9_PKS3_PKT3_PKT4_PT5_21rocsparse_index_base_b.has_dyn_sized_stack, 0
	.set _ZN9rocsparseL21csrmvt_general_kernelILj256ELj16Eli21rocsparse_complex_numIdES2_S2_S2_EEvbbT2_NS_24const_host_device_scalarIT6_EEPKT1_S9_PKS3_PKT3_PKT4_PT5_21rocsparse_index_base_b.has_recursion, 0
	.set _ZN9rocsparseL21csrmvt_general_kernelILj256ELj16Eli21rocsparse_complex_numIdES2_S2_S2_EEvbbT2_NS_24const_host_device_scalarIT6_EEPKT1_S9_PKS3_PKT3_PKT4_PT5_21rocsparse_index_base_b.has_indirect_call, 0
	.section	.AMDGPU.csdata,"",@progbits
; Kernel info:
; codeLenInByte = 1080
; TotalNumSgprs: 26
; NumVgprs: 30
; ScratchSize: 0
; MemoryBound: 0
; FloatMode: 240
; IeeeMode: 1
; LDSByteSize: 0 bytes/workgroup (compile time only)
; SGPRBlocks: 0
; VGPRBlocks: 1
; NumSGPRsForWavesPerEU: 26
; NumVGPRsForWavesPerEU: 30
; NamedBarCnt: 0
; Occupancy: 16
; WaveLimiterHint : 1
; COMPUTE_PGM_RSRC2:SCRATCH_EN: 0
; COMPUTE_PGM_RSRC2:USER_SGPR: 2
; COMPUTE_PGM_RSRC2:TRAP_HANDLER: 0
; COMPUTE_PGM_RSRC2:TGID_X_EN: 1
; COMPUTE_PGM_RSRC2:TGID_Y_EN: 0
; COMPUTE_PGM_RSRC2:TGID_Z_EN: 0
; COMPUTE_PGM_RSRC2:TIDIG_COMP_CNT: 0
	.section	.text._ZN9rocsparseL21csrmvt_general_kernelILj256ELj32Eli21rocsparse_complex_numIdES2_S2_S2_EEvbbT2_NS_24const_host_device_scalarIT6_EEPKT1_S9_PKS3_PKT3_PKT4_PT5_21rocsparse_index_base_b,"axG",@progbits,_ZN9rocsparseL21csrmvt_general_kernelILj256ELj32Eli21rocsparse_complex_numIdES2_S2_S2_EEvbbT2_NS_24const_host_device_scalarIT6_EEPKT1_S9_PKS3_PKT3_PKT4_PT5_21rocsparse_index_base_b,comdat
	.globl	_ZN9rocsparseL21csrmvt_general_kernelILj256ELj32Eli21rocsparse_complex_numIdES2_S2_S2_EEvbbT2_NS_24const_host_device_scalarIT6_EEPKT1_S9_PKS3_PKT3_PKT4_PT5_21rocsparse_index_base_b ; -- Begin function _ZN9rocsparseL21csrmvt_general_kernelILj256ELj32Eli21rocsparse_complex_numIdES2_S2_S2_EEvbbT2_NS_24const_host_device_scalarIT6_EEPKT1_S9_PKS3_PKT3_PKT4_PT5_21rocsparse_index_base_b
	.p2align	8
	.type	_ZN9rocsparseL21csrmvt_general_kernelILj256ELj32Eli21rocsparse_complex_numIdES2_S2_S2_EEvbbT2_NS_24const_host_device_scalarIT6_EEPKT1_S9_PKS3_PKT3_PKT4_PT5_21rocsparse_index_base_b,@function
_ZN9rocsparseL21csrmvt_general_kernelILj256ELj32Eli21rocsparse_complex_numIdES2_S2_S2_EEvbbT2_NS_24const_host_device_scalarIT6_EEPKT1_S9_PKS3_PKT3_PKT4_PT5_21rocsparse_index_base_b: ; @_ZN9rocsparseL21csrmvt_general_kernelILj256ELj32Eli21rocsparse_complex_numIdES2_S2_S2_EEvbbT2_NS_24const_host_device_scalarIT6_EEPKT1_S9_PKS3_PKT3_PKT4_PT5_21rocsparse_index_base_b
; %bb.0:
	s_clause 0x1
	s_load_b64 s[16:17], s[0:1], 0x48
	s_load_b64 s[2:3], s[0:1], 0x8
	v_mov_b32_e32 v1, 0
	s_add_nc_u64 s[4:5], s[0:1], 8
	s_wait_kmcnt 0x0
	s_bitcmp1_b32 s17, 0
	s_cselect_b32 s3, s5, s3
	s_cselect_b32 s2, s4, s2
	flat_load_b128 v[2:5], v1, s[2:3]
	s_wait_loadcnt_dscnt 0x0
	v_cmp_neq_f64_e32 vcc_lo, 0, v[2:3]
	v_cmp_neq_f64_e64 s2, 0, v[4:5]
	s_or_b32 s2, vcc_lo, s2
	s_delay_alu instid0(SALU_CYCLE_1)
	s_and_saveexec_b32 s3, s2
	s_cbranch_execz .LBB119_18
; %bb.1:
	s_clause 0x3
	s_load_b32 s4, s[0:1], 0x0
	s_load_b64 s[2:3], s[0:1], 0x0
	s_load_b32 s17, s[0:1], 0x50
	s_load_b128 s[12:15], s[0:1], 0x38
	s_getreg_b32 s19, hwreg(HW_REG_IB_STS2, 6, 4)
	s_wait_kmcnt 0x0
	s_and_b32 s18, s4, 1
	s_bitcmp1_b32 s2, 8
	s_load_b256 s[4:11], s[0:1], 0x18
	s_wait_xcnt 0x0
	s_cselect_b32 s0, -1, 0
	s_bfe_u32 s1, ttmp6, 0x4000c
	s_lshl_b32 s2, s17, 3
	s_add_co_i32 s1, s1, 1
	s_and_b32 s17, ttmp6, 15
	s_mul_i32 s1, ttmp9, s1
	s_delay_alu instid0(SALU_CYCLE_1)
	s_add_co_i32 s17, s17, s1
	s_cmp_eq_u32 s19, 0
	s_cselect_b32 s1, ttmp9, s17
	s_cmp_eq_u32 s18, 0
	v_lshl_or_b32 v1, s1, 8, v0
	s_mov_b32 s17, -1
	s_delay_alu instid0(VALU_DEP_1) | instskip(NEXT) | instid1(VALU_DEP_1)
	v_dual_lshrrev_b32 v6, 5, v1 :: v_dual_bitop2_b32 v0, 31, v0 bitop3:0x40
	v_cmp_gt_i32_e64 s1, s3, v6
	s_cbranch_scc0 .LBB119_9
; %bb.2:
	s_and_saveexec_b32 s20, s1
	s_cbranch_execz .LBB119_8
; %bb.3:
	v_dual_mov_b32 v1, 0 :: v_dual_mov_b32 v10, v6
	s_mov_b32 s17, 0
	s_wait_kmcnt 0x0
	s_add_nc_u64 s[18:19], s[10:11], 8
	s_mov_b32 s21, s17
	v_sub_nc_u64_e64 v[8:9], v[0:1], s[16:17]
	s_branch .LBB119_5
.LBB119_4:                              ;   in Loop: Header=BB119_5 Depth=1
	s_or_b32 exec_lo, exec_lo, s22
	v_add_nc_u32_e32 v10, s2, v10
	s_delay_alu instid0(VALU_DEP_1) | instskip(SKIP_1) | instid1(SALU_CYCLE_1)
	v_cmp_le_i32_e32 vcc_lo, s3, v10
	s_or_b32 s21, vcc_lo, s21
	s_and_not1_b32 exec_lo, exec_lo, s21
	s_cbranch_execz .LBB119_8
.LBB119_5:                              ; =>This Loop Header: Depth=1
                                        ;     Child Loop BB119_7 Depth 2
	s_clause 0x1
	global_load_b64 v[12:13], v10, s[6:7] scale_offset
	global_load_b64 v[14:15], v10, s[4:5] scale_offset
	s_mov_b32 s22, exec_lo
	s_wait_loadcnt 0x1
	v_sub_nc_u64_e64 v[12:13], v[12:13], s[16:17]
	s_wait_loadcnt 0x0
	v_add_nc_u64_e32 v[14:15], v[14:15], v[8:9]
	s_wait_xcnt 0x0
	s_delay_alu instid0(VALU_DEP_1)
	v_cmpx_lt_i64_e64 v[14:15], v[12:13]
	s_cbranch_execz .LBB119_4
; %bb.6:                                ;   in Loop: Header=BB119_5 Depth=1
	v_ashrrev_i32_e32 v11, 31, v10
	s_mov_b32 s23, 0
	s_delay_alu instid0(VALU_DEP_1)
	v_lshl_add_u64 v[16:17], v[10:11], 4, s[12:13]
	global_load_b128 v[20:23], v[16:17], off
	s_wait_loadcnt 0x0
	s_wait_xcnt 0x0
	v_mul_f64_e64 v[16:17], v[22:23], -v[4:5]
	v_mul_f64_e32 v[18:19], v[2:3], v[22:23]
	v_lshl_add_u64 v[22:23], v[14:15], 4, s[18:19]
	s_delay_alu instid0(VALU_DEP_3) | instskip(NEXT) | instid1(VALU_DEP_3)
	v_fmac_f64_e32 v[16:17], v[2:3], v[20:21]
	v_fmac_f64_e32 v[18:19], v[4:5], v[20:21]
	v_lshl_add_u64 v[20:21], v[14:15], 2, s[8:9]
.LBB119_7:                              ;   Parent Loop BB119_5 Depth=1
                                        ; =>  This Inner Loop Header: Depth=2
	global_load_b128 v[24:27], v[22:23], off offset:-8
	global_load_b32 v1, v[20:21], off
	v_add_nc_u64_e32 v[14:15], 32, v[14:15]
	s_wait_xcnt 0x0
	v_add_nc_u64_e32 v[20:21], 0x80, v[20:21]
	v_add_nc_u64_e32 v[22:23], 0x200, v[22:23]
	s_delay_alu instid0(VALU_DEP_3) | instskip(SKIP_3) | instid1(VALU_DEP_1)
	v_cmp_ge_i64_e32 vcc_lo, v[14:15], v[12:13]
	s_or_b32 s23, vcc_lo, s23
	s_wait_loadcnt 0x1
	v_xor_b32_e32 v7, 0x80000000, v27
	v_cndmask_b32_e64 v27, v27, v7, s0
	s_delay_alu instid0(VALU_DEP_1) | instskip(SKIP_1) | instid1(VALU_DEP_2)
	v_mul_f64_e64 v[28:29], v[26:27], -v[18:19]
	v_mul_f64_e32 v[26:27], v[16:17], v[26:27]
	v_fmac_f64_e32 v[28:29], v[16:17], v[24:25]
	s_delay_alu instid0(VALU_DEP_2) | instskip(SKIP_2) | instid1(VALU_DEP_1)
	v_fmac_f64_e32 v[26:27], v[18:19], v[24:25]
	s_wait_loadcnt 0x0
	v_subrev_nc_u32_e32 v24, s16, v1
	v_ashrrev_i32_e32 v25, 31, v24
	s_delay_alu instid0(VALU_DEP_1)
	v_lshl_add_u64 v[24:25], v[24:25], 4, s[14:15]
	global_atomic_add_f64 v[24:25], v[28:29], off scope:SCOPE_DEV
	s_wait_xcnt 0x0
	global_atomic_add_f64 v[24:25], v[26:27], off offset:8 scope:SCOPE_DEV
	s_wait_xcnt 0x0
	s_and_not1_b32 exec_lo, exec_lo, s23
	s_cbranch_execnz .LBB119_7
	s_branch .LBB119_4
.LBB119_8:
	s_or_b32 exec_lo, exec_lo, s20
	s_mov_b32 s17, 0
.LBB119_9:
	s_delay_alu instid0(SALU_CYCLE_1)
	s_and_not1_b32 vcc_lo, exec_lo, s17
	s_cbranch_vccnz .LBB119_18
; %bb.10:
	s_and_b32 exec_lo, exec_lo, s1
	s_cbranch_execz .LBB119_18
; %bb.11:
	v_mov_b32_e32 v1, 0
	s_mov_b32 s17, 0
	s_wait_kmcnt 0x0
	s_add_nc_u64 s[10:11], s[10:11], 8
	s_mov_b32 s1, s17
	v_sub_nc_u64_e64 v[0:1], v[0:1], s[16:17]
	s_branch .LBB119_13
.LBB119_12:                             ;   in Loop: Header=BB119_13 Depth=1
	s_or_b32 exec_lo, exec_lo, s18
	v_add_nc_u32_e32 v6, s2, v6
	s_delay_alu instid0(VALU_DEP_1) | instskip(SKIP_1) | instid1(SALU_CYCLE_1)
	v_cmp_le_i32_e32 vcc_lo, s3, v6
	s_or_b32 s1, vcc_lo, s1
	s_and_not1_b32 exec_lo, exec_lo, s1
	s_cbranch_execz .LBB119_18
.LBB119_13:                             ; =>This Loop Header: Depth=1
                                        ;     Child Loop BB119_16 Depth 2
	s_clause 0x1
	global_load_b64 v[8:9], v6, s[6:7] scale_offset
	global_load_b64 v[10:11], v6, s[4:5] scale_offset
	s_mov_b32 s18, exec_lo
	s_wait_loadcnt 0x1
	v_sub_nc_u64_e64 v[8:9], v[8:9], s[16:17]
	s_wait_loadcnt 0x0
	v_add_nc_u64_e32 v[10:11], v[10:11], v[0:1]
	s_wait_xcnt 0x0
	s_delay_alu instid0(VALU_DEP_1)
	v_cmpx_lt_i64_e64 v[10:11], v[8:9]
	s_cbranch_execz .LBB119_12
; %bb.14:                               ;   in Loop: Header=BB119_13 Depth=1
	v_ashrrev_i32_e32 v7, 31, v6
	s_mov_b32 s19, 0
	s_delay_alu instid0(VALU_DEP_1)
	v_lshl_add_u64 v[12:13], v[6:7], 4, s[12:13]
	global_load_b128 v[16:19], v[12:13], off
	s_wait_loadcnt 0x0
	v_mul_f64_e64 v[12:13], v[18:19], -v[4:5]
	v_mul_f64_e32 v[14:15], v[2:3], v[18:19]
	v_lshl_add_u64 v[18:19], v[10:11], 4, s[10:11]
	s_delay_alu instid0(VALU_DEP_3) | instskip(NEXT) | instid1(VALU_DEP_3)
	v_fmac_f64_e32 v[12:13], v[2:3], v[16:17]
	v_fmac_f64_e32 v[14:15], v[4:5], v[16:17]
	v_lshl_add_u64 v[16:17], v[10:11], 2, s[8:9]
	s_branch .LBB119_16
.LBB119_15:                             ;   in Loop: Header=BB119_16 Depth=2
	s_wait_xcnt 0x0
	s_or_b32 exec_lo, exec_lo, s20
	v_add_nc_u64_e32 v[10:11], 32, v[10:11]
	v_add_nc_u64_e32 v[16:17], 0x80, v[16:17]
	;; [unrolled: 1-line block ×3, first 2 shown]
	s_delay_alu instid0(VALU_DEP_3) | instskip(SKIP_1) | instid1(SALU_CYCLE_1)
	v_cmp_ge_i64_e32 vcc_lo, v[10:11], v[8:9]
	s_or_b32 s19, vcc_lo, s19
	s_and_not1_b32 exec_lo, exec_lo, s19
	s_cbranch_execz .LBB119_12
.LBB119_16:                             ;   Parent Loop BB119_13 Depth=1
                                        ; =>  This Inner Loop Header: Depth=2
	global_load_b32 v7, v[16:17], off
	s_mov_b32 s20, exec_lo
	s_wait_loadcnt 0x0
	v_subrev_nc_u32_e32 v20, s16, v7
	s_wait_xcnt 0x0
	s_delay_alu instid0(VALU_DEP_1)
	v_cmpx_ne_u32_e64 v20, v6
	s_cbranch_execz .LBB119_15
; %bb.17:                               ;   in Loop: Header=BB119_16 Depth=2
	global_load_b128 v[22:25], v[18:19], off offset:-8
	v_ashrrev_i32_e32 v21, 31, v20
	s_delay_alu instid0(VALU_DEP_1) | instskip(SKIP_2) | instid1(VALU_DEP_1)
	v_lshl_add_u64 v[20:21], v[20:21], 4, s[14:15]
	s_wait_loadcnt 0x0
	v_xor_b32_e32 v7, 0x80000000, v25
	v_cndmask_b32_e64 v25, v25, v7, s0
	s_delay_alu instid0(VALU_DEP_1) | instskip(SKIP_1) | instid1(VALU_DEP_2)
	v_mul_f64_e64 v[26:27], v[24:25], -v[14:15]
	v_mul_f64_e32 v[24:25], v[12:13], v[24:25]
	v_fmac_f64_e32 v[26:27], v[12:13], v[22:23]
	s_delay_alu instid0(VALU_DEP_2)
	v_fmac_f64_e32 v[24:25], v[14:15], v[22:23]
	s_wait_xcnt 0x0
	global_atomic_add_f64 v[20:21], v[26:27], off scope:SCOPE_DEV
	s_wait_xcnt 0x0
	global_atomic_add_f64 v[20:21], v[24:25], off offset:8 scope:SCOPE_DEV
	s_branch .LBB119_15
.LBB119_18:
	s_endpgm
	.section	.rodata,"a",@progbits
	.p2align	6, 0x0
	.amdhsa_kernel _ZN9rocsparseL21csrmvt_general_kernelILj256ELj32Eli21rocsparse_complex_numIdES2_S2_S2_EEvbbT2_NS_24const_host_device_scalarIT6_EEPKT1_S9_PKS3_PKT3_PKT4_PT5_21rocsparse_index_base_b
		.amdhsa_group_segment_fixed_size 0
		.amdhsa_private_segment_fixed_size 0
		.amdhsa_kernarg_size 336
		.amdhsa_user_sgpr_count 2
		.amdhsa_user_sgpr_dispatch_ptr 0
		.amdhsa_user_sgpr_queue_ptr 0
		.amdhsa_user_sgpr_kernarg_segment_ptr 1
		.amdhsa_user_sgpr_dispatch_id 0
		.amdhsa_user_sgpr_kernarg_preload_length 0
		.amdhsa_user_sgpr_kernarg_preload_offset 0
		.amdhsa_user_sgpr_private_segment_size 0
		.amdhsa_wavefront_size32 1
		.amdhsa_uses_dynamic_stack 0
		.amdhsa_enable_private_segment 0
		.amdhsa_system_sgpr_workgroup_id_x 1
		.amdhsa_system_sgpr_workgroup_id_y 0
		.amdhsa_system_sgpr_workgroup_id_z 0
		.amdhsa_system_sgpr_workgroup_info 0
		.amdhsa_system_vgpr_workitem_id 0
		.amdhsa_next_free_vgpr 30
		.amdhsa_next_free_sgpr 24
		.amdhsa_named_barrier_count 0
		.amdhsa_reserve_vcc 1
		.amdhsa_float_round_mode_32 0
		.amdhsa_float_round_mode_16_64 0
		.amdhsa_float_denorm_mode_32 3
		.amdhsa_float_denorm_mode_16_64 3
		.amdhsa_fp16_overflow 0
		.amdhsa_memory_ordered 1
		.amdhsa_forward_progress 1
		.amdhsa_inst_pref_size 9
		.amdhsa_round_robin_scheduling 0
		.amdhsa_exception_fp_ieee_invalid_op 0
		.amdhsa_exception_fp_denorm_src 0
		.amdhsa_exception_fp_ieee_div_zero 0
		.amdhsa_exception_fp_ieee_overflow 0
		.amdhsa_exception_fp_ieee_underflow 0
		.amdhsa_exception_fp_ieee_inexact 0
		.amdhsa_exception_int_div_zero 0
	.end_amdhsa_kernel
	.section	.text._ZN9rocsparseL21csrmvt_general_kernelILj256ELj32Eli21rocsparse_complex_numIdES2_S2_S2_EEvbbT2_NS_24const_host_device_scalarIT6_EEPKT1_S9_PKS3_PKT3_PKT4_PT5_21rocsparse_index_base_b,"axG",@progbits,_ZN9rocsparseL21csrmvt_general_kernelILj256ELj32Eli21rocsparse_complex_numIdES2_S2_S2_EEvbbT2_NS_24const_host_device_scalarIT6_EEPKT1_S9_PKS3_PKT3_PKT4_PT5_21rocsparse_index_base_b,comdat
.Lfunc_end119:
	.size	_ZN9rocsparseL21csrmvt_general_kernelILj256ELj32Eli21rocsparse_complex_numIdES2_S2_S2_EEvbbT2_NS_24const_host_device_scalarIT6_EEPKT1_S9_PKS3_PKT3_PKT4_PT5_21rocsparse_index_base_b, .Lfunc_end119-_ZN9rocsparseL21csrmvt_general_kernelILj256ELj32Eli21rocsparse_complex_numIdES2_S2_S2_EEvbbT2_NS_24const_host_device_scalarIT6_EEPKT1_S9_PKS3_PKT3_PKT4_PT5_21rocsparse_index_base_b
                                        ; -- End function
	.set _ZN9rocsparseL21csrmvt_general_kernelILj256ELj32Eli21rocsparse_complex_numIdES2_S2_S2_EEvbbT2_NS_24const_host_device_scalarIT6_EEPKT1_S9_PKS3_PKT3_PKT4_PT5_21rocsparse_index_base_b.num_vgpr, 30
	.set _ZN9rocsparseL21csrmvt_general_kernelILj256ELj32Eli21rocsparse_complex_numIdES2_S2_S2_EEvbbT2_NS_24const_host_device_scalarIT6_EEPKT1_S9_PKS3_PKT3_PKT4_PT5_21rocsparse_index_base_b.num_agpr, 0
	.set _ZN9rocsparseL21csrmvt_general_kernelILj256ELj32Eli21rocsparse_complex_numIdES2_S2_S2_EEvbbT2_NS_24const_host_device_scalarIT6_EEPKT1_S9_PKS3_PKT3_PKT4_PT5_21rocsparse_index_base_b.numbered_sgpr, 24
	.set _ZN9rocsparseL21csrmvt_general_kernelILj256ELj32Eli21rocsparse_complex_numIdES2_S2_S2_EEvbbT2_NS_24const_host_device_scalarIT6_EEPKT1_S9_PKS3_PKT3_PKT4_PT5_21rocsparse_index_base_b.num_named_barrier, 0
	.set _ZN9rocsparseL21csrmvt_general_kernelILj256ELj32Eli21rocsparse_complex_numIdES2_S2_S2_EEvbbT2_NS_24const_host_device_scalarIT6_EEPKT1_S9_PKS3_PKT3_PKT4_PT5_21rocsparse_index_base_b.private_seg_size, 0
	.set _ZN9rocsparseL21csrmvt_general_kernelILj256ELj32Eli21rocsparse_complex_numIdES2_S2_S2_EEvbbT2_NS_24const_host_device_scalarIT6_EEPKT1_S9_PKS3_PKT3_PKT4_PT5_21rocsparse_index_base_b.uses_vcc, 1
	.set _ZN9rocsparseL21csrmvt_general_kernelILj256ELj32Eli21rocsparse_complex_numIdES2_S2_S2_EEvbbT2_NS_24const_host_device_scalarIT6_EEPKT1_S9_PKS3_PKT3_PKT4_PT5_21rocsparse_index_base_b.uses_flat_scratch, 0
	.set _ZN9rocsparseL21csrmvt_general_kernelILj256ELj32Eli21rocsparse_complex_numIdES2_S2_S2_EEvbbT2_NS_24const_host_device_scalarIT6_EEPKT1_S9_PKS3_PKT3_PKT4_PT5_21rocsparse_index_base_b.has_dyn_sized_stack, 0
	.set _ZN9rocsparseL21csrmvt_general_kernelILj256ELj32Eli21rocsparse_complex_numIdES2_S2_S2_EEvbbT2_NS_24const_host_device_scalarIT6_EEPKT1_S9_PKS3_PKT3_PKT4_PT5_21rocsparse_index_base_b.has_recursion, 0
	.set _ZN9rocsparseL21csrmvt_general_kernelILj256ELj32Eli21rocsparse_complex_numIdES2_S2_S2_EEvbbT2_NS_24const_host_device_scalarIT6_EEPKT1_S9_PKS3_PKT3_PKT4_PT5_21rocsparse_index_base_b.has_indirect_call, 0
	.section	.AMDGPU.csdata,"",@progbits
; Kernel info:
; codeLenInByte = 1088
; TotalNumSgprs: 26
; NumVgprs: 30
; ScratchSize: 0
; MemoryBound: 0
; FloatMode: 240
; IeeeMode: 1
; LDSByteSize: 0 bytes/workgroup (compile time only)
; SGPRBlocks: 0
; VGPRBlocks: 1
; NumSGPRsForWavesPerEU: 26
; NumVGPRsForWavesPerEU: 30
; NamedBarCnt: 0
; Occupancy: 16
; WaveLimiterHint : 1
; COMPUTE_PGM_RSRC2:SCRATCH_EN: 0
; COMPUTE_PGM_RSRC2:USER_SGPR: 2
; COMPUTE_PGM_RSRC2:TRAP_HANDLER: 0
; COMPUTE_PGM_RSRC2:TGID_X_EN: 1
; COMPUTE_PGM_RSRC2:TGID_Y_EN: 0
; COMPUTE_PGM_RSRC2:TGID_Z_EN: 0
; COMPUTE_PGM_RSRC2:TIDIG_COMP_CNT: 0
	.section	.text._ZN9rocsparseL21csrmvt_general_kernelILj256ELj64Eli21rocsparse_complex_numIdES2_S2_S2_EEvbbT2_NS_24const_host_device_scalarIT6_EEPKT1_S9_PKS3_PKT3_PKT4_PT5_21rocsparse_index_base_b,"axG",@progbits,_ZN9rocsparseL21csrmvt_general_kernelILj256ELj64Eli21rocsparse_complex_numIdES2_S2_S2_EEvbbT2_NS_24const_host_device_scalarIT6_EEPKT1_S9_PKS3_PKT3_PKT4_PT5_21rocsparse_index_base_b,comdat
	.globl	_ZN9rocsparseL21csrmvt_general_kernelILj256ELj64Eli21rocsparse_complex_numIdES2_S2_S2_EEvbbT2_NS_24const_host_device_scalarIT6_EEPKT1_S9_PKS3_PKT3_PKT4_PT5_21rocsparse_index_base_b ; -- Begin function _ZN9rocsparseL21csrmvt_general_kernelILj256ELj64Eli21rocsparse_complex_numIdES2_S2_S2_EEvbbT2_NS_24const_host_device_scalarIT6_EEPKT1_S9_PKS3_PKT3_PKT4_PT5_21rocsparse_index_base_b
	.p2align	8
	.type	_ZN9rocsparseL21csrmvt_general_kernelILj256ELj64Eli21rocsparse_complex_numIdES2_S2_S2_EEvbbT2_NS_24const_host_device_scalarIT6_EEPKT1_S9_PKS3_PKT3_PKT4_PT5_21rocsparse_index_base_b,@function
_ZN9rocsparseL21csrmvt_general_kernelILj256ELj64Eli21rocsparse_complex_numIdES2_S2_S2_EEvbbT2_NS_24const_host_device_scalarIT6_EEPKT1_S9_PKS3_PKT3_PKT4_PT5_21rocsparse_index_base_b: ; @_ZN9rocsparseL21csrmvt_general_kernelILj256ELj64Eli21rocsparse_complex_numIdES2_S2_S2_EEvbbT2_NS_24const_host_device_scalarIT6_EEPKT1_S9_PKS3_PKT3_PKT4_PT5_21rocsparse_index_base_b
; %bb.0:
	s_clause 0x1
	s_load_b64 s[16:17], s[0:1], 0x48
	s_load_b64 s[2:3], s[0:1], 0x8
	v_mov_b32_e32 v1, 0
	s_add_nc_u64 s[4:5], s[0:1], 8
	s_wait_kmcnt 0x0
	s_bitcmp1_b32 s17, 0
	s_cselect_b32 s3, s5, s3
	s_cselect_b32 s2, s4, s2
	flat_load_b128 v[2:5], v1, s[2:3]
	s_wait_loadcnt_dscnt 0x0
	v_cmp_neq_f64_e32 vcc_lo, 0, v[2:3]
	v_cmp_neq_f64_e64 s2, 0, v[4:5]
	s_or_b32 s2, vcc_lo, s2
	s_delay_alu instid0(SALU_CYCLE_1)
	s_and_saveexec_b32 s3, s2
	s_cbranch_execz .LBB120_18
; %bb.1:
	s_clause 0x3
	s_load_b32 s4, s[0:1], 0x0
	s_load_b64 s[2:3], s[0:1], 0x0
	s_load_b32 s17, s[0:1], 0x50
	s_load_b128 s[12:15], s[0:1], 0x38
	s_getreg_b32 s19, hwreg(HW_REG_IB_STS2, 6, 4)
	s_wait_kmcnt 0x0
	s_and_b32 s18, s4, 1
	s_bitcmp1_b32 s2, 8
	s_load_b256 s[4:11], s[0:1], 0x18
	s_wait_xcnt 0x0
	s_cselect_b32 s0, -1, 0
	s_bfe_u32 s1, ttmp6, 0x4000c
	s_lshl_b32 s2, s17, 2
	s_add_co_i32 s1, s1, 1
	s_and_b32 s17, ttmp6, 15
	s_mul_i32 s1, ttmp9, s1
	s_delay_alu instid0(SALU_CYCLE_1)
	s_add_co_i32 s17, s17, s1
	s_cmp_eq_u32 s19, 0
	s_cselect_b32 s1, ttmp9, s17
	s_cmp_eq_u32 s18, 0
	v_lshl_or_b32 v1, s1, 8, v0
	s_mov_b32 s17, -1
	s_delay_alu instid0(VALU_DEP_1) | instskip(NEXT) | instid1(VALU_DEP_1)
	v_dual_lshrrev_b32 v6, 6, v1 :: v_dual_bitop2_b32 v0, 63, v0 bitop3:0x40
	v_cmp_gt_i32_e64 s1, s3, v6
	s_cbranch_scc0 .LBB120_9
; %bb.2:
	s_and_saveexec_b32 s20, s1
	s_cbranch_execz .LBB120_8
; %bb.3:
	v_dual_mov_b32 v1, 0 :: v_dual_mov_b32 v10, v6
	s_mov_b32 s17, 0
	s_wait_kmcnt 0x0
	s_add_nc_u64 s[18:19], s[10:11], 8
	s_mov_b32 s21, s17
	v_sub_nc_u64_e64 v[8:9], v[0:1], s[16:17]
	s_branch .LBB120_5
.LBB120_4:                              ;   in Loop: Header=BB120_5 Depth=1
	s_or_b32 exec_lo, exec_lo, s22
	v_add_nc_u32_e32 v10, s2, v10
	s_delay_alu instid0(VALU_DEP_1) | instskip(SKIP_1) | instid1(SALU_CYCLE_1)
	v_cmp_le_i32_e32 vcc_lo, s3, v10
	s_or_b32 s21, vcc_lo, s21
	s_and_not1_b32 exec_lo, exec_lo, s21
	s_cbranch_execz .LBB120_8
.LBB120_5:                              ; =>This Loop Header: Depth=1
                                        ;     Child Loop BB120_7 Depth 2
	s_clause 0x1
	global_load_b64 v[12:13], v10, s[6:7] scale_offset
	global_load_b64 v[14:15], v10, s[4:5] scale_offset
	s_mov_b32 s22, exec_lo
	s_wait_loadcnt 0x1
	v_sub_nc_u64_e64 v[12:13], v[12:13], s[16:17]
	s_wait_loadcnt 0x0
	v_add_nc_u64_e32 v[14:15], v[14:15], v[8:9]
	s_wait_xcnt 0x0
	s_delay_alu instid0(VALU_DEP_1)
	v_cmpx_lt_i64_e64 v[14:15], v[12:13]
	s_cbranch_execz .LBB120_4
; %bb.6:                                ;   in Loop: Header=BB120_5 Depth=1
	v_ashrrev_i32_e32 v11, 31, v10
	s_mov_b32 s23, 0
	s_delay_alu instid0(VALU_DEP_1)
	v_lshl_add_u64 v[16:17], v[10:11], 4, s[12:13]
	global_load_b128 v[20:23], v[16:17], off
	s_wait_loadcnt 0x0
	s_wait_xcnt 0x0
	v_mul_f64_e64 v[16:17], v[22:23], -v[4:5]
	v_mul_f64_e32 v[18:19], v[2:3], v[22:23]
	v_lshl_add_u64 v[22:23], v[14:15], 4, s[18:19]
	s_delay_alu instid0(VALU_DEP_3) | instskip(NEXT) | instid1(VALU_DEP_3)
	v_fmac_f64_e32 v[16:17], v[2:3], v[20:21]
	v_fmac_f64_e32 v[18:19], v[4:5], v[20:21]
	v_lshl_add_u64 v[20:21], v[14:15], 2, s[8:9]
.LBB120_7:                              ;   Parent Loop BB120_5 Depth=1
                                        ; =>  This Inner Loop Header: Depth=2
	global_load_b128 v[24:27], v[22:23], off offset:-8
	global_load_b32 v1, v[20:21], off
	v_add_nc_u64_e32 v[14:15], 64, v[14:15]
	s_wait_xcnt 0x0
	v_add_nc_u64_e32 v[20:21], 0x100, v[20:21]
	v_add_nc_u64_e32 v[22:23], 0x400, v[22:23]
	s_delay_alu instid0(VALU_DEP_3) | instskip(SKIP_3) | instid1(VALU_DEP_1)
	v_cmp_ge_i64_e32 vcc_lo, v[14:15], v[12:13]
	s_or_b32 s23, vcc_lo, s23
	s_wait_loadcnt 0x1
	v_xor_b32_e32 v7, 0x80000000, v27
	v_cndmask_b32_e64 v27, v27, v7, s0
	s_delay_alu instid0(VALU_DEP_1) | instskip(SKIP_1) | instid1(VALU_DEP_2)
	v_mul_f64_e64 v[28:29], v[26:27], -v[18:19]
	v_mul_f64_e32 v[26:27], v[16:17], v[26:27]
	v_fmac_f64_e32 v[28:29], v[16:17], v[24:25]
	s_delay_alu instid0(VALU_DEP_2) | instskip(SKIP_2) | instid1(VALU_DEP_1)
	v_fmac_f64_e32 v[26:27], v[18:19], v[24:25]
	s_wait_loadcnt 0x0
	v_subrev_nc_u32_e32 v24, s16, v1
	v_ashrrev_i32_e32 v25, 31, v24
	s_delay_alu instid0(VALU_DEP_1)
	v_lshl_add_u64 v[24:25], v[24:25], 4, s[14:15]
	global_atomic_add_f64 v[24:25], v[28:29], off scope:SCOPE_DEV
	s_wait_xcnt 0x0
	global_atomic_add_f64 v[24:25], v[26:27], off offset:8 scope:SCOPE_DEV
	s_wait_xcnt 0x0
	s_and_not1_b32 exec_lo, exec_lo, s23
	s_cbranch_execnz .LBB120_7
	s_branch .LBB120_4
.LBB120_8:
	s_or_b32 exec_lo, exec_lo, s20
	s_mov_b32 s17, 0
.LBB120_9:
	s_delay_alu instid0(SALU_CYCLE_1)
	s_and_not1_b32 vcc_lo, exec_lo, s17
	s_cbranch_vccnz .LBB120_18
; %bb.10:
	s_and_b32 exec_lo, exec_lo, s1
	s_cbranch_execz .LBB120_18
; %bb.11:
	v_mov_b32_e32 v1, 0
	s_mov_b32 s17, 0
	s_wait_kmcnt 0x0
	s_add_nc_u64 s[10:11], s[10:11], 8
	s_mov_b32 s1, s17
	v_sub_nc_u64_e64 v[0:1], v[0:1], s[16:17]
	s_branch .LBB120_13
.LBB120_12:                             ;   in Loop: Header=BB120_13 Depth=1
	s_or_b32 exec_lo, exec_lo, s18
	v_add_nc_u32_e32 v6, s2, v6
	s_delay_alu instid0(VALU_DEP_1) | instskip(SKIP_1) | instid1(SALU_CYCLE_1)
	v_cmp_le_i32_e32 vcc_lo, s3, v6
	s_or_b32 s1, vcc_lo, s1
	s_and_not1_b32 exec_lo, exec_lo, s1
	s_cbranch_execz .LBB120_18
.LBB120_13:                             ; =>This Loop Header: Depth=1
                                        ;     Child Loop BB120_16 Depth 2
	s_clause 0x1
	global_load_b64 v[8:9], v6, s[6:7] scale_offset
	global_load_b64 v[10:11], v6, s[4:5] scale_offset
	s_mov_b32 s18, exec_lo
	s_wait_loadcnt 0x1
	v_sub_nc_u64_e64 v[8:9], v[8:9], s[16:17]
	s_wait_loadcnt 0x0
	v_add_nc_u64_e32 v[10:11], v[10:11], v[0:1]
	s_wait_xcnt 0x0
	s_delay_alu instid0(VALU_DEP_1)
	v_cmpx_lt_i64_e64 v[10:11], v[8:9]
	s_cbranch_execz .LBB120_12
; %bb.14:                               ;   in Loop: Header=BB120_13 Depth=1
	v_ashrrev_i32_e32 v7, 31, v6
	s_mov_b32 s19, 0
	s_delay_alu instid0(VALU_DEP_1)
	v_lshl_add_u64 v[12:13], v[6:7], 4, s[12:13]
	global_load_b128 v[16:19], v[12:13], off
	s_wait_loadcnt 0x0
	v_mul_f64_e64 v[12:13], v[18:19], -v[4:5]
	v_mul_f64_e32 v[14:15], v[2:3], v[18:19]
	v_lshl_add_u64 v[18:19], v[10:11], 4, s[10:11]
	s_delay_alu instid0(VALU_DEP_3) | instskip(NEXT) | instid1(VALU_DEP_3)
	v_fmac_f64_e32 v[12:13], v[2:3], v[16:17]
	v_fmac_f64_e32 v[14:15], v[4:5], v[16:17]
	v_lshl_add_u64 v[16:17], v[10:11], 2, s[8:9]
	s_branch .LBB120_16
.LBB120_15:                             ;   in Loop: Header=BB120_16 Depth=2
	s_wait_xcnt 0x0
	s_or_b32 exec_lo, exec_lo, s20
	v_add_nc_u64_e32 v[10:11], 64, v[10:11]
	v_add_nc_u64_e32 v[16:17], 0x100, v[16:17]
	;; [unrolled: 1-line block ×3, first 2 shown]
	s_delay_alu instid0(VALU_DEP_3) | instskip(SKIP_1) | instid1(SALU_CYCLE_1)
	v_cmp_ge_i64_e32 vcc_lo, v[10:11], v[8:9]
	s_or_b32 s19, vcc_lo, s19
	s_and_not1_b32 exec_lo, exec_lo, s19
	s_cbranch_execz .LBB120_12
.LBB120_16:                             ;   Parent Loop BB120_13 Depth=1
                                        ; =>  This Inner Loop Header: Depth=2
	global_load_b32 v7, v[16:17], off
	s_mov_b32 s20, exec_lo
	s_wait_loadcnt 0x0
	v_subrev_nc_u32_e32 v20, s16, v7
	s_wait_xcnt 0x0
	s_delay_alu instid0(VALU_DEP_1)
	v_cmpx_ne_u32_e64 v20, v6
	s_cbranch_execz .LBB120_15
; %bb.17:                               ;   in Loop: Header=BB120_16 Depth=2
	global_load_b128 v[22:25], v[18:19], off offset:-8
	v_ashrrev_i32_e32 v21, 31, v20
	s_delay_alu instid0(VALU_DEP_1) | instskip(SKIP_2) | instid1(VALU_DEP_1)
	v_lshl_add_u64 v[20:21], v[20:21], 4, s[14:15]
	s_wait_loadcnt 0x0
	v_xor_b32_e32 v7, 0x80000000, v25
	v_cndmask_b32_e64 v25, v25, v7, s0
	s_delay_alu instid0(VALU_DEP_1) | instskip(SKIP_1) | instid1(VALU_DEP_2)
	v_mul_f64_e64 v[26:27], v[24:25], -v[14:15]
	v_mul_f64_e32 v[24:25], v[12:13], v[24:25]
	v_fmac_f64_e32 v[26:27], v[12:13], v[22:23]
	s_delay_alu instid0(VALU_DEP_2)
	v_fmac_f64_e32 v[24:25], v[14:15], v[22:23]
	s_wait_xcnt 0x0
	global_atomic_add_f64 v[20:21], v[26:27], off scope:SCOPE_DEV
	s_wait_xcnt 0x0
	global_atomic_add_f64 v[20:21], v[24:25], off offset:8 scope:SCOPE_DEV
	s_branch .LBB120_15
.LBB120_18:
	s_endpgm
	.section	.rodata,"a",@progbits
	.p2align	6, 0x0
	.amdhsa_kernel _ZN9rocsparseL21csrmvt_general_kernelILj256ELj64Eli21rocsparse_complex_numIdES2_S2_S2_EEvbbT2_NS_24const_host_device_scalarIT6_EEPKT1_S9_PKS3_PKT3_PKT4_PT5_21rocsparse_index_base_b
		.amdhsa_group_segment_fixed_size 0
		.amdhsa_private_segment_fixed_size 0
		.amdhsa_kernarg_size 336
		.amdhsa_user_sgpr_count 2
		.amdhsa_user_sgpr_dispatch_ptr 0
		.amdhsa_user_sgpr_queue_ptr 0
		.amdhsa_user_sgpr_kernarg_segment_ptr 1
		.amdhsa_user_sgpr_dispatch_id 0
		.amdhsa_user_sgpr_kernarg_preload_length 0
		.amdhsa_user_sgpr_kernarg_preload_offset 0
		.amdhsa_user_sgpr_private_segment_size 0
		.amdhsa_wavefront_size32 1
		.amdhsa_uses_dynamic_stack 0
		.amdhsa_enable_private_segment 0
		.amdhsa_system_sgpr_workgroup_id_x 1
		.amdhsa_system_sgpr_workgroup_id_y 0
		.amdhsa_system_sgpr_workgroup_id_z 0
		.amdhsa_system_sgpr_workgroup_info 0
		.amdhsa_system_vgpr_workitem_id 0
		.amdhsa_next_free_vgpr 30
		.amdhsa_next_free_sgpr 24
		.amdhsa_named_barrier_count 0
		.amdhsa_reserve_vcc 1
		.amdhsa_float_round_mode_32 0
		.amdhsa_float_round_mode_16_64 0
		.amdhsa_float_denorm_mode_32 3
		.amdhsa_float_denorm_mode_16_64 3
		.amdhsa_fp16_overflow 0
		.amdhsa_memory_ordered 1
		.amdhsa_forward_progress 1
		.amdhsa_inst_pref_size 9
		.amdhsa_round_robin_scheduling 0
		.amdhsa_exception_fp_ieee_invalid_op 0
		.amdhsa_exception_fp_denorm_src 0
		.amdhsa_exception_fp_ieee_div_zero 0
		.amdhsa_exception_fp_ieee_overflow 0
		.amdhsa_exception_fp_ieee_underflow 0
		.amdhsa_exception_fp_ieee_inexact 0
		.amdhsa_exception_int_div_zero 0
	.end_amdhsa_kernel
	.section	.text._ZN9rocsparseL21csrmvt_general_kernelILj256ELj64Eli21rocsparse_complex_numIdES2_S2_S2_EEvbbT2_NS_24const_host_device_scalarIT6_EEPKT1_S9_PKS3_PKT3_PKT4_PT5_21rocsparse_index_base_b,"axG",@progbits,_ZN9rocsparseL21csrmvt_general_kernelILj256ELj64Eli21rocsparse_complex_numIdES2_S2_S2_EEvbbT2_NS_24const_host_device_scalarIT6_EEPKT1_S9_PKS3_PKT3_PKT4_PT5_21rocsparse_index_base_b,comdat
.Lfunc_end120:
	.size	_ZN9rocsparseL21csrmvt_general_kernelILj256ELj64Eli21rocsparse_complex_numIdES2_S2_S2_EEvbbT2_NS_24const_host_device_scalarIT6_EEPKT1_S9_PKS3_PKT3_PKT4_PT5_21rocsparse_index_base_b, .Lfunc_end120-_ZN9rocsparseL21csrmvt_general_kernelILj256ELj64Eli21rocsparse_complex_numIdES2_S2_S2_EEvbbT2_NS_24const_host_device_scalarIT6_EEPKT1_S9_PKS3_PKT3_PKT4_PT5_21rocsparse_index_base_b
                                        ; -- End function
	.set _ZN9rocsparseL21csrmvt_general_kernelILj256ELj64Eli21rocsparse_complex_numIdES2_S2_S2_EEvbbT2_NS_24const_host_device_scalarIT6_EEPKT1_S9_PKS3_PKT3_PKT4_PT5_21rocsparse_index_base_b.num_vgpr, 30
	.set _ZN9rocsparseL21csrmvt_general_kernelILj256ELj64Eli21rocsparse_complex_numIdES2_S2_S2_EEvbbT2_NS_24const_host_device_scalarIT6_EEPKT1_S9_PKS3_PKT3_PKT4_PT5_21rocsparse_index_base_b.num_agpr, 0
	.set _ZN9rocsparseL21csrmvt_general_kernelILj256ELj64Eli21rocsparse_complex_numIdES2_S2_S2_EEvbbT2_NS_24const_host_device_scalarIT6_EEPKT1_S9_PKS3_PKT3_PKT4_PT5_21rocsparse_index_base_b.numbered_sgpr, 24
	.set _ZN9rocsparseL21csrmvt_general_kernelILj256ELj64Eli21rocsparse_complex_numIdES2_S2_S2_EEvbbT2_NS_24const_host_device_scalarIT6_EEPKT1_S9_PKS3_PKT3_PKT4_PT5_21rocsparse_index_base_b.num_named_barrier, 0
	.set _ZN9rocsparseL21csrmvt_general_kernelILj256ELj64Eli21rocsparse_complex_numIdES2_S2_S2_EEvbbT2_NS_24const_host_device_scalarIT6_EEPKT1_S9_PKS3_PKT3_PKT4_PT5_21rocsparse_index_base_b.private_seg_size, 0
	.set _ZN9rocsparseL21csrmvt_general_kernelILj256ELj64Eli21rocsparse_complex_numIdES2_S2_S2_EEvbbT2_NS_24const_host_device_scalarIT6_EEPKT1_S9_PKS3_PKT3_PKT4_PT5_21rocsparse_index_base_b.uses_vcc, 1
	.set _ZN9rocsparseL21csrmvt_general_kernelILj256ELj64Eli21rocsparse_complex_numIdES2_S2_S2_EEvbbT2_NS_24const_host_device_scalarIT6_EEPKT1_S9_PKS3_PKT3_PKT4_PT5_21rocsparse_index_base_b.uses_flat_scratch, 0
	.set _ZN9rocsparseL21csrmvt_general_kernelILj256ELj64Eli21rocsparse_complex_numIdES2_S2_S2_EEvbbT2_NS_24const_host_device_scalarIT6_EEPKT1_S9_PKS3_PKT3_PKT4_PT5_21rocsparse_index_base_b.has_dyn_sized_stack, 0
	.set _ZN9rocsparseL21csrmvt_general_kernelILj256ELj64Eli21rocsparse_complex_numIdES2_S2_S2_EEvbbT2_NS_24const_host_device_scalarIT6_EEPKT1_S9_PKS3_PKT3_PKT4_PT5_21rocsparse_index_base_b.has_recursion, 0
	.set _ZN9rocsparseL21csrmvt_general_kernelILj256ELj64Eli21rocsparse_complex_numIdES2_S2_S2_EEvbbT2_NS_24const_host_device_scalarIT6_EEPKT1_S9_PKS3_PKT3_PKT4_PT5_21rocsparse_index_base_b.has_indirect_call, 0
	.section	.AMDGPU.csdata,"",@progbits
; Kernel info:
; codeLenInByte = 1088
; TotalNumSgprs: 26
; NumVgprs: 30
; ScratchSize: 0
; MemoryBound: 0
; FloatMode: 240
; IeeeMode: 1
; LDSByteSize: 0 bytes/workgroup (compile time only)
; SGPRBlocks: 0
; VGPRBlocks: 1
; NumSGPRsForWavesPerEU: 26
; NumVGPRsForWavesPerEU: 30
; NamedBarCnt: 0
; Occupancy: 16
; WaveLimiterHint : 1
; COMPUTE_PGM_RSRC2:SCRATCH_EN: 0
; COMPUTE_PGM_RSRC2:USER_SGPR: 2
; COMPUTE_PGM_RSRC2:TRAP_HANDLER: 0
; COMPUTE_PGM_RSRC2:TGID_X_EN: 1
; COMPUTE_PGM_RSRC2:TGID_Y_EN: 0
; COMPUTE_PGM_RSRC2:TGID_Z_EN: 0
; COMPUTE_PGM_RSRC2:TIDIG_COMP_CNT: 0
	.section	.text._ZN9rocsparseL21csrmvn_general_kernelILj256ELj2Ell21rocsparse_complex_numIdES2_S2_S2_EEvbT2_NS_24const_host_device_scalarIT6_EEPKT1_S9_PKS3_PKT3_PKT4_S6_PT5_21rocsparse_index_base_b,"axG",@progbits,_ZN9rocsparseL21csrmvn_general_kernelILj256ELj2Ell21rocsparse_complex_numIdES2_S2_S2_EEvbT2_NS_24const_host_device_scalarIT6_EEPKT1_S9_PKS3_PKT3_PKT4_S6_PT5_21rocsparse_index_base_b,comdat
	.globl	_ZN9rocsparseL21csrmvn_general_kernelILj256ELj2Ell21rocsparse_complex_numIdES2_S2_S2_EEvbT2_NS_24const_host_device_scalarIT6_EEPKT1_S9_PKS3_PKT3_PKT4_S6_PT5_21rocsparse_index_base_b ; -- Begin function _ZN9rocsparseL21csrmvn_general_kernelILj256ELj2Ell21rocsparse_complex_numIdES2_S2_S2_EEvbT2_NS_24const_host_device_scalarIT6_EEPKT1_S9_PKS3_PKT3_PKT4_S6_PT5_21rocsparse_index_base_b
	.p2align	8
	.type	_ZN9rocsparseL21csrmvn_general_kernelILj256ELj2Ell21rocsparse_complex_numIdES2_S2_S2_EEvbT2_NS_24const_host_device_scalarIT6_EEPKT1_S9_PKS3_PKT3_PKT4_S6_PT5_21rocsparse_index_base_b,@function
_ZN9rocsparseL21csrmvn_general_kernelILj256ELj2Ell21rocsparse_complex_numIdES2_S2_S2_EEvbT2_NS_24const_host_device_scalarIT6_EEPKT1_S9_PKS3_PKT3_PKT4_S6_PT5_21rocsparse_index_base_b: ; @_ZN9rocsparseL21csrmvn_general_kernelILj256ELj2Ell21rocsparse_complex_numIdES2_S2_S2_EEvbT2_NS_24const_host_device_scalarIT6_EEPKT1_S9_PKS3_PKT3_PKT4_S6_PT5_21rocsparse_index_base_b
; %bb.0:
	s_clause 0x1
	s_load_b64 s[16:17], s[0:1], 0x60
	s_load_b128 s[12:15], s[0:1], 0x8
	v_mov_b32_e32 v1, 0
	s_add_nc_u64 s[2:3], s[0:1], 16
	s_load_b64 s[4:5], s[0:1], 0x48
	s_wait_kmcnt 0x0
	s_bitcmp1_b32 s17, 0
	s_cselect_b32 s3, s3, s15
	s_cselect_b32 s2, s2, s14
	flat_load_b128 v[2:5], v1, s[2:3]
	s_wait_xcnt 0x0
	s_add_nc_u64 s[2:3], s[0:1], 0x48
	s_delay_alu instid0(SALU_CYCLE_1)
	s_cselect_b32 s3, s3, s5
	s_cselect_b32 s2, s2, s4
	flat_load_b128 v[6:9], v1, s[2:3]
	s_wait_loadcnt_dscnt 0x101
	v_cmp_eq_f64_e32 vcc_lo, 0, v[2:3]
	s_wait_xcnt 0x0
	v_cmp_eq_f64_e64 s2, 0, v[4:5]
	s_and_b32 s4, vcc_lo, s2
	s_mov_b32 s2, -1
	s_and_saveexec_b32 s3, s4
	s_cbranch_execz .LBB121_2
; %bb.1:
	s_wait_loadcnt_dscnt 0x0
	v_cmp_neq_f64_e32 vcc_lo, 1.0, v[6:7]
	v_cmp_neq_f64_e64 s2, 0, v[8:9]
	s_or_b32 s2, vcc_lo, s2
	s_delay_alu instid0(SALU_CYCLE_1)
	s_or_not1_b32 s2, s2, exec_lo
.LBB121_2:
	s_or_b32 exec_lo, exec_lo, s3
	s_and_saveexec_b32 s3, s2
	s_cbranch_execz .LBB121_14
; %bb.3:
	s_bfe_u32 s2, ttmp6, 0x4000c
	s_and_b32 s3, ttmp6, 15
	s_add_co_i32 s2, s2, 1
	s_getreg_b32 s4, hwreg(HW_REG_IB_STS2, 6, 4)
	s_mul_i32 s2, ttmp9, s2
	s_mov_b32 s15, 0
	s_add_co_i32 s3, s3, s2
	s_cmp_eq_u32 s4, 0
	v_mov_b32_e32 v15, 0
	s_cselect_b32 s2, ttmp9, s3
	s_delay_alu instid0(SALU_CYCLE_1) | instskip(NEXT) | instid1(VALU_DEP_1)
	v_lshl_or_b32 v1, s2, 8, v0
	v_lshrrev_b32_e32 v14, 1, v1
	s_delay_alu instid0(VALU_DEP_1)
	v_cmp_gt_i64_e32 vcc_lo, s[12:13], v[14:15]
	s_and_b32 exec_lo, exec_lo, vcc_lo
	s_cbranch_execz .LBB121_14
; %bb.4:
	s_wait_loadcnt_dscnt 0x0
	v_cmp_neq_f64_e64 s2, 0, v[6:7]
	v_cmp_neq_f64_e64 s3, 0, v[8:9]
	s_clause 0x2
	s_load_b32 s14, s[0:1], 0x68
	s_load_b32 s23, s[0:1], 0x0
	s_load_b256 s[4:11], s[0:1], 0x20
	v_mbcnt_lo_u32_b32 v12, -1, 0
	s_clause 0x1
	s_load_b64 s[20:21], s[0:1], 0x40
	s_load_b64 s[18:19], s[0:1], 0x58
	v_dual_mov_b32 v11, v15 :: v_dual_bitop2_b32 v10, 1, v0 bitop3:0x40
	s_mov_b32 s17, s15
	v_xor_b32_e32 v13, 1, v12
	s_mov_b32 s22, s16
	s_delay_alu instid0(VALU_DEP_2) | instskip(NEXT) | instid1(VALU_DEP_2)
	v_sub_nc_u64_e64 v[0:1], v[10:11], s[16:17]
	v_cmp_gt_i32_e32 vcc_lo, 32, v13
	v_cndmask_b32_e32 v11, v12, v13, vcc_lo
	v_cmp_eq_u32_e32 vcc_lo, 1, v10
	s_wait_kmcnt 0x0
	s_lshl_b32 s14, s14, 7
	s_bitcmp1_b32 s23, 0
	s_add_nc_u64 s[10:11], s[10:11], 8
	s_cselect_b32 s0, -1, 0
	s_ashr_i32 s23, s16, 31
	v_lshlrev_b32_e32 v24, 2, v11
	s_lshl_b64 s[22:23], s[22:23], 4
	s_delay_alu instid0(SALU_CYCLE_1)
	s_sub_nc_u64 s[20:21], s[20:21], s[22:23]
	s_or_b32 s2, s2, s3
	s_mov_b32 s3, s15
	s_branch .LBB121_7
.LBB121_5:                              ;   in Loop: Header=BB121_7 Depth=1
	s_wait_xcnt 0x0
	s_or_b32 exec_lo, exec_lo, s22
	global_store_b128 v[16:17], v[10:13], off
.LBB121_6:                              ;   in Loop: Header=BB121_7 Depth=1
	s_wait_xcnt 0x0
	s_or_b32 exec_lo, exec_lo, s1
	v_add_nc_u64_e32 v[14:15], s[14:15], v[14:15]
	s_delay_alu instid0(VALU_DEP_1) | instskip(SKIP_1) | instid1(SALU_CYCLE_1)
	v_cmp_le_i64_e64 s1, s[12:13], v[14:15]
	s_or_b32 s3, s1, s3
	s_and_not1_b32 exec_lo, exec_lo, s3
	s_cbranch_execz .LBB121_14
.LBB121_7:                              ; =>This Loop Header: Depth=1
                                        ;     Child Loop BB121_9 Depth 2
	v_lshlrev_b64_e32 v[10:11], 3, v[14:15]
	s_mov_b32 s22, exec_lo
	s_delay_alu instid0(VALU_DEP_1)
	v_add_nc_u64_e32 v[12:13], s[6:7], v[10:11]
	v_add_nc_u64_e32 v[10:11], s[4:5], v[10:11]
	s_wait_dscnt 0x0
	global_load_b64 v[16:17], v[12:13], off
	global_load_b64 v[18:19], v[10:11], off
	s_wait_xcnt 0x1
	v_mov_b64_e32 v[12:13], 0
	s_wait_xcnt 0x0
	v_mov_b64_e32 v[10:11], 0
	s_wait_loadcnt 0x1
	v_sub_nc_u64_e64 v[16:17], v[16:17], s[16:17]
	s_wait_loadcnt 0x0
	v_add_nc_u64_e32 v[18:19], v[18:19], v[0:1]
	s_delay_alu instid0(VALU_DEP_1)
	v_cmpx_lt_i64_e64 v[18:19], v[16:17]
	s_cbranch_execz .LBB121_11
; %bb.8:                                ;   in Loop: Header=BB121_7 Depth=1
	v_mov_b64_e32 v[12:13], 0
	v_mov_b64_e32 v[10:11], 0
	v_lshl_add_u64 v[20:21], v[18:19], 4, s[10:11]
	v_lshl_add_u64 v[22:23], v[18:19], 3, s[8:9]
	s_mov_b32 s23, 0
.LBB121_9:                              ;   Parent Loop BB121_7 Depth=1
                                        ; =>  This Inner Loop Header: Depth=2
	global_load_b64 v[30:31], v[22:23], off
	global_load_b128 v[26:29], v[20:21], off offset:-8
	v_add_nc_u64_e32 v[18:19], 2, v[18:19]
	s_wait_xcnt 0x0
	v_add_nc_u64_e32 v[20:21], 32, v[20:21]
	v_add_nc_u64_e32 v[22:23], 16, v[22:23]
	s_delay_alu instid0(VALU_DEP_3)
	v_cmp_ge_i64_e64 s1, v[18:19], v[16:17]
	s_or_b32 s23, s1, s23
	s_wait_loadcnt 0x1
	v_lshl_add_u64 v[30:31], v[30:31], 4, s[20:21]
	s_wait_loadcnt 0x0
	v_xor_b32_e32 v25, 0x80000000, v29
	global_load_b128 v[30:33], v[30:31], off
	v_cndmask_b32_e64 v29, v29, v25, s0
	s_delay_alu instid0(VALU_DEP_1) | instskip(SKIP_1) | instid1(VALU_DEP_2)
	v_mul_f64_e64 v[34:35], v[28:29], -v[4:5]
	v_mul_f64_e32 v[28:29], v[2:3], v[28:29]
	v_fmac_f64_e32 v[34:35], v[2:3], v[26:27]
	s_delay_alu instid0(VALU_DEP_2) | instskip(SKIP_1) | instid1(VALU_DEP_2)
	v_fmac_f64_e32 v[28:29], v[4:5], v[26:27]
	s_wait_loadcnt 0x0
	v_fmac_f64_e32 v[10:11], v[34:35], v[30:31]
	s_delay_alu instid0(VALU_DEP_2) | instskip(NEXT) | instid1(VALU_DEP_2)
	v_fmac_f64_e32 v[12:13], v[28:29], v[30:31]
	v_fma_f64 v[10:11], -v[28:29], v[32:33], v[10:11]
	s_delay_alu instid0(VALU_DEP_2)
	v_fmac_f64_e32 v[12:13], v[34:35], v[32:33]
	s_wait_xcnt 0x0
	s_and_not1_b32 exec_lo, exec_lo, s23
	s_cbranch_execnz .LBB121_9
; %bb.10:                               ;   in Loop: Header=BB121_7 Depth=1
	s_or_b32 exec_lo, exec_lo, s23
.LBB121_11:                             ;   in Loop: Header=BB121_7 Depth=1
	s_delay_alu instid0(SALU_CYCLE_1)
	s_or_b32 exec_lo, exec_lo, s22
	ds_bpermute_b32 v18, v24, v10
	ds_bpermute_b32 v19, v24, v11
	;; [unrolled: 1-line block ×4, first 2 shown]
	s_and_saveexec_b32 s1, vcc_lo
	s_cbranch_execz .LBB121_6
; %bb.12:                               ;   in Loop: Header=BB121_7 Depth=1
	s_wait_dscnt 0x2
	v_add_f64_e32 v[10:11], v[10:11], v[18:19]
	s_wait_dscnt 0x0
	v_add_f64_e32 v[12:13], v[12:13], v[16:17]
	v_lshl_add_u64 v[16:17], v[14:15], 4, s[18:19]
	s_and_saveexec_b32 s22, s2
	s_cbranch_execz .LBB121_5
; %bb.13:                               ;   in Loop: Header=BB121_7 Depth=1
	global_load_b128 v[18:21], v[16:17], off
	s_wait_loadcnt 0x0
	v_fmac_f64_e32 v[10:11], v[6:7], v[18:19]
	v_fmac_f64_e32 v[12:13], v[8:9], v[18:19]
	s_delay_alu instid0(VALU_DEP_2) | instskip(NEXT) | instid1(VALU_DEP_2)
	v_fma_f64 v[10:11], -v[8:9], v[20:21], v[10:11]
	v_fmac_f64_e32 v[12:13], v[6:7], v[20:21]
	s_branch .LBB121_5
.LBB121_14:
	s_endpgm
	.section	.rodata,"a",@progbits
	.p2align	6, 0x0
	.amdhsa_kernel _ZN9rocsparseL21csrmvn_general_kernelILj256ELj2Ell21rocsparse_complex_numIdES2_S2_S2_EEvbT2_NS_24const_host_device_scalarIT6_EEPKT1_S9_PKS3_PKT3_PKT4_S6_PT5_21rocsparse_index_base_b
		.amdhsa_group_segment_fixed_size 0
		.amdhsa_private_segment_fixed_size 0
		.amdhsa_kernarg_size 360
		.amdhsa_user_sgpr_count 2
		.amdhsa_user_sgpr_dispatch_ptr 0
		.amdhsa_user_sgpr_queue_ptr 0
		.amdhsa_user_sgpr_kernarg_segment_ptr 1
		.amdhsa_user_sgpr_dispatch_id 0
		.amdhsa_user_sgpr_kernarg_preload_length 0
		.amdhsa_user_sgpr_kernarg_preload_offset 0
		.amdhsa_user_sgpr_private_segment_size 0
		.amdhsa_wavefront_size32 1
		.amdhsa_uses_dynamic_stack 0
		.amdhsa_enable_private_segment 0
		.amdhsa_system_sgpr_workgroup_id_x 1
		.amdhsa_system_sgpr_workgroup_id_y 0
		.amdhsa_system_sgpr_workgroup_id_z 0
		.amdhsa_system_sgpr_workgroup_info 0
		.amdhsa_system_vgpr_workitem_id 0
		.amdhsa_next_free_vgpr 36
		.amdhsa_next_free_sgpr 24
		.amdhsa_named_barrier_count 0
		.amdhsa_reserve_vcc 1
		.amdhsa_float_round_mode_32 0
		.amdhsa_float_round_mode_16_64 0
		.amdhsa_float_denorm_mode_32 3
		.amdhsa_float_denorm_mode_16_64 3
		.amdhsa_fp16_overflow 0
		.amdhsa_memory_ordered 1
		.amdhsa_forward_progress 1
		.amdhsa_inst_pref_size 8
		.amdhsa_round_robin_scheduling 0
		.amdhsa_exception_fp_ieee_invalid_op 0
		.amdhsa_exception_fp_denorm_src 0
		.amdhsa_exception_fp_ieee_div_zero 0
		.amdhsa_exception_fp_ieee_overflow 0
		.amdhsa_exception_fp_ieee_underflow 0
		.amdhsa_exception_fp_ieee_inexact 0
		.amdhsa_exception_int_div_zero 0
	.end_amdhsa_kernel
	.section	.text._ZN9rocsparseL21csrmvn_general_kernelILj256ELj2Ell21rocsparse_complex_numIdES2_S2_S2_EEvbT2_NS_24const_host_device_scalarIT6_EEPKT1_S9_PKS3_PKT3_PKT4_S6_PT5_21rocsparse_index_base_b,"axG",@progbits,_ZN9rocsparseL21csrmvn_general_kernelILj256ELj2Ell21rocsparse_complex_numIdES2_S2_S2_EEvbT2_NS_24const_host_device_scalarIT6_EEPKT1_S9_PKS3_PKT3_PKT4_S6_PT5_21rocsparse_index_base_b,comdat
.Lfunc_end121:
	.size	_ZN9rocsparseL21csrmvn_general_kernelILj256ELj2Ell21rocsparse_complex_numIdES2_S2_S2_EEvbT2_NS_24const_host_device_scalarIT6_EEPKT1_S9_PKS3_PKT3_PKT4_S6_PT5_21rocsparse_index_base_b, .Lfunc_end121-_ZN9rocsparseL21csrmvn_general_kernelILj256ELj2Ell21rocsparse_complex_numIdES2_S2_S2_EEvbT2_NS_24const_host_device_scalarIT6_EEPKT1_S9_PKS3_PKT3_PKT4_S6_PT5_21rocsparse_index_base_b
                                        ; -- End function
	.set _ZN9rocsparseL21csrmvn_general_kernelILj256ELj2Ell21rocsparse_complex_numIdES2_S2_S2_EEvbT2_NS_24const_host_device_scalarIT6_EEPKT1_S9_PKS3_PKT3_PKT4_S6_PT5_21rocsparse_index_base_b.num_vgpr, 36
	.set _ZN9rocsparseL21csrmvn_general_kernelILj256ELj2Ell21rocsparse_complex_numIdES2_S2_S2_EEvbT2_NS_24const_host_device_scalarIT6_EEPKT1_S9_PKS3_PKT3_PKT4_S6_PT5_21rocsparse_index_base_b.num_agpr, 0
	.set _ZN9rocsparseL21csrmvn_general_kernelILj256ELj2Ell21rocsparse_complex_numIdES2_S2_S2_EEvbT2_NS_24const_host_device_scalarIT6_EEPKT1_S9_PKS3_PKT3_PKT4_S6_PT5_21rocsparse_index_base_b.numbered_sgpr, 24
	.set _ZN9rocsparseL21csrmvn_general_kernelILj256ELj2Ell21rocsparse_complex_numIdES2_S2_S2_EEvbT2_NS_24const_host_device_scalarIT6_EEPKT1_S9_PKS3_PKT3_PKT4_S6_PT5_21rocsparse_index_base_b.num_named_barrier, 0
	.set _ZN9rocsparseL21csrmvn_general_kernelILj256ELj2Ell21rocsparse_complex_numIdES2_S2_S2_EEvbT2_NS_24const_host_device_scalarIT6_EEPKT1_S9_PKS3_PKT3_PKT4_S6_PT5_21rocsparse_index_base_b.private_seg_size, 0
	.set _ZN9rocsparseL21csrmvn_general_kernelILj256ELj2Ell21rocsparse_complex_numIdES2_S2_S2_EEvbT2_NS_24const_host_device_scalarIT6_EEPKT1_S9_PKS3_PKT3_PKT4_S6_PT5_21rocsparse_index_base_b.uses_vcc, 1
	.set _ZN9rocsparseL21csrmvn_general_kernelILj256ELj2Ell21rocsparse_complex_numIdES2_S2_S2_EEvbT2_NS_24const_host_device_scalarIT6_EEPKT1_S9_PKS3_PKT3_PKT4_S6_PT5_21rocsparse_index_base_b.uses_flat_scratch, 0
	.set _ZN9rocsparseL21csrmvn_general_kernelILj256ELj2Ell21rocsparse_complex_numIdES2_S2_S2_EEvbT2_NS_24const_host_device_scalarIT6_EEPKT1_S9_PKS3_PKT3_PKT4_S6_PT5_21rocsparse_index_base_b.has_dyn_sized_stack, 0
	.set _ZN9rocsparseL21csrmvn_general_kernelILj256ELj2Ell21rocsparse_complex_numIdES2_S2_S2_EEvbT2_NS_24const_host_device_scalarIT6_EEPKT1_S9_PKS3_PKT3_PKT4_S6_PT5_21rocsparse_index_base_b.has_recursion, 0
	.set _ZN9rocsparseL21csrmvn_general_kernelILj256ELj2Ell21rocsparse_complex_numIdES2_S2_S2_EEvbT2_NS_24const_host_device_scalarIT6_EEPKT1_S9_PKS3_PKT3_PKT4_S6_PT5_21rocsparse_index_base_b.has_indirect_call, 0
	.section	.AMDGPU.csdata,"",@progbits
; Kernel info:
; codeLenInByte = 916
; TotalNumSgprs: 26
; NumVgprs: 36
; ScratchSize: 0
; MemoryBound: 0
; FloatMode: 240
; IeeeMode: 1
; LDSByteSize: 0 bytes/workgroup (compile time only)
; SGPRBlocks: 0
; VGPRBlocks: 2
; NumSGPRsForWavesPerEU: 26
; NumVGPRsForWavesPerEU: 36
; NamedBarCnt: 0
; Occupancy: 16
; WaveLimiterHint : 1
; COMPUTE_PGM_RSRC2:SCRATCH_EN: 0
; COMPUTE_PGM_RSRC2:USER_SGPR: 2
; COMPUTE_PGM_RSRC2:TRAP_HANDLER: 0
; COMPUTE_PGM_RSRC2:TGID_X_EN: 1
; COMPUTE_PGM_RSRC2:TGID_Y_EN: 0
; COMPUTE_PGM_RSRC2:TGID_Z_EN: 0
; COMPUTE_PGM_RSRC2:TIDIG_COMP_CNT: 0
	.section	.text._ZN9rocsparseL21csrmvn_general_kernelILj256ELj4Ell21rocsparse_complex_numIdES2_S2_S2_EEvbT2_NS_24const_host_device_scalarIT6_EEPKT1_S9_PKS3_PKT3_PKT4_S6_PT5_21rocsparse_index_base_b,"axG",@progbits,_ZN9rocsparseL21csrmvn_general_kernelILj256ELj4Ell21rocsparse_complex_numIdES2_S2_S2_EEvbT2_NS_24const_host_device_scalarIT6_EEPKT1_S9_PKS3_PKT3_PKT4_S6_PT5_21rocsparse_index_base_b,comdat
	.globl	_ZN9rocsparseL21csrmvn_general_kernelILj256ELj4Ell21rocsparse_complex_numIdES2_S2_S2_EEvbT2_NS_24const_host_device_scalarIT6_EEPKT1_S9_PKS3_PKT3_PKT4_S6_PT5_21rocsparse_index_base_b ; -- Begin function _ZN9rocsparseL21csrmvn_general_kernelILj256ELj4Ell21rocsparse_complex_numIdES2_S2_S2_EEvbT2_NS_24const_host_device_scalarIT6_EEPKT1_S9_PKS3_PKT3_PKT4_S6_PT5_21rocsparse_index_base_b
	.p2align	8
	.type	_ZN9rocsparseL21csrmvn_general_kernelILj256ELj4Ell21rocsparse_complex_numIdES2_S2_S2_EEvbT2_NS_24const_host_device_scalarIT6_EEPKT1_S9_PKS3_PKT3_PKT4_S6_PT5_21rocsparse_index_base_b,@function
_ZN9rocsparseL21csrmvn_general_kernelILj256ELj4Ell21rocsparse_complex_numIdES2_S2_S2_EEvbT2_NS_24const_host_device_scalarIT6_EEPKT1_S9_PKS3_PKT3_PKT4_S6_PT5_21rocsparse_index_base_b: ; @_ZN9rocsparseL21csrmvn_general_kernelILj256ELj4Ell21rocsparse_complex_numIdES2_S2_S2_EEvbT2_NS_24const_host_device_scalarIT6_EEPKT1_S9_PKS3_PKT3_PKT4_S6_PT5_21rocsparse_index_base_b
; %bb.0:
	s_clause 0x1
	s_load_b64 s[16:17], s[0:1], 0x60
	s_load_b128 s[12:15], s[0:1], 0x8
	v_mov_b32_e32 v1, 0
	s_add_nc_u64 s[2:3], s[0:1], 16
	s_load_b64 s[4:5], s[0:1], 0x48
	s_wait_kmcnt 0x0
	s_bitcmp1_b32 s17, 0
	s_cselect_b32 s3, s3, s15
	s_cselect_b32 s2, s2, s14
	flat_load_b128 v[2:5], v1, s[2:3]
	s_wait_xcnt 0x0
	s_add_nc_u64 s[2:3], s[0:1], 0x48
	s_delay_alu instid0(SALU_CYCLE_1)
	s_cselect_b32 s3, s3, s5
	s_cselect_b32 s2, s2, s4
	flat_load_b128 v[6:9], v1, s[2:3]
	s_wait_loadcnt_dscnt 0x101
	v_cmp_eq_f64_e32 vcc_lo, 0, v[2:3]
	s_wait_xcnt 0x0
	v_cmp_eq_f64_e64 s2, 0, v[4:5]
	s_and_b32 s4, vcc_lo, s2
	s_mov_b32 s2, -1
	s_and_saveexec_b32 s3, s4
	s_cbranch_execz .LBB122_2
; %bb.1:
	s_wait_loadcnt_dscnt 0x0
	v_cmp_neq_f64_e32 vcc_lo, 1.0, v[6:7]
	v_cmp_neq_f64_e64 s2, 0, v[8:9]
	s_or_b32 s2, vcc_lo, s2
	s_delay_alu instid0(SALU_CYCLE_1)
	s_or_not1_b32 s2, s2, exec_lo
.LBB122_2:
	s_or_b32 exec_lo, exec_lo, s3
	s_and_saveexec_b32 s3, s2
	s_cbranch_execz .LBB122_14
; %bb.3:
	s_bfe_u32 s2, ttmp6, 0x4000c
	s_and_b32 s3, ttmp6, 15
	s_add_co_i32 s2, s2, 1
	s_getreg_b32 s4, hwreg(HW_REG_IB_STS2, 6, 4)
	s_mul_i32 s2, ttmp9, s2
	s_mov_b32 s15, 0
	s_add_co_i32 s3, s3, s2
	s_cmp_eq_u32 s4, 0
	v_mov_b32_e32 v15, 0
	s_cselect_b32 s2, ttmp9, s3
	s_delay_alu instid0(SALU_CYCLE_1) | instskip(NEXT) | instid1(VALU_DEP_1)
	v_lshl_or_b32 v1, s2, 8, v0
	v_lshrrev_b32_e32 v14, 2, v1
	s_delay_alu instid0(VALU_DEP_1)
	v_cmp_gt_i64_e32 vcc_lo, s[12:13], v[14:15]
	s_and_b32 exec_lo, exec_lo, vcc_lo
	s_cbranch_execz .LBB122_14
; %bb.4:
	s_wait_loadcnt_dscnt 0x0
	v_cmp_neq_f64_e64 s2, 0, v[6:7]
	v_cmp_neq_f64_e64 s3, 0, v[8:9]
	v_mbcnt_lo_u32_b32 v12, -1, 0
	s_clause 0x4
	s_load_b32 s14, s[0:1], 0x68
	s_load_b32 s23, s[0:1], 0x0
	s_load_b256 s[4:11], s[0:1], 0x20
	s_load_b64 s[18:19], s[0:1], 0x58
	s_load_b64 s[20:21], s[0:1], 0x40
	v_dual_mov_b32 v11, v15 :: v_dual_bitop2_b32 v10, 3, v0 bitop3:0x40
	v_xor_b32_e32 v13, 2, v12
	s_mov_b32 s17, s15
	s_mov_b32 s22, s16
	s_delay_alu instid0(VALU_DEP_2) | instskip(SKIP_3) | instid1(VALU_DEP_1)
	v_cmp_eq_u32_e32 vcc_lo, 3, v10
	v_sub_nc_u64_e64 v[0:1], v[10:11], s[16:17]
	s_wait_xcnt 0x0
	v_cmp_gt_i32_e64 s0, 32, v13
	v_dual_cndmask_b32 v10, v12, v13, s0 :: v_dual_bitop2_b32 v16, 1, v12 bitop3:0x14
	s_delay_alu instid0(VALU_DEP_1)
	v_cmp_gt_i32_e64 s0, 32, v16
	s_wait_kmcnt 0x0
	s_lshl_b32 s14, s14, 6
	s_bitcmp1_b32 s23, 0
	v_cndmask_b32_e64 v11, v12, v16, s0
	s_cselect_b32 s0, -1, 0
	s_ashr_i32 s23, s16, 31
	v_lshlrev_b32_e32 v24, 2, v10
	s_lshl_b64 s[22:23], s[22:23], 4
	v_lshlrev_b32_e32 v25, 2, v11
	s_add_nc_u64 s[10:11], s[10:11], 8
	s_sub_nc_u64 s[20:21], s[20:21], s[22:23]
	s_or_b32 s2, s2, s3
	s_mov_b32 s3, s15
	s_branch .LBB122_7
.LBB122_5:                              ;   in Loop: Header=BB122_7 Depth=1
	s_wait_xcnt 0x0
	s_or_b32 exec_lo, exec_lo, s22
	global_store_b128 v[16:17], v[10:13], off
.LBB122_6:                              ;   in Loop: Header=BB122_7 Depth=1
	s_wait_xcnt 0x0
	s_or_b32 exec_lo, exec_lo, s1
	v_add_nc_u64_e32 v[14:15], s[14:15], v[14:15]
	s_delay_alu instid0(VALU_DEP_1) | instskip(SKIP_1) | instid1(SALU_CYCLE_1)
	v_cmp_le_i64_e64 s1, s[12:13], v[14:15]
	s_or_b32 s3, s1, s3
	s_and_not1_b32 exec_lo, exec_lo, s3
	s_cbranch_execz .LBB122_14
.LBB122_7:                              ; =>This Loop Header: Depth=1
                                        ;     Child Loop BB122_9 Depth 2
	s_wait_dscnt 0x2
	v_lshlrev_b64_e32 v[10:11], 3, v[14:15]
	s_mov_b32 s22, exec_lo
	s_delay_alu instid0(VALU_DEP_1)
	v_add_nc_u64_e32 v[12:13], s[6:7], v[10:11]
	v_add_nc_u64_e32 v[10:11], s[4:5], v[10:11]
	global_load_b64 v[16:17], v[12:13], off
	s_wait_dscnt 0x0
	global_load_b64 v[18:19], v[10:11], off
	s_wait_xcnt 0x0
	v_mov_b64_e32 v[10:11], 0
	v_mov_b64_e32 v[12:13], 0
	s_wait_loadcnt 0x1
	v_sub_nc_u64_e64 v[16:17], v[16:17], s[16:17]
	s_wait_loadcnt 0x0
	v_add_nc_u64_e32 v[18:19], v[18:19], v[0:1]
	s_delay_alu instid0(VALU_DEP_1)
	v_cmpx_lt_i64_e64 v[18:19], v[16:17]
	s_cbranch_execz .LBB122_11
; %bb.8:                                ;   in Loop: Header=BB122_7 Depth=1
	v_mov_b64_e32 v[10:11], 0
	v_mov_b64_e32 v[12:13], 0
	v_lshl_add_u64 v[20:21], v[18:19], 4, s[10:11]
	v_lshl_add_u64 v[22:23], v[18:19], 3, s[8:9]
	s_mov_b32 s23, 0
.LBB122_9:                              ;   Parent Loop BB122_7 Depth=1
                                        ; =>  This Inner Loop Header: Depth=2
	global_load_b64 v[30:31], v[22:23], off
	global_load_b128 v[26:29], v[20:21], off offset:-8
	v_add_nc_u64_e32 v[18:19], 4, v[18:19]
	s_wait_xcnt 0x0
	v_add_nc_u64_e32 v[20:21], 64, v[20:21]
	v_add_nc_u64_e32 v[22:23], 32, v[22:23]
	s_delay_alu instid0(VALU_DEP_3)
	v_cmp_ge_i64_e64 s1, v[18:19], v[16:17]
	s_or_b32 s23, s1, s23
	s_wait_loadcnt 0x1
	v_lshl_add_u64 v[30:31], v[30:31], 4, s[20:21]
	s_wait_loadcnt 0x0
	v_xor_b32_e32 v34, 0x80000000, v29
	global_load_b128 v[30:33], v[30:31], off
	v_cndmask_b32_e64 v29, v29, v34, s0
	s_delay_alu instid0(VALU_DEP_1) | instskip(SKIP_1) | instid1(VALU_DEP_2)
	v_mul_f64_e64 v[34:35], v[28:29], -v[4:5]
	v_mul_f64_e32 v[28:29], v[2:3], v[28:29]
	v_fmac_f64_e32 v[34:35], v[2:3], v[26:27]
	s_delay_alu instid0(VALU_DEP_2) | instskip(SKIP_1) | instid1(VALU_DEP_2)
	v_fmac_f64_e32 v[28:29], v[4:5], v[26:27]
	s_wait_loadcnt 0x0
	v_fmac_f64_e32 v[12:13], v[34:35], v[30:31]
	s_delay_alu instid0(VALU_DEP_2) | instskip(NEXT) | instid1(VALU_DEP_2)
	v_fmac_f64_e32 v[10:11], v[28:29], v[30:31]
	v_fma_f64 v[12:13], -v[28:29], v[32:33], v[12:13]
	s_delay_alu instid0(VALU_DEP_2)
	v_fmac_f64_e32 v[10:11], v[34:35], v[32:33]
	s_wait_xcnt 0x0
	s_and_not1_b32 exec_lo, exec_lo, s23
	s_cbranch_execnz .LBB122_9
; %bb.10:                               ;   in Loop: Header=BB122_7 Depth=1
	s_or_b32 exec_lo, exec_lo, s23
.LBB122_11:                             ;   in Loop: Header=BB122_7 Depth=1
	s_delay_alu instid0(SALU_CYCLE_1)
	s_or_b32 exec_lo, exec_lo, s22
	ds_bpermute_b32 v16, v24, v12
	ds_bpermute_b32 v17, v24, v13
	;; [unrolled: 1-line block ×4, first 2 shown]
	s_wait_dscnt 0x2
	v_add_f64_e32 v[12:13], v[12:13], v[16:17]
	s_wait_dscnt 0x0
	v_add_f64_e32 v[16:17], v[10:11], v[18:19]
	ds_bpermute_b32 v10, v25, v12
	ds_bpermute_b32 v11, v25, v13
	;; [unrolled: 1-line block ×4, first 2 shown]
	s_and_saveexec_b32 s1, vcc_lo
	s_cbranch_execz .LBB122_6
; %bb.12:                               ;   in Loop: Header=BB122_7 Depth=1
	s_wait_dscnt 0x2
	v_add_f64_e32 v[10:11], v[12:13], v[10:11]
	s_wait_dscnt 0x0
	v_add_f64_e32 v[12:13], v[16:17], v[18:19]
	v_lshl_add_u64 v[16:17], v[14:15], 4, s[18:19]
	s_and_saveexec_b32 s22, s2
	s_cbranch_execz .LBB122_5
; %bb.13:                               ;   in Loop: Header=BB122_7 Depth=1
	global_load_b128 v[18:21], v[16:17], off
	s_wait_loadcnt 0x0
	v_fmac_f64_e32 v[10:11], v[6:7], v[18:19]
	v_fmac_f64_e32 v[12:13], v[8:9], v[18:19]
	s_delay_alu instid0(VALU_DEP_2) | instskip(NEXT) | instid1(VALU_DEP_2)
	v_fma_f64 v[10:11], -v[8:9], v[20:21], v[10:11]
	v_fmac_f64_e32 v[12:13], v[6:7], v[20:21]
	s_branch .LBB122_5
.LBB122_14:
	s_endpgm
	.section	.rodata,"a",@progbits
	.p2align	6, 0x0
	.amdhsa_kernel _ZN9rocsparseL21csrmvn_general_kernelILj256ELj4Ell21rocsparse_complex_numIdES2_S2_S2_EEvbT2_NS_24const_host_device_scalarIT6_EEPKT1_S9_PKS3_PKT3_PKT4_S6_PT5_21rocsparse_index_base_b
		.amdhsa_group_segment_fixed_size 0
		.amdhsa_private_segment_fixed_size 0
		.amdhsa_kernarg_size 360
		.amdhsa_user_sgpr_count 2
		.amdhsa_user_sgpr_dispatch_ptr 0
		.amdhsa_user_sgpr_queue_ptr 0
		.amdhsa_user_sgpr_kernarg_segment_ptr 1
		.amdhsa_user_sgpr_dispatch_id 0
		.amdhsa_user_sgpr_kernarg_preload_length 0
		.amdhsa_user_sgpr_kernarg_preload_offset 0
		.amdhsa_user_sgpr_private_segment_size 0
		.amdhsa_wavefront_size32 1
		.amdhsa_uses_dynamic_stack 0
		.amdhsa_enable_private_segment 0
		.amdhsa_system_sgpr_workgroup_id_x 1
		.amdhsa_system_sgpr_workgroup_id_y 0
		.amdhsa_system_sgpr_workgroup_id_z 0
		.amdhsa_system_sgpr_workgroup_info 0
		.amdhsa_system_vgpr_workitem_id 0
		.amdhsa_next_free_vgpr 36
		.amdhsa_next_free_sgpr 24
		.amdhsa_named_barrier_count 0
		.amdhsa_reserve_vcc 1
		.amdhsa_float_round_mode_32 0
		.amdhsa_float_round_mode_16_64 0
		.amdhsa_float_denorm_mode_32 3
		.amdhsa_float_denorm_mode_16_64 3
		.amdhsa_fp16_overflow 0
		.amdhsa_memory_ordered 1
		.amdhsa_forward_progress 1
		.amdhsa_inst_pref_size 8
		.amdhsa_round_robin_scheduling 0
		.amdhsa_exception_fp_ieee_invalid_op 0
		.amdhsa_exception_fp_denorm_src 0
		.amdhsa_exception_fp_ieee_div_zero 0
		.amdhsa_exception_fp_ieee_overflow 0
		.amdhsa_exception_fp_ieee_underflow 0
		.amdhsa_exception_fp_ieee_inexact 0
		.amdhsa_exception_int_div_zero 0
	.end_amdhsa_kernel
	.section	.text._ZN9rocsparseL21csrmvn_general_kernelILj256ELj4Ell21rocsparse_complex_numIdES2_S2_S2_EEvbT2_NS_24const_host_device_scalarIT6_EEPKT1_S9_PKS3_PKT3_PKT4_S6_PT5_21rocsparse_index_base_b,"axG",@progbits,_ZN9rocsparseL21csrmvn_general_kernelILj256ELj4Ell21rocsparse_complex_numIdES2_S2_S2_EEvbT2_NS_24const_host_device_scalarIT6_EEPKT1_S9_PKS3_PKT3_PKT4_S6_PT5_21rocsparse_index_base_b,comdat
.Lfunc_end122:
	.size	_ZN9rocsparseL21csrmvn_general_kernelILj256ELj4Ell21rocsparse_complex_numIdES2_S2_S2_EEvbT2_NS_24const_host_device_scalarIT6_EEPKT1_S9_PKS3_PKT3_PKT4_S6_PT5_21rocsparse_index_base_b, .Lfunc_end122-_ZN9rocsparseL21csrmvn_general_kernelILj256ELj4Ell21rocsparse_complex_numIdES2_S2_S2_EEvbT2_NS_24const_host_device_scalarIT6_EEPKT1_S9_PKS3_PKT3_PKT4_S6_PT5_21rocsparse_index_base_b
                                        ; -- End function
	.set _ZN9rocsparseL21csrmvn_general_kernelILj256ELj4Ell21rocsparse_complex_numIdES2_S2_S2_EEvbT2_NS_24const_host_device_scalarIT6_EEPKT1_S9_PKS3_PKT3_PKT4_S6_PT5_21rocsparse_index_base_b.num_vgpr, 36
	.set _ZN9rocsparseL21csrmvn_general_kernelILj256ELj4Ell21rocsparse_complex_numIdES2_S2_S2_EEvbT2_NS_24const_host_device_scalarIT6_EEPKT1_S9_PKS3_PKT3_PKT4_S6_PT5_21rocsparse_index_base_b.num_agpr, 0
	.set _ZN9rocsparseL21csrmvn_general_kernelILj256ELj4Ell21rocsparse_complex_numIdES2_S2_S2_EEvbT2_NS_24const_host_device_scalarIT6_EEPKT1_S9_PKS3_PKT3_PKT4_S6_PT5_21rocsparse_index_base_b.numbered_sgpr, 24
	.set _ZN9rocsparseL21csrmvn_general_kernelILj256ELj4Ell21rocsparse_complex_numIdES2_S2_S2_EEvbT2_NS_24const_host_device_scalarIT6_EEPKT1_S9_PKS3_PKT3_PKT4_S6_PT5_21rocsparse_index_base_b.num_named_barrier, 0
	.set _ZN9rocsparseL21csrmvn_general_kernelILj256ELj4Ell21rocsparse_complex_numIdES2_S2_S2_EEvbT2_NS_24const_host_device_scalarIT6_EEPKT1_S9_PKS3_PKT3_PKT4_S6_PT5_21rocsparse_index_base_b.private_seg_size, 0
	.set _ZN9rocsparseL21csrmvn_general_kernelILj256ELj4Ell21rocsparse_complex_numIdES2_S2_S2_EEvbT2_NS_24const_host_device_scalarIT6_EEPKT1_S9_PKS3_PKT3_PKT4_S6_PT5_21rocsparse_index_base_b.uses_vcc, 1
	.set _ZN9rocsparseL21csrmvn_general_kernelILj256ELj4Ell21rocsparse_complex_numIdES2_S2_S2_EEvbT2_NS_24const_host_device_scalarIT6_EEPKT1_S9_PKS3_PKT3_PKT4_S6_PT5_21rocsparse_index_base_b.uses_flat_scratch, 0
	.set _ZN9rocsparseL21csrmvn_general_kernelILj256ELj4Ell21rocsparse_complex_numIdES2_S2_S2_EEvbT2_NS_24const_host_device_scalarIT6_EEPKT1_S9_PKS3_PKT3_PKT4_S6_PT5_21rocsparse_index_base_b.has_dyn_sized_stack, 0
	.set _ZN9rocsparseL21csrmvn_general_kernelILj256ELj4Ell21rocsparse_complex_numIdES2_S2_S2_EEvbT2_NS_24const_host_device_scalarIT6_EEPKT1_S9_PKS3_PKT3_PKT4_S6_PT5_21rocsparse_index_base_b.has_recursion, 0
	.set _ZN9rocsparseL21csrmvn_general_kernelILj256ELj4Ell21rocsparse_complex_numIdES2_S2_S2_EEvbT2_NS_24const_host_device_scalarIT6_EEPKT1_S9_PKS3_PKT3_PKT4_S6_PT5_21rocsparse_index_base_b.has_indirect_call, 0
	.section	.AMDGPU.csdata,"",@progbits
; Kernel info:
; codeLenInByte = 996
; TotalNumSgprs: 26
; NumVgprs: 36
; ScratchSize: 0
; MemoryBound: 0
; FloatMode: 240
; IeeeMode: 1
; LDSByteSize: 0 bytes/workgroup (compile time only)
; SGPRBlocks: 0
; VGPRBlocks: 2
; NumSGPRsForWavesPerEU: 26
; NumVGPRsForWavesPerEU: 36
; NamedBarCnt: 0
; Occupancy: 16
; WaveLimiterHint : 1
; COMPUTE_PGM_RSRC2:SCRATCH_EN: 0
; COMPUTE_PGM_RSRC2:USER_SGPR: 2
; COMPUTE_PGM_RSRC2:TRAP_HANDLER: 0
; COMPUTE_PGM_RSRC2:TGID_X_EN: 1
; COMPUTE_PGM_RSRC2:TGID_Y_EN: 0
; COMPUTE_PGM_RSRC2:TGID_Z_EN: 0
; COMPUTE_PGM_RSRC2:TIDIG_COMP_CNT: 0
	.section	.text._ZN9rocsparseL21csrmvn_general_kernelILj256ELj8Ell21rocsparse_complex_numIdES2_S2_S2_EEvbT2_NS_24const_host_device_scalarIT6_EEPKT1_S9_PKS3_PKT3_PKT4_S6_PT5_21rocsparse_index_base_b,"axG",@progbits,_ZN9rocsparseL21csrmvn_general_kernelILj256ELj8Ell21rocsparse_complex_numIdES2_S2_S2_EEvbT2_NS_24const_host_device_scalarIT6_EEPKT1_S9_PKS3_PKT3_PKT4_S6_PT5_21rocsparse_index_base_b,comdat
	.globl	_ZN9rocsparseL21csrmvn_general_kernelILj256ELj8Ell21rocsparse_complex_numIdES2_S2_S2_EEvbT2_NS_24const_host_device_scalarIT6_EEPKT1_S9_PKS3_PKT3_PKT4_S6_PT5_21rocsparse_index_base_b ; -- Begin function _ZN9rocsparseL21csrmvn_general_kernelILj256ELj8Ell21rocsparse_complex_numIdES2_S2_S2_EEvbT2_NS_24const_host_device_scalarIT6_EEPKT1_S9_PKS3_PKT3_PKT4_S6_PT5_21rocsparse_index_base_b
	.p2align	8
	.type	_ZN9rocsparseL21csrmvn_general_kernelILj256ELj8Ell21rocsparse_complex_numIdES2_S2_S2_EEvbT2_NS_24const_host_device_scalarIT6_EEPKT1_S9_PKS3_PKT3_PKT4_S6_PT5_21rocsparse_index_base_b,@function
_ZN9rocsparseL21csrmvn_general_kernelILj256ELj8Ell21rocsparse_complex_numIdES2_S2_S2_EEvbT2_NS_24const_host_device_scalarIT6_EEPKT1_S9_PKS3_PKT3_PKT4_S6_PT5_21rocsparse_index_base_b: ; @_ZN9rocsparseL21csrmvn_general_kernelILj256ELj8Ell21rocsparse_complex_numIdES2_S2_S2_EEvbT2_NS_24const_host_device_scalarIT6_EEPKT1_S9_PKS3_PKT3_PKT4_S6_PT5_21rocsparse_index_base_b
; %bb.0:
	s_clause 0x1
	s_load_b64 s[16:17], s[0:1], 0x60
	s_load_b128 s[12:15], s[0:1], 0x8
	v_mov_b32_e32 v1, 0
	s_add_nc_u64 s[2:3], s[0:1], 16
	s_load_b64 s[4:5], s[0:1], 0x48
	s_wait_kmcnt 0x0
	s_bitcmp1_b32 s17, 0
	s_cselect_b32 s3, s3, s15
	s_cselect_b32 s2, s2, s14
	flat_load_b128 v[2:5], v1, s[2:3]
	s_wait_xcnt 0x0
	s_add_nc_u64 s[2:3], s[0:1], 0x48
	s_delay_alu instid0(SALU_CYCLE_1)
	s_cselect_b32 s3, s3, s5
	s_cselect_b32 s2, s2, s4
	flat_load_b128 v[6:9], v1, s[2:3]
	s_wait_loadcnt_dscnt 0x101
	v_cmp_eq_f64_e32 vcc_lo, 0, v[2:3]
	s_wait_xcnt 0x0
	v_cmp_eq_f64_e64 s2, 0, v[4:5]
	s_and_b32 s4, vcc_lo, s2
	s_mov_b32 s2, -1
	s_and_saveexec_b32 s3, s4
	s_cbranch_execz .LBB123_2
; %bb.1:
	s_wait_loadcnt_dscnt 0x0
	v_cmp_neq_f64_e32 vcc_lo, 1.0, v[6:7]
	v_cmp_neq_f64_e64 s2, 0, v[8:9]
	s_or_b32 s2, vcc_lo, s2
	s_delay_alu instid0(SALU_CYCLE_1)
	s_or_not1_b32 s2, s2, exec_lo
.LBB123_2:
	s_or_b32 exec_lo, exec_lo, s3
	s_and_saveexec_b32 s3, s2
	s_cbranch_execz .LBB123_14
; %bb.3:
	s_bfe_u32 s2, ttmp6, 0x4000c
	s_and_b32 s3, ttmp6, 15
	s_add_co_i32 s2, s2, 1
	s_getreg_b32 s4, hwreg(HW_REG_IB_STS2, 6, 4)
	s_mul_i32 s2, ttmp9, s2
	s_mov_b32 s15, 0
	s_add_co_i32 s3, s3, s2
	s_cmp_eq_u32 s4, 0
	v_mov_b32_e32 v15, 0
	s_cselect_b32 s2, ttmp9, s3
	s_delay_alu instid0(SALU_CYCLE_1) | instskip(NEXT) | instid1(VALU_DEP_1)
	v_lshl_or_b32 v1, s2, 8, v0
	v_lshrrev_b32_e32 v14, 3, v1
	s_delay_alu instid0(VALU_DEP_1)
	v_cmp_gt_i64_e32 vcc_lo, s[12:13], v[14:15]
	s_and_b32 exec_lo, exec_lo, vcc_lo
	s_cbranch_execz .LBB123_14
; %bb.4:
	v_dual_mov_b32 v11, v15 :: v_dual_bitop2_b32 v10, 7, v0 bitop3:0x40
	v_mbcnt_lo_u32_b32 v12, -1, 0
	s_wait_loadcnt_dscnt 0x0
	v_cmp_neq_f64_e64 s2, 0, v[6:7]
	v_cmp_neq_f64_e64 s3, 0, v[8:9]
	s_mov_b32 s17, s15
	s_clause 0x2
	s_load_b256 s[4:11], s[0:1], 0x20
	s_load_b32 s14, s[0:1], 0x68
	s_load_b32 s23, s[0:1], 0x0
	v_sub_nc_u64_e64 v[0:1], v[10:11], s[16:17]
	v_xor_b32_e32 v11, 2, v12
	v_xor_b32_e32 v13, 4, v12
	s_clause 0x1
	s_load_b64 s[18:19], s[0:1], 0x58
	s_load_b64 s[20:21], s[0:1], 0x40
	v_cmp_eq_u32_e32 vcc_lo, 7, v10
	s_mov_b32 s22, s16
	s_wait_xcnt 0x0
	v_cmp_gt_i32_e64 s0, 32, v13
	s_delay_alu instid0(VALU_DEP_1) | instskip(SKIP_1) | instid1(VALU_DEP_2)
	v_dual_cndmask_b32 v10, v12, v13, s0 :: v_dual_bitop2_b32 v16, 1, v12 bitop3:0x14
	v_cmp_gt_i32_e64 s0, 32, v11
	v_lshlrev_b32_e32 v24, 2, v10
	s_wait_kmcnt 0x0
	s_lshl_b32 s14, s14, 5
	v_cndmask_b32_e64 v11, v12, v11, s0
	v_cmp_gt_i32_e64 s0, 32, v16
	s_bitcmp1_b32 s23, 0
	v_dual_lshlrev_b32 v25, 2, v11 :: v_dual_cndmask_b32 v12, v12, v16, s0
	s_cselect_b32 s0, -1, 0
	s_ashr_i32 s23, s16, 31
	s_delay_alu instid0(SALU_CYCLE_1) | instskip(NEXT) | instid1(VALU_DEP_1)
	s_lshl_b64 s[22:23], s[22:23], 4
	v_lshlrev_b32_e32 v26, 2, v12
	s_sub_nc_u64 s[20:21], s[20:21], s[22:23]
	s_or_b32 s22, s2, s3
	s_add_nc_u64 s[2:3], s[10:11], 8
	s_mov_b32 s10, s15
	s_branch .LBB123_7
.LBB123_5:                              ;   in Loop: Header=BB123_7 Depth=1
	s_wait_xcnt 0x0
	s_or_b32 exec_lo, exec_lo, s11
	global_store_b128 v[16:17], v[10:13], off
.LBB123_6:                              ;   in Loop: Header=BB123_7 Depth=1
	s_wait_xcnt 0x0
	s_or_b32 exec_lo, exec_lo, s1
	v_add_nc_u64_e32 v[14:15], s[14:15], v[14:15]
	s_delay_alu instid0(VALU_DEP_1) | instskip(SKIP_1) | instid1(SALU_CYCLE_1)
	v_cmp_le_i64_e64 s1, s[12:13], v[14:15]
	s_or_b32 s10, s1, s10
	s_and_not1_b32 exec_lo, exec_lo, s10
	s_cbranch_execz .LBB123_14
.LBB123_7:                              ; =>This Loop Header: Depth=1
                                        ;     Child Loop BB123_9 Depth 2
	v_lshlrev_b64_e32 v[10:11], 3, v[14:15]
	s_mov_b32 s11, exec_lo
	s_delay_alu instid0(VALU_DEP_1)
	v_add_nc_u64_e32 v[12:13], s[6:7], v[10:11]
	v_add_nc_u64_e32 v[10:11], s[4:5], v[10:11]
	s_wait_dscnt 0x0
	global_load_b64 v[16:17], v[12:13], off
	global_load_b64 v[18:19], v[10:11], off
	s_wait_xcnt 0x0
	v_mov_b64_e32 v[10:11], 0
	v_mov_b64_e32 v[12:13], 0
	s_wait_loadcnt 0x1
	v_sub_nc_u64_e64 v[16:17], v[16:17], s[16:17]
	s_wait_loadcnt 0x0
	v_add_nc_u64_e32 v[18:19], v[18:19], v[0:1]
	s_delay_alu instid0(VALU_DEP_1)
	v_cmpx_lt_i64_e64 v[18:19], v[16:17]
	s_cbranch_execz .LBB123_11
; %bb.8:                                ;   in Loop: Header=BB123_7 Depth=1
	v_mov_b64_e32 v[10:11], 0
	v_mov_b64_e32 v[12:13], 0
	v_lshl_add_u64 v[20:21], v[18:19], 4, s[2:3]
	v_lshl_add_u64 v[22:23], v[18:19], 3, s[8:9]
	s_mov_b32 s23, 0
.LBB123_9:                              ;   Parent Loop BB123_7 Depth=1
                                        ; =>  This Inner Loop Header: Depth=2
	global_load_b64 v[32:33], v[22:23], off
	global_load_b128 v[28:31], v[20:21], off offset:-8
	v_add_nc_u64_e32 v[18:19], 8, v[18:19]
	s_wait_xcnt 0x0
	v_add_nc_u64_e32 v[20:21], 0x80, v[20:21]
	v_add_nc_u64_e32 v[22:23], 64, v[22:23]
	s_delay_alu instid0(VALU_DEP_3)
	v_cmp_ge_i64_e64 s1, v[18:19], v[16:17]
	s_or_b32 s23, s1, s23
	s_wait_loadcnt 0x1
	v_lshl_add_u64 v[32:33], v[32:33], 4, s[20:21]
	s_wait_loadcnt 0x0
	v_xor_b32_e32 v27, 0x80000000, v31
	global_load_b128 v[32:35], v[32:33], off
	v_cndmask_b32_e64 v31, v31, v27, s0
	s_delay_alu instid0(VALU_DEP_1) | instskip(SKIP_1) | instid1(VALU_DEP_2)
	v_mul_f64_e64 v[36:37], v[30:31], -v[4:5]
	v_mul_f64_e32 v[30:31], v[2:3], v[30:31]
	v_fmac_f64_e32 v[36:37], v[2:3], v[28:29]
	s_delay_alu instid0(VALU_DEP_2) | instskip(SKIP_1) | instid1(VALU_DEP_2)
	v_fmac_f64_e32 v[30:31], v[4:5], v[28:29]
	s_wait_loadcnt 0x0
	v_fmac_f64_e32 v[12:13], v[36:37], v[32:33]
	s_delay_alu instid0(VALU_DEP_2) | instskip(NEXT) | instid1(VALU_DEP_2)
	v_fmac_f64_e32 v[10:11], v[30:31], v[32:33]
	v_fma_f64 v[12:13], -v[30:31], v[34:35], v[12:13]
	s_delay_alu instid0(VALU_DEP_2)
	v_fmac_f64_e32 v[10:11], v[36:37], v[34:35]
	s_wait_xcnt 0x0
	s_and_not1_b32 exec_lo, exec_lo, s23
	s_cbranch_execnz .LBB123_9
; %bb.10:                               ;   in Loop: Header=BB123_7 Depth=1
	s_or_b32 exec_lo, exec_lo, s23
.LBB123_11:                             ;   in Loop: Header=BB123_7 Depth=1
	s_delay_alu instid0(SALU_CYCLE_1)
	s_or_b32 exec_lo, exec_lo, s11
	ds_bpermute_b32 v16, v24, v12
	ds_bpermute_b32 v17, v24, v13
	;; [unrolled: 1-line block ×4, first 2 shown]
	s_wait_dscnt 0x2
	v_add_f64_e32 v[12:13], v[12:13], v[16:17]
	s_wait_dscnt 0x0
	v_add_f64_e32 v[16:17], v[10:11], v[18:19]
	ds_bpermute_b32 v10, v25, v12
	ds_bpermute_b32 v11, v25, v13
	ds_bpermute_b32 v18, v25, v16
	ds_bpermute_b32 v19, v25, v17
	s_wait_dscnt 0x2
	v_add_f64_e32 v[10:11], v[12:13], v[10:11]
	s_wait_dscnt 0x0
	v_add_f64_e32 v[12:13], v[16:17], v[18:19]
	ds_bpermute_b32 v18, v26, v10
	ds_bpermute_b32 v19, v26, v11
	;; [unrolled: 1-line block ×4, first 2 shown]
	s_and_saveexec_b32 s1, vcc_lo
	s_cbranch_execz .LBB123_6
; %bb.12:                               ;   in Loop: Header=BB123_7 Depth=1
	s_wait_dscnt 0x2
	v_add_f64_e32 v[10:11], v[10:11], v[18:19]
	s_wait_dscnt 0x0
	v_add_f64_e32 v[12:13], v[12:13], v[16:17]
	v_lshl_add_u64 v[16:17], v[14:15], 4, s[18:19]
	s_and_saveexec_b32 s11, s22
	s_cbranch_execz .LBB123_5
; %bb.13:                               ;   in Loop: Header=BB123_7 Depth=1
	global_load_b128 v[18:21], v[16:17], off
	s_wait_loadcnt 0x0
	v_fmac_f64_e32 v[10:11], v[6:7], v[18:19]
	v_fmac_f64_e32 v[12:13], v[8:9], v[18:19]
	s_delay_alu instid0(VALU_DEP_2) | instskip(NEXT) | instid1(VALU_DEP_2)
	v_fma_f64 v[10:11], -v[8:9], v[20:21], v[10:11]
	v_fmac_f64_e32 v[12:13], v[6:7], v[20:21]
	s_branch .LBB123_5
.LBB123_14:
	s_endpgm
	.section	.rodata,"a",@progbits
	.p2align	6, 0x0
	.amdhsa_kernel _ZN9rocsparseL21csrmvn_general_kernelILj256ELj8Ell21rocsparse_complex_numIdES2_S2_S2_EEvbT2_NS_24const_host_device_scalarIT6_EEPKT1_S9_PKS3_PKT3_PKT4_S6_PT5_21rocsparse_index_base_b
		.amdhsa_group_segment_fixed_size 0
		.amdhsa_private_segment_fixed_size 0
		.amdhsa_kernarg_size 360
		.amdhsa_user_sgpr_count 2
		.amdhsa_user_sgpr_dispatch_ptr 0
		.amdhsa_user_sgpr_queue_ptr 0
		.amdhsa_user_sgpr_kernarg_segment_ptr 1
		.amdhsa_user_sgpr_dispatch_id 0
		.amdhsa_user_sgpr_kernarg_preload_length 0
		.amdhsa_user_sgpr_kernarg_preload_offset 0
		.amdhsa_user_sgpr_private_segment_size 0
		.amdhsa_wavefront_size32 1
		.amdhsa_uses_dynamic_stack 0
		.amdhsa_enable_private_segment 0
		.amdhsa_system_sgpr_workgroup_id_x 1
		.amdhsa_system_sgpr_workgroup_id_y 0
		.amdhsa_system_sgpr_workgroup_id_z 0
		.amdhsa_system_sgpr_workgroup_info 0
		.amdhsa_system_vgpr_workitem_id 0
		.amdhsa_next_free_vgpr 38
		.amdhsa_next_free_sgpr 24
		.amdhsa_named_barrier_count 0
		.amdhsa_reserve_vcc 1
		.amdhsa_float_round_mode_32 0
		.amdhsa_float_round_mode_16_64 0
		.amdhsa_float_denorm_mode_32 3
		.amdhsa_float_denorm_mode_16_64 3
		.amdhsa_fp16_overflow 0
		.amdhsa_memory_ordered 1
		.amdhsa_forward_progress 1
		.amdhsa_inst_pref_size 9
		.amdhsa_round_robin_scheduling 0
		.amdhsa_exception_fp_ieee_invalid_op 0
		.amdhsa_exception_fp_denorm_src 0
		.amdhsa_exception_fp_ieee_div_zero 0
		.amdhsa_exception_fp_ieee_overflow 0
		.amdhsa_exception_fp_ieee_underflow 0
		.amdhsa_exception_fp_ieee_inexact 0
		.amdhsa_exception_int_div_zero 0
	.end_amdhsa_kernel
	.section	.text._ZN9rocsparseL21csrmvn_general_kernelILj256ELj8Ell21rocsparse_complex_numIdES2_S2_S2_EEvbT2_NS_24const_host_device_scalarIT6_EEPKT1_S9_PKS3_PKT3_PKT4_S6_PT5_21rocsparse_index_base_b,"axG",@progbits,_ZN9rocsparseL21csrmvn_general_kernelILj256ELj8Ell21rocsparse_complex_numIdES2_S2_S2_EEvbT2_NS_24const_host_device_scalarIT6_EEPKT1_S9_PKS3_PKT3_PKT4_S6_PT5_21rocsparse_index_base_b,comdat
.Lfunc_end123:
	.size	_ZN9rocsparseL21csrmvn_general_kernelILj256ELj8Ell21rocsparse_complex_numIdES2_S2_S2_EEvbT2_NS_24const_host_device_scalarIT6_EEPKT1_S9_PKS3_PKT3_PKT4_S6_PT5_21rocsparse_index_base_b, .Lfunc_end123-_ZN9rocsparseL21csrmvn_general_kernelILj256ELj8Ell21rocsparse_complex_numIdES2_S2_S2_EEvbT2_NS_24const_host_device_scalarIT6_EEPKT1_S9_PKS3_PKT3_PKT4_S6_PT5_21rocsparse_index_base_b
                                        ; -- End function
	.set _ZN9rocsparseL21csrmvn_general_kernelILj256ELj8Ell21rocsparse_complex_numIdES2_S2_S2_EEvbT2_NS_24const_host_device_scalarIT6_EEPKT1_S9_PKS3_PKT3_PKT4_S6_PT5_21rocsparse_index_base_b.num_vgpr, 38
	.set _ZN9rocsparseL21csrmvn_general_kernelILj256ELj8Ell21rocsparse_complex_numIdES2_S2_S2_EEvbT2_NS_24const_host_device_scalarIT6_EEPKT1_S9_PKS3_PKT3_PKT4_S6_PT5_21rocsparse_index_base_b.num_agpr, 0
	.set _ZN9rocsparseL21csrmvn_general_kernelILj256ELj8Ell21rocsparse_complex_numIdES2_S2_S2_EEvbT2_NS_24const_host_device_scalarIT6_EEPKT1_S9_PKS3_PKT3_PKT4_S6_PT5_21rocsparse_index_base_b.numbered_sgpr, 24
	.set _ZN9rocsparseL21csrmvn_general_kernelILj256ELj8Ell21rocsparse_complex_numIdES2_S2_S2_EEvbT2_NS_24const_host_device_scalarIT6_EEPKT1_S9_PKS3_PKT3_PKT4_S6_PT5_21rocsparse_index_base_b.num_named_barrier, 0
	.set _ZN9rocsparseL21csrmvn_general_kernelILj256ELj8Ell21rocsparse_complex_numIdES2_S2_S2_EEvbT2_NS_24const_host_device_scalarIT6_EEPKT1_S9_PKS3_PKT3_PKT4_S6_PT5_21rocsparse_index_base_b.private_seg_size, 0
	.set _ZN9rocsparseL21csrmvn_general_kernelILj256ELj8Ell21rocsparse_complex_numIdES2_S2_S2_EEvbT2_NS_24const_host_device_scalarIT6_EEPKT1_S9_PKS3_PKT3_PKT4_S6_PT5_21rocsparse_index_base_b.uses_vcc, 1
	.set _ZN9rocsparseL21csrmvn_general_kernelILj256ELj8Ell21rocsparse_complex_numIdES2_S2_S2_EEvbT2_NS_24const_host_device_scalarIT6_EEPKT1_S9_PKS3_PKT3_PKT4_S6_PT5_21rocsparse_index_base_b.uses_flat_scratch, 0
	.set _ZN9rocsparseL21csrmvn_general_kernelILj256ELj8Ell21rocsparse_complex_numIdES2_S2_S2_EEvbT2_NS_24const_host_device_scalarIT6_EEPKT1_S9_PKS3_PKT3_PKT4_S6_PT5_21rocsparse_index_base_b.has_dyn_sized_stack, 0
	.set _ZN9rocsparseL21csrmvn_general_kernelILj256ELj8Ell21rocsparse_complex_numIdES2_S2_S2_EEvbT2_NS_24const_host_device_scalarIT6_EEPKT1_S9_PKS3_PKT3_PKT4_S6_PT5_21rocsparse_index_base_b.has_recursion, 0
	.set _ZN9rocsparseL21csrmvn_general_kernelILj256ELj8Ell21rocsparse_complex_numIdES2_S2_S2_EEvbT2_NS_24const_host_device_scalarIT6_EEPKT1_S9_PKS3_PKT3_PKT4_S6_PT5_21rocsparse_index_base_b.has_indirect_call, 0
	.section	.AMDGPU.csdata,"",@progbits
; Kernel info:
; codeLenInByte = 1072
; TotalNumSgprs: 26
; NumVgprs: 38
; ScratchSize: 0
; MemoryBound: 0
; FloatMode: 240
; IeeeMode: 1
; LDSByteSize: 0 bytes/workgroup (compile time only)
; SGPRBlocks: 0
; VGPRBlocks: 2
; NumSGPRsForWavesPerEU: 26
; NumVGPRsForWavesPerEU: 38
; NamedBarCnt: 0
; Occupancy: 16
; WaveLimiterHint : 1
; COMPUTE_PGM_RSRC2:SCRATCH_EN: 0
; COMPUTE_PGM_RSRC2:USER_SGPR: 2
; COMPUTE_PGM_RSRC2:TRAP_HANDLER: 0
; COMPUTE_PGM_RSRC2:TGID_X_EN: 1
; COMPUTE_PGM_RSRC2:TGID_Y_EN: 0
; COMPUTE_PGM_RSRC2:TGID_Z_EN: 0
; COMPUTE_PGM_RSRC2:TIDIG_COMP_CNT: 0
	.section	.text._ZN9rocsparseL21csrmvn_general_kernelILj256ELj16Ell21rocsparse_complex_numIdES2_S2_S2_EEvbT2_NS_24const_host_device_scalarIT6_EEPKT1_S9_PKS3_PKT3_PKT4_S6_PT5_21rocsparse_index_base_b,"axG",@progbits,_ZN9rocsparseL21csrmvn_general_kernelILj256ELj16Ell21rocsparse_complex_numIdES2_S2_S2_EEvbT2_NS_24const_host_device_scalarIT6_EEPKT1_S9_PKS3_PKT3_PKT4_S6_PT5_21rocsparse_index_base_b,comdat
	.globl	_ZN9rocsparseL21csrmvn_general_kernelILj256ELj16Ell21rocsparse_complex_numIdES2_S2_S2_EEvbT2_NS_24const_host_device_scalarIT6_EEPKT1_S9_PKS3_PKT3_PKT4_S6_PT5_21rocsparse_index_base_b ; -- Begin function _ZN9rocsparseL21csrmvn_general_kernelILj256ELj16Ell21rocsparse_complex_numIdES2_S2_S2_EEvbT2_NS_24const_host_device_scalarIT6_EEPKT1_S9_PKS3_PKT3_PKT4_S6_PT5_21rocsparse_index_base_b
	.p2align	8
	.type	_ZN9rocsparseL21csrmvn_general_kernelILj256ELj16Ell21rocsparse_complex_numIdES2_S2_S2_EEvbT2_NS_24const_host_device_scalarIT6_EEPKT1_S9_PKS3_PKT3_PKT4_S6_PT5_21rocsparse_index_base_b,@function
_ZN9rocsparseL21csrmvn_general_kernelILj256ELj16Ell21rocsparse_complex_numIdES2_S2_S2_EEvbT2_NS_24const_host_device_scalarIT6_EEPKT1_S9_PKS3_PKT3_PKT4_S6_PT5_21rocsparse_index_base_b: ; @_ZN9rocsparseL21csrmvn_general_kernelILj256ELj16Ell21rocsparse_complex_numIdES2_S2_S2_EEvbT2_NS_24const_host_device_scalarIT6_EEPKT1_S9_PKS3_PKT3_PKT4_S6_PT5_21rocsparse_index_base_b
; %bb.0:
	s_clause 0x1
	s_load_b64 s[16:17], s[0:1], 0x60
	s_load_b128 s[12:15], s[0:1], 0x8
	v_mov_b32_e32 v1, 0
	s_add_nc_u64 s[2:3], s[0:1], 16
	s_load_b64 s[4:5], s[0:1], 0x48
	s_wait_kmcnt 0x0
	s_bitcmp1_b32 s17, 0
	s_cselect_b32 s3, s3, s15
	s_cselect_b32 s2, s2, s14
	flat_load_b128 v[2:5], v1, s[2:3]
	s_wait_xcnt 0x0
	s_add_nc_u64 s[2:3], s[0:1], 0x48
	s_delay_alu instid0(SALU_CYCLE_1)
	s_cselect_b32 s3, s3, s5
	s_cselect_b32 s2, s2, s4
	flat_load_b128 v[6:9], v1, s[2:3]
	s_wait_loadcnt_dscnt 0x101
	v_cmp_eq_f64_e32 vcc_lo, 0, v[2:3]
	s_wait_xcnt 0x0
	v_cmp_eq_f64_e64 s2, 0, v[4:5]
	s_and_b32 s4, vcc_lo, s2
	s_mov_b32 s2, -1
	s_and_saveexec_b32 s3, s4
	s_cbranch_execz .LBB124_2
; %bb.1:
	s_wait_loadcnt_dscnt 0x0
	v_cmp_neq_f64_e32 vcc_lo, 1.0, v[6:7]
	v_cmp_neq_f64_e64 s2, 0, v[8:9]
	s_or_b32 s2, vcc_lo, s2
	s_delay_alu instid0(SALU_CYCLE_1)
	s_or_not1_b32 s2, s2, exec_lo
.LBB124_2:
	s_or_b32 exec_lo, exec_lo, s3
	s_and_saveexec_b32 s3, s2
	s_cbranch_execz .LBB124_14
; %bb.3:
	s_bfe_u32 s2, ttmp6, 0x4000c
	s_and_b32 s3, ttmp6, 15
	s_add_co_i32 s2, s2, 1
	s_getreg_b32 s4, hwreg(HW_REG_IB_STS2, 6, 4)
	s_mul_i32 s2, ttmp9, s2
	s_mov_b32 s15, 0
	s_add_co_i32 s3, s3, s2
	s_cmp_eq_u32 s4, 0
	v_mov_b32_e32 v15, 0
	s_cselect_b32 s2, ttmp9, s3
	s_delay_alu instid0(SALU_CYCLE_1) | instskip(NEXT) | instid1(VALU_DEP_1)
	v_lshl_or_b32 v1, s2, 8, v0
	v_lshrrev_b32_e32 v14, 4, v1
	s_delay_alu instid0(VALU_DEP_1)
	v_cmp_gt_i64_e32 vcc_lo, s[12:13], v[14:15]
	s_and_b32 exec_lo, exec_lo, vcc_lo
	s_cbranch_execz .LBB124_14
; %bb.4:
	v_mbcnt_lo_u32_b32 v12, -1, 0
	v_dual_mov_b32 v11, v15 :: v_dual_bitop2_b32 v10, 15, v0 bitop3:0x40
	s_mov_b32 s17, s15
	s_clause 0x2
	s_load_b32 s14, s[0:1], 0x68
	s_load_b32 s23, s[0:1], 0x0
	s_load_b256 s[4:11], s[0:1], 0x20
	v_xor_b32_e32 v13, 4, v12
	s_clause 0x1
	s_load_b64 s[18:19], s[0:1], 0x58
	s_load_b64 s[20:21], s[0:1], 0x40
	v_sub_nc_u64_e64 v[0:1], v[10:11], s[16:17]
	s_wait_loadcnt_dscnt 0x0
	v_cmp_neq_f64_e64 s2, 0, v[6:7]
	v_cmp_neq_f64_e64 s3, 0, v[8:9]
	s_wait_xcnt 0x0
	v_cmp_gt_i32_e64 s0, 32, v13
	v_xor_b32_e32 v11, 8, v12
	s_mov_b32 s22, s16
	v_cndmask_b32_e64 v13, v12, v13, s0
	s_delay_alu instid0(VALU_DEP_2) | instskip(NEXT) | instid1(VALU_DEP_2)
	v_cmp_gt_i32_e32 vcc_lo, 32, v11
	v_dual_lshlrev_b32 v25, 2, v13 :: v_dual_cndmask_b32 v11, v12, v11, vcc_lo
	v_xor_b32_e32 v17, 1, v12
	s_wait_kmcnt 0x0
	s_lshl_b32 s14, s14, 4
	s_bitcmp1_b32 s23, 0
	v_dual_lshlrev_b32 v24, 2, v11 :: v_dual_bitop2_b32 v16, 2, v12 bitop3:0x14
	s_cselect_b32 vcc_lo, -1, 0
	s_ashr_i32 s23, s16, 31
	s_delay_alu instid0(SALU_CYCLE_1) | instskip(NEXT) | instid1(VALU_DEP_1)
	s_lshl_b64 s[22:23], s[22:23], 4
	v_cmp_gt_i32_e64 s0, 32, v16
	s_sub_nc_u64 s[20:21], s[20:21], s[22:23]
	v_cndmask_b32_e64 v16, v12, v16, s0
	v_cmp_gt_i32_e64 s0, 32, v17
	s_or_b32 s22, s2, s3
	v_dual_lshlrev_b32 v26, 2, v16 :: v_dual_cndmask_b32 v12, v12, v17, s0
	v_cmp_eq_u32_e64 s0, 15, v10
	s_add_nc_u64 s[2:3], s[10:11], 8
	s_mov_b32 s10, s15
	v_lshlrev_b32_e32 v27, 2, v12
	s_branch .LBB124_7
.LBB124_5:                              ;   in Loop: Header=BB124_7 Depth=1
	s_wait_xcnt 0x0
	s_or_b32 exec_lo, exec_lo, s11
	global_store_b128 v[16:17], v[10:13], off
.LBB124_6:                              ;   in Loop: Header=BB124_7 Depth=1
	s_wait_xcnt 0x0
	s_or_b32 exec_lo, exec_lo, s1
	v_add_nc_u64_e32 v[14:15], s[14:15], v[14:15]
	s_delay_alu instid0(VALU_DEP_1) | instskip(SKIP_1) | instid1(SALU_CYCLE_1)
	v_cmp_le_i64_e64 s1, s[12:13], v[14:15]
	s_or_b32 s10, s1, s10
	s_and_not1_b32 exec_lo, exec_lo, s10
	s_cbranch_execz .LBB124_14
.LBB124_7:                              ; =>This Loop Header: Depth=1
                                        ;     Child Loop BB124_9 Depth 2
	v_lshlrev_b64_e32 v[10:11], 3, v[14:15]
	s_mov_b32 s11, exec_lo
	s_delay_alu instid0(VALU_DEP_1)
	v_add_nc_u64_e32 v[12:13], s[6:7], v[10:11]
	v_add_nc_u64_e32 v[10:11], s[4:5], v[10:11]
	s_wait_dscnt 0x0
	global_load_b64 v[16:17], v[12:13], off
	global_load_b64 v[18:19], v[10:11], off
	s_wait_xcnt 0x0
	v_mov_b64_e32 v[10:11], 0
	v_mov_b64_e32 v[12:13], 0
	s_wait_loadcnt 0x1
	v_sub_nc_u64_e64 v[16:17], v[16:17], s[16:17]
	s_wait_loadcnt 0x0
	v_add_nc_u64_e32 v[18:19], v[18:19], v[0:1]
	s_delay_alu instid0(VALU_DEP_1)
	v_cmpx_lt_i64_e64 v[18:19], v[16:17]
	s_cbranch_execz .LBB124_11
; %bb.8:                                ;   in Loop: Header=BB124_7 Depth=1
	v_mov_b64_e32 v[10:11], 0
	v_mov_b64_e32 v[12:13], 0
	v_lshl_add_u64 v[20:21], v[18:19], 4, s[2:3]
	v_lshl_add_u64 v[22:23], v[18:19], 3, s[8:9]
	s_mov_b32 s23, 0
.LBB124_9:                              ;   Parent Loop BB124_7 Depth=1
                                        ; =>  This Inner Loop Header: Depth=2
	global_load_b64 v[32:33], v[22:23], off
	global_load_b128 v[28:31], v[20:21], off offset:-8
	v_add_nc_u64_e32 v[18:19], 16, v[18:19]
	s_wait_xcnt 0x0
	v_add_nc_u64_e32 v[20:21], 0x100, v[20:21]
	v_add_nc_u64_e32 v[22:23], 0x80, v[22:23]
	s_delay_alu instid0(VALU_DEP_3)
	v_cmp_ge_i64_e64 s1, v[18:19], v[16:17]
	s_or_b32 s23, s1, s23
	s_wait_loadcnt 0x1
	v_lshl_add_u64 v[32:33], v[32:33], 4, s[20:21]
	s_wait_loadcnt 0x0
	v_xor_b32_e32 v36, 0x80000000, v31
	global_load_b128 v[32:35], v[32:33], off
	v_cndmask_b32_e32 v31, v31, v36, vcc_lo
	s_delay_alu instid0(VALU_DEP_1) | instskip(SKIP_1) | instid1(VALU_DEP_2)
	v_mul_f64_e64 v[36:37], v[30:31], -v[4:5]
	v_mul_f64_e32 v[30:31], v[2:3], v[30:31]
	v_fmac_f64_e32 v[36:37], v[2:3], v[28:29]
	s_delay_alu instid0(VALU_DEP_2) | instskip(SKIP_1) | instid1(VALU_DEP_2)
	v_fmac_f64_e32 v[30:31], v[4:5], v[28:29]
	s_wait_loadcnt 0x0
	v_fmac_f64_e32 v[12:13], v[36:37], v[32:33]
	s_delay_alu instid0(VALU_DEP_2) | instskip(NEXT) | instid1(VALU_DEP_2)
	v_fmac_f64_e32 v[10:11], v[30:31], v[32:33]
	v_fma_f64 v[12:13], -v[30:31], v[34:35], v[12:13]
	s_delay_alu instid0(VALU_DEP_2)
	v_fmac_f64_e32 v[10:11], v[36:37], v[34:35]
	s_wait_xcnt 0x0
	s_and_not1_b32 exec_lo, exec_lo, s23
	s_cbranch_execnz .LBB124_9
; %bb.10:                               ;   in Loop: Header=BB124_7 Depth=1
	s_or_b32 exec_lo, exec_lo, s23
.LBB124_11:                             ;   in Loop: Header=BB124_7 Depth=1
	s_delay_alu instid0(SALU_CYCLE_1)
	s_or_b32 exec_lo, exec_lo, s11
	ds_bpermute_b32 v16, v24, v12
	ds_bpermute_b32 v17, v24, v13
	ds_bpermute_b32 v18, v24, v10
	ds_bpermute_b32 v19, v24, v11
	s_wait_dscnt 0x2
	v_add_f64_e32 v[12:13], v[12:13], v[16:17]
	s_wait_dscnt 0x0
	v_add_f64_e32 v[10:11], v[10:11], v[18:19]
	ds_bpermute_b32 v16, v25, v12
	ds_bpermute_b32 v17, v25, v13
	ds_bpermute_b32 v18, v25, v10
	ds_bpermute_b32 v19, v25, v11
	s_wait_dscnt 0x2
	v_add_f64_e32 v[12:13], v[12:13], v[16:17]
	s_wait_dscnt 0x0
	v_add_f64_e32 v[16:17], v[10:11], v[18:19]
	;; [unrolled: 8-line block ×3, first 2 shown]
	ds_bpermute_b32 v18, v27, v10
	ds_bpermute_b32 v19, v27, v11
	;; [unrolled: 1-line block ×4, first 2 shown]
	s_and_saveexec_b32 s1, s0
	s_cbranch_execz .LBB124_6
; %bb.12:                               ;   in Loop: Header=BB124_7 Depth=1
	s_wait_dscnt 0x2
	v_add_f64_e32 v[10:11], v[10:11], v[18:19]
	s_wait_dscnt 0x0
	v_add_f64_e32 v[12:13], v[12:13], v[16:17]
	v_lshl_add_u64 v[16:17], v[14:15], 4, s[18:19]
	s_and_saveexec_b32 s11, s22
	s_cbranch_execz .LBB124_5
; %bb.13:                               ;   in Loop: Header=BB124_7 Depth=1
	global_load_b128 v[18:21], v[16:17], off
	s_wait_loadcnt 0x0
	v_fmac_f64_e32 v[10:11], v[6:7], v[18:19]
	v_fmac_f64_e32 v[12:13], v[8:9], v[18:19]
	s_delay_alu instid0(VALU_DEP_2) | instskip(NEXT) | instid1(VALU_DEP_2)
	v_fma_f64 v[10:11], -v[8:9], v[20:21], v[10:11]
	v_fmac_f64_e32 v[12:13], v[6:7], v[20:21]
	s_branch .LBB124_5
.LBB124_14:
	s_endpgm
	.section	.rodata,"a",@progbits
	.p2align	6, 0x0
	.amdhsa_kernel _ZN9rocsparseL21csrmvn_general_kernelILj256ELj16Ell21rocsparse_complex_numIdES2_S2_S2_EEvbT2_NS_24const_host_device_scalarIT6_EEPKT1_S9_PKS3_PKT3_PKT4_S6_PT5_21rocsparse_index_base_b
		.amdhsa_group_segment_fixed_size 0
		.amdhsa_private_segment_fixed_size 0
		.amdhsa_kernarg_size 360
		.amdhsa_user_sgpr_count 2
		.amdhsa_user_sgpr_dispatch_ptr 0
		.amdhsa_user_sgpr_queue_ptr 0
		.amdhsa_user_sgpr_kernarg_segment_ptr 1
		.amdhsa_user_sgpr_dispatch_id 0
		.amdhsa_user_sgpr_kernarg_preload_length 0
		.amdhsa_user_sgpr_kernarg_preload_offset 0
		.amdhsa_user_sgpr_private_segment_size 0
		.amdhsa_wavefront_size32 1
		.amdhsa_uses_dynamic_stack 0
		.amdhsa_enable_private_segment 0
		.amdhsa_system_sgpr_workgroup_id_x 1
		.amdhsa_system_sgpr_workgroup_id_y 0
		.amdhsa_system_sgpr_workgroup_id_z 0
		.amdhsa_system_sgpr_workgroup_info 0
		.amdhsa_system_vgpr_workitem_id 0
		.amdhsa_next_free_vgpr 38
		.amdhsa_next_free_sgpr 24
		.amdhsa_named_barrier_count 0
		.amdhsa_reserve_vcc 1
		.amdhsa_float_round_mode_32 0
		.amdhsa_float_round_mode_16_64 0
		.amdhsa_float_denorm_mode_32 3
		.amdhsa_float_denorm_mode_16_64 3
		.amdhsa_fp16_overflow 0
		.amdhsa_memory_ordered 1
		.amdhsa_forward_progress 1
		.amdhsa_inst_pref_size 9
		.amdhsa_round_robin_scheduling 0
		.amdhsa_exception_fp_ieee_invalid_op 0
		.amdhsa_exception_fp_denorm_src 0
		.amdhsa_exception_fp_ieee_div_zero 0
		.amdhsa_exception_fp_ieee_overflow 0
		.amdhsa_exception_fp_ieee_underflow 0
		.amdhsa_exception_fp_ieee_inexact 0
		.amdhsa_exception_int_div_zero 0
	.end_amdhsa_kernel
	.section	.text._ZN9rocsparseL21csrmvn_general_kernelILj256ELj16Ell21rocsparse_complex_numIdES2_S2_S2_EEvbT2_NS_24const_host_device_scalarIT6_EEPKT1_S9_PKS3_PKT3_PKT4_S6_PT5_21rocsparse_index_base_b,"axG",@progbits,_ZN9rocsparseL21csrmvn_general_kernelILj256ELj16Ell21rocsparse_complex_numIdES2_S2_S2_EEvbT2_NS_24const_host_device_scalarIT6_EEPKT1_S9_PKS3_PKT3_PKT4_S6_PT5_21rocsparse_index_base_b,comdat
.Lfunc_end124:
	.size	_ZN9rocsparseL21csrmvn_general_kernelILj256ELj16Ell21rocsparse_complex_numIdES2_S2_S2_EEvbT2_NS_24const_host_device_scalarIT6_EEPKT1_S9_PKS3_PKT3_PKT4_S6_PT5_21rocsparse_index_base_b, .Lfunc_end124-_ZN9rocsparseL21csrmvn_general_kernelILj256ELj16Ell21rocsparse_complex_numIdES2_S2_S2_EEvbT2_NS_24const_host_device_scalarIT6_EEPKT1_S9_PKS3_PKT3_PKT4_S6_PT5_21rocsparse_index_base_b
                                        ; -- End function
	.set _ZN9rocsparseL21csrmvn_general_kernelILj256ELj16Ell21rocsparse_complex_numIdES2_S2_S2_EEvbT2_NS_24const_host_device_scalarIT6_EEPKT1_S9_PKS3_PKT3_PKT4_S6_PT5_21rocsparse_index_base_b.num_vgpr, 38
	.set _ZN9rocsparseL21csrmvn_general_kernelILj256ELj16Ell21rocsparse_complex_numIdES2_S2_S2_EEvbT2_NS_24const_host_device_scalarIT6_EEPKT1_S9_PKS3_PKT3_PKT4_S6_PT5_21rocsparse_index_base_b.num_agpr, 0
	.set _ZN9rocsparseL21csrmvn_general_kernelILj256ELj16Ell21rocsparse_complex_numIdES2_S2_S2_EEvbT2_NS_24const_host_device_scalarIT6_EEPKT1_S9_PKS3_PKT3_PKT4_S6_PT5_21rocsparse_index_base_b.numbered_sgpr, 24
	.set _ZN9rocsparseL21csrmvn_general_kernelILj256ELj16Ell21rocsparse_complex_numIdES2_S2_S2_EEvbT2_NS_24const_host_device_scalarIT6_EEPKT1_S9_PKS3_PKT3_PKT4_S6_PT5_21rocsparse_index_base_b.num_named_barrier, 0
	.set _ZN9rocsparseL21csrmvn_general_kernelILj256ELj16Ell21rocsparse_complex_numIdES2_S2_S2_EEvbT2_NS_24const_host_device_scalarIT6_EEPKT1_S9_PKS3_PKT3_PKT4_S6_PT5_21rocsparse_index_base_b.private_seg_size, 0
	.set _ZN9rocsparseL21csrmvn_general_kernelILj256ELj16Ell21rocsparse_complex_numIdES2_S2_S2_EEvbT2_NS_24const_host_device_scalarIT6_EEPKT1_S9_PKS3_PKT3_PKT4_S6_PT5_21rocsparse_index_base_b.uses_vcc, 1
	.set _ZN9rocsparseL21csrmvn_general_kernelILj256ELj16Ell21rocsparse_complex_numIdES2_S2_S2_EEvbT2_NS_24const_host_device_scalarIT6_EEPKT1_S9_PKS3_PKT3_PKT4_S6_PT5_21rocsparse_index_base_b.uses_flat_scratch, 0
	.set _ZN9rocsparseL21csrmvn_general_kernelILj256ELj16Ell21rocsparse_complex_numIdES2_S2_S2_EEvbT2_NS_24const_host_device_scalarIT6_EEPKT1_S9_PKS3_PKT3_PKT4_S6_PT5_21rocsparse_index_base_b.has_dyn_sized_stack, 0
	.set _ZN9rocsparseL21csrmvn_general_kernelILj256ELj16Ell21rocsparse_complex_numIdES2_S2_S2_EEvbT2_NS_24const_host_device_scalarIT6_EEPKT1_S9_PKS3_PKT3_PKT4_S6_PT5_21rocsparse_index_base_b.has_recursion, 0
	.set _ZN9rocsparseL21csrmvn_general_kernelILj256ELj16Ell21rocsparse_complex_numIdES2_S2_S2_EEvbT2_NS_24const_host_device_scalarIT6_EEPKT1_S9_PKS3_PKT3_PKT4_S6_PT5_21rocsparse_index_base_b.has_indirect_call, 0
	.section	.AMDGPU.csdata,"",@progbits
; Kernel info:
; codeLenInByte = 1148
; TotalNumSgprs: 26
; NumVgprs: 38
; ScratchSize: 0
; MemoryBound: 0
; FloatMode: 240
; IeeeMode: 1
; LDSByteSize: 0 bytes/workgroup (compile time only)
; SGPRBlocks: 0
; VGPRBlocks: 2
; NumSGPRsForWavesPerEU: 26
; NumVGPRsForWavesPerEU: 38
; NamedBarCnt: 0
; Occupancy: 16
; WaveLimiterHint : 1
; COMPUTE_PGM_RSRC2:SCRATCH_EN: 0
; COMPUTE_PGM_RSRC2:USER_SGPR: 2
; COMPUTE_PGM_RSRC2:TRAP_HANDLER: 0
; COMPUTE_PGM_RSRC2:TGID_X_EN: 1
; COMPUTE_PGM_RSRC2:TGID_Y_EN: 0
; COMPUTE_PGM_RSRC2:TGID_Z_EN: 0
; COMPUTE_PGM_RSRC2:TIDIG_COMP_CNT: 0
	.section	.text._ZN9rocsparseL21csrmvn_general_kernelILj256ELj32Ell21rocsparse_complex_numIdES2_S2_S2_EEvbT2_NS_24const_host_device_scalarIT6_EEPKT1_S9_PKS3_PKT3_PKT4_S6_PT5_21rocsparse_index_base_b,"axG",@progbits,_ZN9rocsparseL21csrmvn_general_kernelILj256ELj32Ell21rocsparse_complex_numIdES2_S2_S2_EEvbT2_NS_24const_host_device_scalarIT6_EEPKT1_S9_PKS3_PKT3_PKT4_S6_PT5_21rocsparse_index_base_b,comdat
	.globl	_ZN9rocsparseL21csrmvn_general_kernelILj256ELj32Ell21rocsparse_complex_numIdES2_S2_S2_EEvbT2_NS_24const_host_device_scalarIT6_EEPKT1_S9_PKS3_PKT3_PKT4_S6_PT5_21rocsparse_index_base_b ; -- Begin function _ZN9rocsparseL21csrmvn_general_kernelILj256ELj32Ell21rocsparse_complex_numIdES2_S2_S2_EEvbT2_NS_24const_host_device_scalarIT6_EEPKT1_S9_PKS3_PKT3_PKT4_S6_PT5_21rocsparse_index_base_b
	.p2align	8
	.type	_ZN9rocsparseL21csrmvn_general_kernelILj256ELj32Ell21rocsparse_complex_numIdES2_S2_S2_EEvbT2_NS_24const_host_device_scalarIT6_EEPKT1_S9_PKS3_PKT3_PKT4_S6_PT5_21rocsparse_index_base_b,@function
_ZN9rocsparseL21csrmvn_general_kernelILj256ELj32Ell21rocsparse_complex_numIdES2_S2_S2_EEvbT2_NS_24const_host_device_scalarIT6_EEPKT1_S9_PKS3_PKT3_PKT4_S6_PT5_21rocsparse_index_base_b: ; @_ZN9rocsparseL21csrmvn_general_kernelILj256ELj32Ell21rocsparse_complex_numIdES2_S2_S2_EEvbT2_NS_24const_host_device_scalarIT6_EEPKT1_S9_PKS3_PKT3_PKT4_S6_PT5_21rocsparse_index_base_b
; %bb.0:
	s_clause 0x1
	s_load_b64 s[16:17], s[0:1], 0x60
	s_load_b128 s[12:15], s[0:1], 0x8
	v_mov_b32_e32 v1, 0
	s_add_nc_u64 s[2:3], s[0:1], 16
	s_load_b64 s[4:5], s[0:1], 0x48
	s_wait_kmcnt 0x0
	s_bitcmp1_b32 s17, 0
	s_cselect_b32 s3, s3, s15
	s_cselect_b32 s2, s2, s14
	flat_load_b128 v[2:5], v1, s[2:3]
	s_wait_xcnt 0x0
	s_add_nc_u64 s[2:3], s[0:1], 0x48
	s_delay_alu instid0(SALU_CYCLE_1)
	s_cselect_b32 s3, s3, s5
	s_cselect_b32 s2, s2, s4
	flat_load_b128 v[6:9], v1, s[2:3]
	s_wait_loadcnt_dscnt 0x101
	v_cmp_eq_f64_e32 vcc_lo, 0, v[2:3]
	s_wait_xcnt 0x0
	v_cmp_eq_f64_e64 s2, 0, v[4:5]
	s_and_b32 s4, vcc_lo, s2
	s_mov_b32 s2, -1
	s_and_saveexec_b32 s3, s4
	s_cbranch_execz .LBB125_2
; %bb.1:
	s_wait_loadcnt_dscnt 0x0
	v_cmp_neq_f64_e32 vcc_lo, 1.0, v[6:7]
	v_cmp_neq_f64_e64 s2, 0, v[8:9]
	s_or_b32 s2, vcc_lo, s2
	s_delay_alu instid0(SALU_CYCLE_1)
	s_or_not1_b32 s2, s2, exec_lo
.LBB125_2:
	s_or_b32 exec_lo, exec_lo, s3
	s_and_saveexec_b32 s3, s2
	s_cbranch_execz .LBB125_14
; %bb.3:
	s_bfe_u32 s2, ttmp6, 0x4000c
	s_and_b32 s3, ttmp6, 15
	s_add_co_i32 s2, s2, 1
	s_getreg_b32 s4, hwreg(HW_REG_IB_STS2, 6, 4)
	s_mul_i32 s2, ttmp9, s2
	s_mov_b32 s15, 0
	s_add_co_i32 s3, s3, s2
	s_cmp_eq_u32 s4, 0
	v_mov_b32_e32 v15, 0
	s_cselect_b32 s2, ttmp9, s3
	s_delay_alu instid0(SALU_CYCLE_1) | instskip(NEXT) | instid1(VALU_DEP_1)
	v_lshl_or_b32 v1, s2, 8, v0
	v_lshrrev_b32_e32 v14, 5, v1
	s_delay_alu instid0(VALU_DEP_1)
	v_cmp_gt_i64_e32 vcc_lo, s[12:13], v[14:15]
	s_and_b32 exec_lo, exec_lo, vcc_lo
	s_cbranch_execz .LBB125_14
; %bb.4:
	v_dual_mov_b32 v11, v15 :: v_dual_bitop2_b32 v10, 31, v0 bitop3:0x40
	v_mbcnt_lo_u32_b32 v12, -1, 0
	s_mov_b32 s17, s15
	s_clause 0x4
	s_load_b32 s14, s[0:1], 0x68
	s_load_b32 s23, s[0:1], 0x0
	s_load_b64 s[18:19], s[0:1], 0x58
	s_load_b64 s[20:21], s[0:1], 0x40
	s_load_b256 s[4:11], s[0:1], 0x20
	v_sub_nc_u64_e64 v[0:1], v[10:11], s[16:17]
	v_xor_b32_e32 v13, 8, v12
	v_xor_b32_e32 v11, 16, v12
	s_wait_loadcnt_dscnt 0x0
	v_cmp_neq_f64_e64 s2, 0, v[6:7]
	v_cmp_neq_f64_e64 s3, 0, v[8:9]
	s_mov_b32 s22, s16
	s_wait_xcnt 0x0
	v_cmp_gt_i32_e64 s0, 32, v11
	s_delay_alu instid0(VALU_DEP_1)
	v_dual_cndmask_b32 v11, v12, v11, s0 :: v_dual_bitop2_b32 v18, 1, v12 bitop3:0x14
	v_cmp_gt_i32_e64 s0, 32, v13
	s_wait_kmcnt 0x0
	s_lshl_b32 s14, s14, 3
	s_bitcmp1_b32 s23, 0
	v_dual_lshlrev_b32 v24, 2, v11 :: v_dual_bitop2_b32 v17, 2, v12 bitop3:0x14
	v_dual_cndmask_b32 v13, v12, v13, s0 :: v_dual_bitop2_b32 v16, 4, v12 bitop3:0x14
	s_cselect_b32 vcc_lo, -1, 0
	s_ashr_i32 s23, s16, 31
	s_delay_alu instid0(VALU_DEP_1) | instskip(NEXT) | instid1(VALU_DEP_2)
	v_cmp_gt_i32_e64 s0, 32, v16
	v_lshlrev_b32_e32 v25, 2, v13
	s_lshl_b64 s[22:23], s[22:23], 4
	s_delay_alu instid0(SALU_CYCLE_1) | instskip(SKIP_2) | instid1(VALU_DEP_1)
	s_sub_nc_u64 s[20:21], s[20:21], s[22:23]
	v_cndmask_b32_e64 v16, v12, v16, s0
	v_cmp_gt_i32_e64 s0, 32, v17
	v_cndmask_b32_e64 v17, v12, v17, s0
	v_cmp_gt_i32_e64 s0, 32, v18
	s_delay_alu instid0(VALU_DEP_4)
	v_lshlrev_b32_e32 v26, 2, v16
	s_or_b32 s22, s2, s3
	s_add_nc_u64 s[2:3], s[10:11], 8
	v_dual_lshlrev_b32 v27, 2, v17 :: v_dual_cndmask_b32 v12, v12, v18, s0
	v_cmp_eq_u32_e64 s0, 31, v10
	s_mov_b32 s10, s15
	v_lshlrev_b32_e32 v28, 2, v12
	s_branch .LBB125_7
.LBB125_5:                              ;   in Loop: Header=BB125_7 Depth=1
	s_wait_xcnt 0x0
	s_or_b32 exec_lo, exec_lo, s11
	global_store_b128 v[16:17], v[10:13], off
.LBB125_6:                              ;   in Loop: Header=BB125_7 Depth=1
	s_wait_xcnt 0x0
	s_or_b32 exec_lo, exec_lo, s1
	v_add_nc_u64_e32 v[14:15], s[14:15], v[14:15]
	s_delay_alu instid0(VALU_DEP_1) | instskip(SKIP_1) | instid1(SALU_CYCLE_1)
	v_cmp_le_i64_e64 s1, s[12:13], v[14:15]
	s_or_b32 s10, s1, s10
	s_and_not1_b32 exec_lo, exec_lo, s10
	s_cbranch_execz .LBB125_14
.LBB125_7:                              ; =>This Loop Header: Depth=1
                                        ;     Child Loop BB125_9 Depth 2
	v_lshlrev_b64_e32 v[10:11], 3, v[14:15]
	s_mov_b32 s11, exec_lo
	s_delay_alu instid0(VALU_DEP_1)
	v_add_nc_u64_e32 v[12:13], s[6:7], v[10:11]
	v_add_nc_u64_e32 v[10:11], s[4:5], v[10:11]
	s_wait_dscnt 0x0
	global_load_b64 v[16:17], v[12:13], off
	global_load_b64 v[18:19], v[10:11], off
	s_wait_xcnt 0x0
	v_mov_b64_e32 v[10:11], 0
	v_mov_b64_e32 v[12:13], 0
	s_wait_loadcnt 0x1
	v_sub_nc_u64_e64 v[16:17], v[16:17], s[16:17]
	s_wait_loadcnt 0x0
	v_add_nc_u64_e32 v[18:19], v[18:19], v[0:1]
	s_delay_alu instid0(VALU_DEP_1)
	v_cmpx_lt_i64_e64 v[18:19], v[16:17]
	s_cbranch_execz .LBB125_11
; %bb.8:                                ;   in Loop: Header=BB125_7 Depth=1
	v_mov_b64_e32 v[10:11], 0
	v_mov_b64_e32 v[12:13], 0
	v_lshl_add_u64 v[20:21], v[18:19], 4, s[2:3]
	v_lshl_add_u64 v[22:23], v[18:19], 3, s[8:9]
	s_mov_b32 s23, 0
.LBB125_9:                              ;   Parent Loop BB125_7 Depth=1
                                        ; =>  This Inner Loop Header: Depth=2
	global_load_b64 v[34:35], v[22:23], off
	global_load_b128 v[30:33], v[20:21], off offset:-8
	v_add_nc_u64_e32 v[18:19], 32, v[18:19]
	s_wait_xcnt 0x0
	v_add_nc_u64_e32 v[20:21], 0x200, v[20:21]
	v_add_nc_u64_e32 v[22:23], 0x100, v[22:23]
	s_delay_alu instid0(VALU_DEP_3)
	v_cmp_ge_i64_e64 s1, v[18:19], v[16:17]
	s_or_b32 s23, s1, s23
	s_wait_loadcnt 0x1
	v_lshl_add_u64 v[34:35], v[34:35], 4, s[20:21]
	s_wait_loadcnt 0x0
	v_xor_b32_e32 v29, 0x80000000, v33
	global_load_b128 v[34:37], v[34:35], off
	v_cndmask_b32_e32 v33, v33, v29, vcc_lo
	s_delay_alu instid0(VALU_DEP_1) | instskip(SKIP_1) | instid1(VALU_DEP_2)
	v_mul_f64_e64 v[38:39], v[32:33], -v[4:5]
	v_mul_f64_e32 v[32:33], v[2:3], v[32:33]
	v_fmac_f64_e32 v[38:39], v[2:3], v[30:31]
	s_delay_alu instid0(VALU_DEP_2) | instskip(SKIP_1) | instid1(VALU_DEP_2)
	v_fmac_f64_e32 v[32:33], v[4:5], v[30:31]
	s_wait_loadcnt 0x0
	v_fmac_f64_e32 v[12:13], v[38:39], v[34:35]
	s_delay_alu instid0(VALU_DEP_2) | instskip(NEXT) | instid1(VALU_DEP_2)
	v_fmac_f64_e32 v[10:11], v[32:33], v[34:35]
	v_fma_f64 v[12:13], -v[32:33], v[36:37], v[12:13]
	s_delay_alu instid0(VALU_DEP_2)
	v_fmac_f64_e32 v[10:11], v[38:39], v[36:37]
	s_wait_xcnt 0x0
	s_and_not1_b32 exec_lo, exec_lo, s23
	s_cbranch_execnz .LBB125_9
; %bb.10:                               ;   in Loop: Header=BB125_7 Depth=1
	s_or_b32 exec_lo, exec_lo, s23
.LBB125_11:                             ;   in Loop: Header=BB125_7 Depth=1
	s_delay_alu instid0(SALU_CYCLE_1)
	s_or_b32 exec_lo, exec_lo, s11
	ds_bpermute_b32 v16, v24, v12
	ds_bpermute_b32 v17, v24, v13
	ds_bpermute_b32 v18, v24, v10
	ds_bpermute_b32 v19, v24, v11
	s_wait_dscnt 0x2
	v_add_f64_e32 v[12:13], v[12:13], v[16:17]
	s_wait_dscnt 0x0
	v_add_f64_e32 v[10:11], v[10:11], v[18:19]
	ds_bpermute_b32 v16, v25, v12
	ds_bpermute_b32 v17, v25, v13
	ds_bpermute_b32 v18, v25, v10
	ds_bpermute_b32 v19, v25, v11
	s_wait_dscnt 0x2
	v_add_f64_e32 v[12:13], v[12:13], v[16:17]
	s_wait_dscnt 0x0
	v_add_f64_e32 v[10:11], v[10:11], v[18:19]
	;; [unrolled: 8-line block ×4, first 2 shown]
	ds_bpermute_b32 v18, v28, v10
	ds_bpermute_b32 v19, v28, v11
	;; [unrolled: 1-line block ×4, first 2 shown]
	s_and_saveexec_b32 s1, s0
	s_cbranch_execz .LBB125_6
; %bb.12:                               ;   in Loop: Header=BB125_7 Depth=1
	s_wait_dscnt 0x2
	v_add_f64_e32 v[10:11], v[10:11], v[18:19]
	s_wait_dscnt 0x0
	v_add_f64_e32 v[12:13], v[12:13], v[16:17]
	v_lshl_add_u64 v[16:17], v[14:15], 4, s[18:19]
	s_and_saveexec_b32 s11, s22
	s_cbranch_execz .LBB125_5
; %bb.13:                               ;   in Loop: Header=BB125_7 Depth=1
	global_load_b128 v[18:21], v[16:17], off
	s_wait_loadcnt 0x0
	v_fmac_f64_e32 v[10:11], v[6:7], v[18:19]
	v_fmac_f64_e32 v[12:13], v[8:9], v[18:19]
	s_delay_alu instid0(VALU_DEP_2) | instskip(NEXT) | instid1(VALU_DEP_2)
	v_fma_f64 v[10:11], -v[8:9], v[20:21], v[10:11]
	v_fmac_f64_e32 v[12:13], v[6:7], v[20:21]
	s_branch .LBB125_5
.LBB125_14:
	s_endpgm
	.section	.rodata,"a",@progbits
	.p2align	6, 0x0
	.amdhsa_kernel _ZN9rocsparseL21csrmvn_general_kernelILj256ELj32Ell21rocsparse_complex_numIdES2_S2_S2_EEvbT2_NS_24const_host_device_scalarIT6_EEPKT1_S9_PKS3_PKT3_PKT4_S6_PT5_21rocsparse_index_base_b
		.amdhsa_group_segment_fixed_size 0
		.amdhsa_private_segment_fixed_size 0
		.amdhsa_kernarg_size 360
		.amdhsa_user_sgpr_count 2
		.amdhsa_user_sgpr_dispatch_ptr 0
		.amdhsa_user_sgpr_queue_ptr 0
		.amdhsa_user_sgpr_kernarg_segment_ptr 1
		.amdhsa_user_sgpr_dispatch_id 0
		.amdhsa_user_sgpr_kernarg_preload_length 0
		.amdhsa_user_sgpr_kernarg_preload_offset 0
		.amdhsa_user_sgpr_private_segment_size 0
		.amdhsa_wavefront_size32 1
		.amdhsa_uses_dynamic_stack 0
		.amdhsa_enable_private_segment 0
		.amdhsa_system_sgpr_workgroup_id_x 1
		.amdhsa_system_sgpr_workgroup_id_y 0
		.amdhsa_system_sgpr_workgroup_id_z 0
		.amdhsa_system_sgpr_workgroup_info 0
		.amdhsa_system_vgpr_workitem_id 0
		.amdhsa_next_free_vgpr 40
		.amdhsa_next_free_sgpr 24
		.amdhsa_named_barrier_count 0
		.amdhsa_reserve_vcc 1
		.amdhsa_float_round_mode_32 0
		.amdhsa_float_round_mode_16_64 0
		.amdhsa_float_denorm_mode_32 3
		.amdhsa_float_denorm_mode_16_64 3
		.amdhsa_fp16_overflow 0
		.amdhsa_memory_ordered 1
		.amdhsa_forward_progress 1
		.amdhsa_inst_pref_size 10
		.amdhsa_round_robin_scheduling 0
		.amdhsa_exception_fp_ieee_invalid_op 0
		.amdhsa_exception_fp_denorm_src 0
		.amdhsa_exception_fp_ieee_div_zero 0
		.amdhsa_exception_fp_ieee_overflow 0
		.amdhsa_exception_fp_ieee_underflow 0
		.amdhsa_exception_fp_ieee_inexact 0
		.amdhsa_exception_int_div_zero 0
	.end_amdhsa_kernel
	.section	.text._ZN9rocsparseL21csrmvn_general_kernelILj256ELj32Ell21rocsparse_complex_numIdES2_S2_S2_EEvbT2_NS_24const_host_device_scalarIT6_EEPKT1_S9_PKS3_PKT3_PKT4_S6_PT5_21rocsparse_index_base_b,"axG",@progbits,_ZN9rocsparseL21csrmvn_general_kernelILj256ELj32Ell21rocsparse_complex_numIdES2_S2_S2_EEvbT2_NS_24const_host_device_scalarIT6_EEPKT1_S9_PKS3_PKT3_PKT4_S6_PT5_21rocsparse_index_base_b,comdat
.Lfunc_end125:
	.size	_ZN9rocsparseL21csrmvn_general_kernelILj256ELj32Ell21rocsparse_complex_numIdES2_S2_S2_EEvbT2_NS_24const_host_device_scalarIT6_EEPKT1_S9_PKS3_PKT3_PKT4_S6_PT5_21rocsparse_index_base_b, .Lfunc_end125-_ZN9rocsparseL21csrmvn_general_kernelILj256ELj32Ell21rocsparse_complex_numIdES2_S2_S2_EEvbT2_NS_24const_host_device_scalarIT6_EEPKT1_S9_PKS3_PKT3_PKT4_S6_PT5_21rocsparse_index_base_b
                                        ; -- End function
	.set _ZN9rocsparseL21csrmvn_general_kernelILj256ELj32Ell21rocsparse_complex_numIdES2_S2_S2_EEvbT2_NS_24const_host_device_scalarIT6_EEPKT1_S9_PKS3_PKT3_PKT4_S6_PT5_21rocsparse_index_base_b.num_vgpr, 40
	.set _ZN9rocsparseL21csrmvn_general_kernelILj256ELj32Ell21rocsparse_complex_numIdES2_S2_S2_EEvbT2_NS_24const_host_device_scalarIT6_EEPKT1_S9_PKS3_PKT3_PKT4_S6_PT5_21rocsparse_index_base_b.num_agpr, 0
	.set _ZN9rocsparseL21csrmvn_general_kernelILj256ELj32Ell21rocsparse_complex_numIdES2_S2_S2_EEvbT2_NS_24const_host_device_scalarIT6_EEPKT1_S9_PKS3_PKT3_PKT4_S6_PT5_21rocsparse_index_base_b.numbered_sgpr, 24
	.set _ZN9rocsparseL21csrmvn_general_kernelILj256ELj32Ell21rocsparse_complex_numIdES2_S2_S2_EEvbT2_NS_24const_host_device_scalarIT6_EEPKT1_S9_PKS3_PKT3_PKT4_S6_PT5_21rocsparse_index_base_b.num_named_barrier, 0
	.set _ZN9rocsparseL21csrmvn_general_kernelILj256ELj32Ell21rocsparse_complex_numIdES2_S2_S2_EEvbT2_NS_24const_host_device_scalarIT6_EEPKT1_S9_PKS3_PKT3_PKT4_S6_PT5_21rocsparse_index_base_b.private_seg_size, 0
	.set _ZN9rocsparseL21csrmvn_general_kernelILj256ELj32Ell21rocsparse_complex_numIdES2_S2_S2_EEvbT2_NS_24const_host_device_scalarIT6_EEPKT1_S9_PKS3_PKT3_PKT4_S6_PT5_21rocsparse_index_base_b.uses_vcc, 1
	.set _ZN9rocsparseL21csrmvn_general_kernelILj256ELj32Ell21rocsparse_complex_numIdES2_S2_S2_EEvbT2_NS_24const_host_device_scalarIT6_EEPKT1_S9_PKS3_PKT3_PKT4_S6_PT5_21rocsparse_index_base_b.uses_flat_scratch, 0
	.set _ZN9rocsparseL21csrmvn_general_kernelILj256ELj32Ell21rocsparse_complex_numIdES2_S2_S2_EEvbT2_NS_24const_host_device_scalarIT6_EEPKT1_S9_PKS3_PKT3_PKT4_S6_PT5_21rocsparse_index_base_b.has_dyn_sized_stack, 0
	.set _ZN9rocsparseL21csrmvn_general_kernelILj256ELj32Ell21rocsparse_complex_numIdES2_S2_S2_EEvbT2_NS_24const_host_device_scalarIT6_EEPKT1_S9_PKS3_PKT3_PKT4_S6_PT5_21rocsparse_index_base_b.has_recursion, 0
	.set _ZN9rocsparseL21csrmvn_general_kernelILj256ELj32Ell21rocsparse_complex_numIdES2_S2_S2_EEvbT2_NS_24const_host_device_scalarIT6_EEPKT1_S9_PKS3_PKT3_PKT4_S6_PT5_21rocsparse_index_base_b.has_indirect_call, 0
	.section	.AMDGPU.csdata,"",@progbits
; Kernel info:
; codeLenInByte = 1228
; TotalNumSgprs: 26
; NumVgprs: 40
; ScratchSize: 0
; MemoryBound: 0
; FloatMode: 240
; IeeeMode: 1
; LDSByteSize: 0 bytes/workgroup (compile time only)
; SGPRBlocks: 0
; VGPRBlocks: 2
; NumSGPRsForWavesPerEU: 26
; NumVGPRsForWavesPerEU: 40
; NamedBarCnt: 0
; Occupancy: 16
; WaveLimiterHint : 1
; COMPUTE_PGM_RSRC2:SCRATCH_EN: 0
; COMPUTE_PGM_RSRC2:USER_SGPR: 2
; COMPUTE_PGM_RSRC2:TRAP_HANDLER: 0
; COMPUTE_PGM_RSRC2:TGID_X_EN: 1
; COMPUTE_PGM_RSRC2:TGID_Y_EN: 0
; COMPUTE_PGM_RSRC2:TGID_Z_EN: 0
; COMPUTE_PGM_RSRC2:TIDIG_COMP_CNT: 0
	.section	.text._ZN9rocsparseL21csrmvn_general_kernelILj256ELj64Ell21rocsparse_complex_numIdES2_S2_S2_EEvbT2_NS_24const_host_device_scalarIT6_EEPKT1_S9_PKS3_PKT3_PKT4_S6_PT5_21rocsparse_index_base_b,"axG",@progbits,_ZN9rocsparseL21csrmvn_general_kernelILj256ELj64Ell21rocsparse_complex_numIdES2_S2_S2_EEvbT2_NS_24const_host_device_scalarIT6_EEPKT1_S9_PKS3_PKT3_PKT4_S6_PT5_21rocsparse_index_base_b,comdat
	.globl	_ZN9rocsparseL21csrmvn_general_kernelILj256ELj64Ell21rocsparse_complex_numIdES2_S2_S2_EEvbT2_NS_24const_host_device_scalarIT6_EEPKT1_S9_PKS3_PKT3_PKT4_S6_PT5_21rocsparse_index_base_b ; -- Begin function _ZN9rocsparseL21csrmvn_general_kernelILj256ELj64Ell21rocsparse_complex_numIdES2_S2_S2_EEvbT2_NS_24const_host_device_scalarIT6_EEPKT1_S9_PKS3_PKT3_PKT4_S6_PT5_21rocsparse_index_base_b
	.p2align	8
	.type	_ZN9rocsparseL21csrmvn_general_kernelILj256ELj64Ell21rocsparse_complex_numIdES2_S2_S2_EEvbT2_NS_24const_host_device_scalarIT6_EEPKT1_S9_PKS3_PKT3_PKT4_S6_PT5_21rocsparse_index_base_b,@function
_ZN9rocsparseL21csrmvn_general_kernelILj256ELj64Ell21rocsparse_complex_numIdES2_S2_S2_EEvbT2_NS_24const_host_device_scalarIT6_EEPKT1_S9_PKS3_PKT3_PKT4_S6_PT5_21rocsparse_index_base_b: ; @_ZN9rocsparseL21csrmvn_general_kernelILj256ELj64Ell21rocsparse_complex_numIdES2_S2_S2_EEvbT2_NS_24const_host_device_scalarIT6_EEPKT1_S9_PKS3_PKT3_PKT4_S6_PT5_21rocsparse_index_base_b
; %bb.0:
	s_clause 0x1
	s_load_b64 s[16:17], s[0:1], 0x60
	s_load_b128 s[12:15], s[0:1], 0x8
	v_mov_b32_e32 v1, 0
	s_add_nc_u64 s[2:3], s[0:1], 16
	s_load_b64 s[4:5], s[0:1], 0x48
	s_wait_kmcnt 0x0
	s_bitcmp1_b32 s17, 0
	s_cselect_b32 s3, s3, s15
	s_cselect_b32 s2, s2, s14
	flat_load_b128 v[2:5], v1, s[2:3]
	s_wait_xcnt 0x0
	s_add_nc_u64 s[2:3], s[0:1], 0x48
	s_delay_alu instid0(SALU_CYCLE_1)
	s_cselect_b32 s3, s3, s5
	s_cselect_b32 s2, s2, s4
	flat_load_b128 v[6:9], v1, s[2:3]
	s_wait_loadcnt_dscnt 0x101
	v_cmp_eq_f64_e32 vcc_lo, 0, v[2:3]
	s_wait_xcnt 0x0
	v_cmp_eq_f64_e64 s2, 0, v[4:5]
	s_and_b32 s4, vcc_lo, s2
	s_mov_b32 s2, -1
	s_and_saveexec_b32 s3, s4
	s_cbranch_execz .LBB126_2
; %bb.1:
	s_wait_loadcnt_dscnt 0x0
	v_cmp_neq_f64_e32 vcc_lo, 1.0, v[6:7]
	v_cmp_neq_f64_e64 s2, 0, v[8:9]
	s_or_b32 s2, vcc_lo, s2
	s_delay_alu instid0(SALU_CYCLE_1)
	s_or_not1_b32 s2, s2, exec_lo
.LBB126_2:
	s_or_b32 exec_lo, exec_lo, s3
	s_and_saveexec_b32 s3, s2
	s_cbranch_execz .LBB126_14
; %bb.3:
	s_bfe_u32 s2, ttmp6, 0x4000c
	s_and_b32 s3, ttmp6, 15
	s_add_co_i32 s2, s2, 1
	s_getreg_b32 s4, hwreg(HW_REG_IB_STS2, 6, 4)
	s_mul_i32 s2, ttmp9, s2
	s_mov_b32 s15, 0
	s_add_co_i32 s3, s3, s2
	s_cmp_eq_u32 s4, 0
	v_mov_b32_e32 v15, 0
	s_cselect_b32 s2, ttmp9, s3
	s_delay_alu instid0(SALU_CYCLE_1) | instskip(NEXT) | instid1(VALU_DEP_1)
	v_lshl_or_b32 v1, s2, 8, v0
	v_lshrrev_b32_e32 v14, 6, v1
	s_delay_alu instid0(VALU_DEP_1)
	v_cmp_gt_i64_e32 vcc_lo, s[12:13], v[14:15]
	s_and_b32 exec_lo, exec_lo, vcc_lo
	s_cbranch_execz .LBB126_14
; %bb.4:
	v_mbcnt_lo_u32_b32 v12, -1, 0
	v_dual_mov_b32 v11, v15 :: v_dual_bitop2_b32 v10, 63, v0 bitop3:0x40
	s_mov_b32 s17, s15
	s_clause 0x4
	s_load_b32 s3, s[0:1], 0x68
	s_load_b32 s23, s[0:1], 0x0
	s_load_b256 s[4:11], s[0:1], 0x20
	s_load_b64 s[18:19], s[0:1], 0x58
	s_load_b64 s[20:21], s[0:1], 0x40
	v_xor_b32_e32 v13, 16, v12
	s_wait_loadcnt_dscnt 0x0
	v_cmp_neq_f64_e64 s1, 0, v[6:7]
	v_sub_nc_u64_e64 v[0:1], v[10:11], s[16:17]
	v_cmp_neq_f64_e64 s2, 0, v[8:9]
	s_mov_b32 s22, s16
	v_cmp_gt_i32_e64 s0, 32, v13
	s_delay_alu instid0(VALU_DEP_1) | instskip(NEXT) | instid1(VALU_DEP_1)
	v_dual_cndmask_b32 v13, v12, v13, s0 :: v_dual_bitop2_b32 v11, 32, v12 bitop3:0x54
	v_cmp_gt_i32_e32 vcc_lo, 32, v11
	s_delay_alu instid0(VALU_DEP_2) | instskip(SKIP_4) | instid1(VALU_DEP_1)
	v_dual_lshlrev_b32 v25, 2, v13 :: v_dual_bitop2_b32 v18, 1, v12 bitop3:0x14
	v_dual_cndmask_b32 v11, v12, v11, vcc_lo :: v_dual_bitop2_b32 v16, 8, v12 bitop3:0x14
	s_wait_kmcnt 0x0
	s_lshl_b32 s14, s3, 2
	s_bitcmp1_b32 s23, 0
	v_dual_lshlrev_b32 v24, 2, v11 :: v_dual_bitop2_b32 v11, 2, v12 bitop3:0x14
	v_xor_b32_e32 v17, 4, v12
	v_cmp_gt_i32_e64 s0, 32, v16
	s_cselect_b32 vcc_lo, -1, 0
	s_ashr_i32 s23, s16, 31
	s_delay_alu instid0(SALU_CYCLE_1)
	s_lshl_b64 s[22:23], s[22:23], 4
	v_cndmask_b32_e64 v16, v12, v16, s0
	v_cmp_gt_i32_e64 s0, 32, v17
	s_sub_nc_u64 s[20:21], s[20:21], s[22:23]
	v_cndmask_b32_e64 v17, v12, v17, s0
	v_cmp_gt_i32_e64 s0, 32, v11
	s_or_b32 s22, s1, s2
	s_add_nc_u64 s[2:3], s[10:11], 8
	s_mov_b32 s10, s15
	v_dual_lshlrev_b32 v27, 2, v17 :: v_dual_cndmask_b32 v11, v12, v11, s0
	v_cmp_gt_i32_e64 s0, 32, v18
	s_delay_alu instid0(VALU_DEP_1) | instskip(NEXT) | instid1(VALU_DEP_3)
	v_dual_cndmask_b32 v12, v12, v18, s0 :: v_dual_lshlrev_b32 v26, 2, v16
	v_lshlrev_b32_e32 v28, 2, v11
	v_cmp_eq_u32_e64 s0, 63, v10
	s_delay_alu instid0(VALU_DEP_3)
	v_lshlrev_b32_e32 v29, 2, v12
	s_branch .LBB126_7
.LBB126_5:                              ;   in Loop: Header=BB126_7 Depth=1
	s_wait_xcnt 0x0
	s_or_b32 exec_lo, exec_lo, s11
	global_store_b128 v[16:17], v[10:13], off
.LBB126_6:                              ;   in Loop: Header=BB126_7 Depth=1
	s_wait_xcnt 0x0
	s_or_b32 exec_lo, exec_lo, s1
	v_add_nc_u64_e32 v[14:15], s[14:15], v[14:15]
	s_delay_alu instid0(VALU_DEP_1) | instskip(SKIP_1) | instid1(SALU_CYCLE_1)
	v_cmp_le_i64_e64 s1, s[12:13], v[14:15]
	s_or_b32 s10, s1, s10
	s_and_not1_b32 exec_lo, exec_lo, s10
	s_cbranch_execz .LBB126_14
.LBB126_7:                              ; =>This Loop Header: Depth=1
                                        ;     Child Loop BB126_9 Depth 2
	v_lshlrev_b64_e32 v[10:11], 3, v[14:15]
	s_mov_b32 s11, exec_lo
	s_delay_alu instid0(VALU_DEP_1)
	v_add_nc_u64_e32 v[12:13], s[6:7], v[10:11]
	v_add_nc_u64_e32 v[10:11], s[4:5], v[10:11]
	s_wait_dscnt 0x0
	global_load_b64 v[16:17], v[12:13], off
	global_load_b64 v[18:19], v[10:11], off
	s_wait_xcnt 0x0
	v_mov_b64_e32 v[10:11], 0
	v_mov_b64_e32 v[12:13], 0
	s_wait_loadcnt 0x1
	v_sub_nc_u64_e64 v[16:17], v[16:17], s[16:17]
	s_wait_loadcnt 0x0
	v_add_nc_u64_e32 v[18:19], v[18:19], v[0:1]
	s_delay_alu instid0(VALU_DEP_1)
	v_cmpx_lt_i64_e64 v[18:19], v[16:17]
	s_cbranch_execz .LBB126_11
; %bb.8:                                ;   in Loop: Header=BB126_7 Depth=1
	v_mov_b64_e32 v[10:11], 0
	v_mov_b64_e32 v[12:13], 0
	v_lshl_add_u64 v[20:21], v[18:19], 4, s[2:3]
	v_lshl_add_u64 v[22:23], v[18:19], 3, s[8:9]
	s_mov_b32 s23, 0
.LBB126_9:                              ;   Parent Loop BB126_7 Depth=1
                                        ; =>  This Inner Loop Header: Depth=2
	global_load_b64 v[34:35], v[22:23], off
	global_load_b128 v[30:33], v[20:21], off offset:-8
	v_add_nc_u64_e32 v[18:19], 64, v[18:19]
	s_wait_xcnt 0x0
	v_add_nc_u64_e32 v[20:21], 0x400, v[20:21]
	v_add_nc_u64_e32 v[22:23], 0x200, v[22:23]
	s_delay_alu instid0(VALU_DEP_3)
	v_cmp_ge_i64_e64 s1, v[18:19], v[16:17]
	s_or_b32 s23, s1, s23
	s_wait_loadcnt 0x1
	v_lshl_add_u64 v[34:35], v[34:35], 4, s[20:21]
	s_wait_loadcnt 0x0
	v_xor_b32_e32 v38, 0x80000000, v33
	global_load_b128 v[34:37], v[34:35], off
	v_cndmask_b32_e32 v33, v33, v38, vcc_lo
	s_delay_alu instid0(VALU_DEP_1) | instskip(SKIP_1) | instid1(VALU_DEP_2)
	v_mul_f64_e64 v[38:39], v[32:33], -v[4:5]
	v_mul_f64_e32 v[32:33], v[2:3], v[32:33]
	v_fmac_f64_e32 v[38:39], v[2:3], v[30:31]
	s_delay_alu instid0(VALU_DEP_2) | instskip(SKIP_1) | instid1(VALU_DEP_2)
	v_fmac_f64_e32 v[32:33], v[4:5], v[30:31]
	s_wait_loadcnt 0x0
	v_fmac_f64_e32 v[12:13], v[38:39], v[34:35]
	s_delay_alu instid0(VALU_DEP_2) | instskip(NEXT) | instid1(VALU_DEP_2)
	v_fmac_f64_e32 v[10:11], v[32:33], v[34:35]
	v_fma_f64 v[12:13], -v[32:33], v[36:37], v[12:13]
	s_delay_alu instid0(VALU_DEP_2)
	v_fmac_f64_e32 v[10:11], v[38:39], v[36:37]
	s_wait_xcnt 0x0
	s_and_not1_b32 exec_lo, exec_lo, s23
	s_cbranch_execnz .LBB126_9
; %bb.10:                               ;   in Loop: Header=BB126_7 Depth=1
	s_or_b32 exec_lo, exec_lo, s23
.LBB126_11:                             ;   in Loop: Header=BB126_7 Depth=1
	s_delay_alu instid0(SALU_CYCLE_1)
	s_or_b32 exec_lo, exec_lo, s11
	ds_bpermute_b32 v16, v24, v12
	ds_bpermute_b32 v17, v24, v13
	ds_bpermute_b32 v18, v24, v10
	ds_bpermute_b32 v19, v24, v11
	s_wait_dscnt 0x2
	v_add_f64_e32 v[12:13], v[12:13], v[16:17]
	s_wait_dscnt 0x0
	v_add_f64_e32 v[10:11], v[10:11], v[18:19]
	ds_bpermute_b32 v16, v25, v12
	ds_bpermute_b32 v17, v25, v13
	ds_bpermute_b32 v18, v25, v10
	ds_bpermute_b32 v19, v25, v11
	s_wait_dscnt 0x2
	v_add_f64_e32 v[12:13], v[12:13], v[16:17]
	s_wait_dscnt 0x0
	v_add_f64_e32 v[10:11], v[10:11], v[18:19]
	ds_bpermute_b32 v16, v26, v12
	ds_bpermute_b32 v17, v26, v13
	ds_bpermute_b32 v18, v26, v10
	ds_bpermute_b32 v19, v26, v11
	s_wait_dscnt 0x2
	v_add_f64_e32 v[12:13], v[12:13], v[16:17]
	s_wait_dscnt 0x0
	v_add_f64_e32 v[10:11], v[10:11], v[18:19]
	ds_bpermute_b32 v16, v27, v12
	ds_bpermute_b32 v17, v27, v13
	ds_bpermute_b32 v18, v27, v10
	ds_bpermute_b32 v19, v27, v11
	s_wait_dscnt 0x2
	v_add_f64_e32 v[12:13], v[12:13], v[16:17]
	s_wait_dscnt 0x0
	v_add_f64_e32 v[16:17], v[10:11], v[18:19]
	ds_bpermute_b32 v10, v28, v12
	ds_bpermute_b32 v11, v28, v13
	ds_bpermute_b32 v18, v28, v16
	ds_bpermute_b32 v19, v28, v17
	s_wait_dscnt 0x2
	v_add_f64_e32 v[10:11], v[12:13], v[10:11]
	s_wait_dscnt 0x0
	v_add_f64_e32 v[12:13], v[16:17], v[18:19]
	ds_bpermute_b32 v18, v29, v10
	ds_bpermute_b32 v19, v29, v11
	;; [unrolled: 1-line block ×4, first 2 shown]
	s_and_saveexec_b32 s1, s0
	s_cbranch_execz .LBB126_6
; %bb.12:                               ;   in Loop: Header=BB126_7 Depth=1
	s_wait_dscnt 0x2
	v_add_f64_e32 v[10:11], v[10:11], v[18:19]
	s_wait_dscnt 0x0
	v_add_f64_e32 v[12:13], v[12:13], v[16:17]
	v_lshl_add_u64 v[16:17], v[14:15], 4, s[18:19]
	s_and_saveexec_b32 s11, s22
	s_cbranch_execz .LBB126_5
; %bb.13:                               ;   in Loop: Header=BB126_7 Depth=1
	global_load_b128 v[18:21], v[16:17], off
	s_wait_loadcnt 0x0
	v_fmac_f64_e32 v[10:11], v[6:7], v[18:19]
	v_fmac_f64_e32 v[12:13], v[8:9], v[18:19]
	s_delay_alu instid0(VALU_DEP_2) | instskip(NEXT) | instid1(VALU_DEP_2)
	v_fma_f64 v[10:11], -v[8:9], v[20:21], v[10:11]
	v_fmac_f64_e32 v[12:13], v[6:7], v[20:21]
	s_branch .LBB126_5
.LBB126_14:
	s_endpgm
	.section	.rodata,"a",@progbits
	.p2align	6, 0x0
	.amdhsa_kernel _ZN9rocsparseL21csrmvn_general_kernelILj256ELj64Ell21rocsparse_complex_numIdES2_S2_S2_EEvbT2_NS_24const_host_device_scalarIT6_EEPKT1_S9_PKS3_PKT3_PKT4_S6_PT5_21rocsparse_index_base_b
		.amdhsa_group_segment_fixed_size 0
		.amdhsa_private_segment_fixed_size 0
		.amdhsa_kernarg_size 360
		.amdhsa_user_sgpr_count 2
		.amdhsa_user_sgpr_dispatch_ptr 0
		.amdhsa_user_sgpr_queue_ptr 0
		.amdhsa_user_sgpr_kernarg_segment_ptr 1
		.amdhsa_user_sgpr_dispatch_id 0
		.amdhsa_user_sgpr_kernarg_preload_length 0
		.amdhsa_user_sgpr_kernarg_preload_offset 0
		.amdhsa_user_sgpr_private_segment_size 0
		.amdhsa_wavefront_size32 1
		.amdhsa_uses_dynamic_stack 0
		.amdhsa_enable_private_segment 0
		.amdhsa_system_sgpr_workgroup_id_x 1
		.amdhsa_system_sgpr_workgroup_id_y 0
		.amdhsa_system_sgpr_workgroup_id_z 0
		.amdhsa_system_sgpr_workgroup_info 0
		.amdhsa_system_vgpr_workitem_id 0
		.amdhsa_next_free_vgpr 40
		.amdhsa_next_free_sgpr 24
		.amdhsa_named_barrier_count 0
		.amdhsa_reserve_vcc 1
		.amdhsa_float_round_mode_32 0
		.amdhsa_float_round_mode_16_64 0
		.amdhsa_float_denorm_mode_32 3
		.amdhsa_float_denorm_mode_16_64 3
		.amdhsa_fp16_overflow 0
		.amdhsa_memory_ordered 1
		.amdhsa_forward_progress 1
		.amdhsa_inst_pref_size 11
		.amdhsa_round_robin_scheduling 0
		.amdhsa_exception_fp_ieee_invalid_op 0
		.amdhsa_exception_fp_denorm_src 0
		.amdhsa_exception_fp_ieee_div_zero 0
		.amdhsa_exception_fp_ieee_overflow 0
		.amdhsa_exception_fp_ieee_underflow 0
		.amdhsa_exception_fp_ieee_inexact 0
		.amdhsa_exception_int_div_zero 0
	.end_amdhsa_kernel
	.section	.text._ZN9rocsparseL21csrmvn_general_kernelILj256ELj64Ell21rocsparse_complex_numIdES2_S2_S2_EEvbT2_NS_24const_host_device_scalarIT6_EEPKT1_S9_PKS3_PKT3_PKT4_S6_PT5_21rocsparse_index_base_b,"axG",@progbits,_ZN9rocsparseL21csrmvn_general_kernelILj256ELj64Ell21rocsparse_complex_numIdES2_S2_S2_EEvbT2_NS_24const_host_device_scalarIT6_EEPKT1_S9_PKS3_PKT3_PKT4_S6_PT5_21rocsparse_index_base_b,comdat
.Lfunc_end126:
	.size	_ZN9rocsparseL21csrmvn_general_kernelILj256ELj64Ell21rocsparse_complex_numIdES2_S2_S2_EEvbT2_NS_24const_host_device_scalarIT6_EEPKT1_S9_PKS3_PKT3_PKT4_S6_PT5_21rocsparse_index_base_b, .Lfunc_end126-_ZN9rocsparseL21csrmvn_general_kernelILj256ELj64Ell21rocsparse_complex_numIdES2_S2_S2_EEvbT2_NS_24const_host_device_scalarIT6_EEPKT1_S9_PKS3_PKT3_PKT4_S6_PT5_21rocsparse_index_base_b
                                        ; -- End function
	.set _ZN9rocsparseL21csrmvn_general_kernelILj256ELj64Ell21rocsparse_complex_numIdES2_S2_S2_EEvbT2_NS_24const_host_device_scalarIT6_EEPKT1_S9_PKS3_PKT3_PKT4_S6_PT5_21rocsparse_index_base_b.num_vgpr, 40
	.set _ZN9rocsparseL21csrmvn_general_kernelILj256ELj64Ell21rocsparse_complex_numIdES2_S2_S2_EEvbT2_NS_24const_host_device_scalarIT6_EEPKT1_S9_PKS3_PKT3_PKT4_S6_PT5_21rocsparse_index_base_b.num_agpr, 0
	.set _ZN9rocsparseL21csrmvn_general_kernelILj256ELj64Ell21rocsparse_complex_numIdES2_S2_S2_EEvbT2_NS_24const_host_device_scalarIT6_EEPKT1_S9_PKS3_PKT3_PKT4_S6_PT5_21rocsparse_index_base_b.numbered_sgpr, 24
	.set _ZN9rocsparseL21csrmvn_general_kernelILj256ELj64Ell21rocsparse_complex_numIdES2_S2_S2_EEvbT2_NS_24const_host_device_scalarIT6_EEPKT1_S9_PKS3_PKT3_PKT4_S6_PT5_21rocsparse_index_base_b.num_named_barrier, 0
	.set _ZN9rocsparseL21csrmvn_general_kernelILj256ELj64Ell21rocsparse_complex_numIdES2_S2_S2_EEvbT2_NS_24const_host_device_scalarIT6_EEPKT1_S9_PKS3_PKT3_PKT4_S6_PT5_21rocsparse_index_base_b.private_seg_size, 0
	.set _ZN9rocsparseL21csrmvn_general_kernelILj256ELj64Ell21rocsparse_complex_numIdES2_S2_S2_EEvbT2_NS_24const_host_device_scalarIT6_EEPKT1_S9_PKS3_PKT3_PKT4_S6_PT5_21rocsparse_index_base_b.uses_vcc, 1
	.set _ZN9rocsparseL21csrmvn_general_kernelILj256ELj64Ell21rocsparse_complex_numIdES2_S2_S2_EEvbT2_NS_24const_host_device_scalarIT6_EEPKT1_S9_PKS3_PKT3_PKT4_S6_PT5_21rocsparse_index_base_b.uses_flat_scratch, 0
	.set _ZN9rocsparseL21csrmvn_general_kernelILj256ELj64Ell21rocsparse_complex_numIdES2_S2_S2_EEvbT2_NS_24const_host_device_scalarIT6_EEPKT1_S9_PKS3_PKT3_PKT4_S6_PT5_21rocsparse_index_base_b.has_dyn_sized_stack, 0
	.set _ZN9rocsparseL21csrmvn_general_kernelILj256ELj64Ell21rocsparse_complex_numIdES2_S2_S2_EEvbT2_NS_24const_host_device_scalarIT6_EEPKT1_S9_PKS3_PKT3_PKT4_S6_PT5_21rocsparse_index_base_b.has_recursion, 0
	.set _ZN9rocsparseL21csrmvn_general_kernelILj256ELj64Ell21rocsparse_complex_numIdES2_S2_S2_EEvbT2_NS_24const_host_device_scalarIT6_EEPKT1_S9_PKS3_PKT3_PKT4_S6_PT5_21rocsparse_index_base_b.has_indirect_call, 0
	.section	.AMDGPU.csdata,"",@progbits
; Kernel info:
; codeLenInByte = 1300
; TotalNumSgprs: 26
; NumVgprs: 40
; ScratchSize: 0
; MemoryBound: 0
; FloatMode: 240
; IeeeMode: 1
; LDSByteSize: 0 bytes/workgroup (compile time only)
; SGPRBlocks: 0
; VGPRBlocks: 2
; NumSGPRsForWavesPerEU: 26
; NumVGPRsForWavesPerEU: 40
; NamedBarCnt: 0
; Occupancy: 16
; WaveLimiterHint : 1
; COMPUTE_PGM_RSRC2:SCRATCH_EN: 0
; COMPUTE_PGM_RSRC2:USER_SGPR: 2
; COMPUTE_PGM_RSRC2:TRAP_HANDLER: 0
; COMPUTE_PGM_RSRC2:TGID_X_EN: 1
; COMPUTE_PGM_RSRC2:TGID_Y_EN: 0
; COMPUTE_PGM_RSRC2:TGID_Z_EN: 0
; COMPUTE_PGM_RSRC2:TIDIG_COMP_CNT: 0
	.section	.text._ZN9rocsparseL21csrmvt_general_kernelILj256ELj4Ell21rocsparse_complex_numIdES2_S2_S2_EEvbbT2_NS_24const_host_device_scalarIT6_EEPKT1_S9_PKS3_PKT3_PKT4_PT5_21rocsparse_index_base_b,"axG",@progbits,_ZN9rocsparseL21csrmvt_general_kernelILj256ELj4Ell21rocsparse_complex_numIdES2_S2_S2_EEvbbT2_NS_24const_host_device_scalarIT6_EEPKT1_S9_PKS3_PKT3_PKT4_PT5_21rocsparse_index_base_b,comdat
	.globl	_ZN9rocsparseL21csrmvt_general_kernelILj256ELj4Ell21rocsparse_complex_numIdES2_S2_S2_EEvbbT2_NS_24const_host_device_scalarIT6_EEPKT1_S9_PKS3_PKT3_PKT4_PT5_21rocsparse_index_base_b ; -- Begin function _ZN9rocsparseL21csrmvt_general_kernelILj256ELj4Ell21rocsparse_complex_numIdES2_S2_S2_EEvbbT2_NS_24const_host_device_scalarIT6_EEPKT1_S9_PKS3_PKT3_PKT4_PT5_21rocsparse_index_base_b
	.p2align	8
	.type	_ZN9rocsparseL21csrmvt_general_kernelILj256ELj4Ell21rocsparse_complex_numIdES2_S2_S2_EEvbbT2_NS_24const_host_device_scalarIT6_EEPKT1_S9_PKS3_PKT3_PKT4_PT5_21rocsparse_index_base_b,@function
_ZN9rocsparseL21csrmvt_general_kernelILj256ELj4Ell21rocsparse_complex_numIdES2_S2_S2_EEvbbT2_NS_24const_host_device_scalarIT6_EEPKT1_S9_PKS3_PKT3_PKT4_PT5_21rocsparse_index_base_b: ; @_ZN9rocsparseL21csrmvt_general_kernelILj256ELj4Ell21rocsparse_complex_numIdES2_S2_S2_EEvbbT2_NS_24const_host_device_scalarIT6_EEPKT1_S9_PKS3_PKT3_PKT4_PT5_21rocsparse_index_base_b
; %bb.0:
	s_clause 0x1
	s_load_b64 s[20:21], s[0:1], 0x50
	s_load_b128 s[12:15], s[0:1], 0x8
	v_mov_b32_e32 v7, 0
	s_add_nc_u64 s[2:3], s[0:1], 16
	s_wait_kmcnt 0x0
	s_bitcmp1_b32 s21, 0
	s_cselect_b32 s3, s3, s15
	s_cselect_b32 s2, s2, s14
	flat_load_b128 v[2:5], v7, s[2:3]
	s_wait_loadcnt_dscnt 0x0
	v_cmp_neq_f64_e32 vcc_lo, 0, v[2:3]
	v_cmp_neq_f64_e64 s2, 0, v[4:5]
	s_or_b32 s2, vcc_lo, s2
	s_delay_alu instid0(SALU_CYCLE_1)
	s_and_saveexec_b32 s3, s2
	s_cbranch_execz .LBB127_18
; %bb.1:
	s_clause 0x1
	s_load_b32 s2, s[0:1], 0x0
	s_load_b32 s3, s[0:1], 0x58
	s_getreg_b32 s5, hwreg(HW_REG_IB_STS2, 6, 4)
	s_load_b128 s[16:19], s[0:1], 0x40
	s_mov_b32 s15, 0
	s_wait_kmcnt 0x0
	s_and_b32 s21, s2, 1
	s_bitcmp1_b32 s2, 8
	s_cselect_b32 s2, -1, 0
	s_bfe_u32 s4, ttmp6, 0x4000c
	s_lshl_b32 s14, s3, 6
	s_add_co_i32 s4, s4, 1
	s_and_b32 s3, ttmp6, 15
	s_mul_i32 s4, ttmp9, s4
	s_delay_alu instid0(SALU_CYCLE_1)
	s_add_co_i32 s3, s3, s4
	s_cmp_eq_u32 s5, 0
	s_load_b256 s[4:11], s[0:1], 0x20
	s_wait_xcnt 0x0
	s_cselect_b32 s0, ttmp9, s3
	s_cmp_eq_u32 s21, 0
	v_lshl_or_b32 v1, s0, 8, v0
	s_mov_b32 s1, -1
	s_delay_alu instid0(VALU_DEP_1) | instskip(NEXT) | instid1(VALU_DEP_1)
	v_dual_lshrrev_b32 v6, 2, v1 :: v_dual_bitop2_b32 v0, 3, v0 bitop3:0x40
	v_cmp_gt_i64_e64 s0, s[12:13], v[6:7]
	s_cbranch_scc0 .LBB127_9
; %bb.2:
	s_and_saveexec_b32 s1, s0
	s_cbranch_execz .LBB127_8
; %bb.3:
	v_mov_b32_e32 v1, 0
	s_mov_b32 s21, 0
	v_mov_b64_e32 v[10:11], v[6:7]
	s_wait_kmcnt 0x0
	s_add_nc_u64 s[22:23], s[10:11], 8
	s_mov_b32 s3, s21
	v_sub_nc_u64_e64 v[8:9], v[0:1], s[20:21]
	s_branch .LBB127_5
.LBB127_4:                              ;   in Loop: Header=BB127_5 Depth=1
	s_or_b32 exec_lo, exec_lo, s24
	v_add_nc_u64_e32 v[10:11], s[14:15], v[10:11]
	s_delay_alu instid0(VALU_DEP_1) | instskip(SKIP_1) | instid1(SALU_CYCLE_1)
	v_cmp_le_i64_e32 vcc_lo, s[12:13], v[10:11]
	s_or_b32 s3, vcc_lo, s3
	s_and_not1_b32 exec_lo, exec_lo, s3
	s_cbranch_execz .LBB127_8
.LBB127_5:                              ; =>This Loop Header: Depth=1
                                        ;     Child Loop BB127_7 Depth 2
	s_delay_alu instid0(VALU_DEP_2) | instskip(SKIP_1) | instid1(VALU_DEP_1)
	v_lshlrev_b64_e32 v[12:13], 3, v[10:11]
	s_mov_b32 s24, exec_lo
	v_add_nc_u64_e32 v[14:15], s[6:7], v[12:13]
	v_add_nc_u64_e32 v[12:13], s[4:5], v[12:13]
	global_load_b64 v[16:17], v[14:15], off
	global_load_b64 v[18:19], v[12:13], off
	s_wait_loadcnt 0x1
	s_wait_xcnt 0x0
	v_sub_nc_u64_e64 v[12:13], v[16:17], s[20:21]
	s_wait_loadcnt 0x0
	v_add_nc_u64_e32 v[14:15], v[18:19], v[8:9]
	s_delay_alu instid0(VALU_DEP_1)
	v_cmpx_lt_i64_e64 v[14:15], v[12:13]
	s_cbranch_execz .LBB127_4
; %bb.6:                                ;   in Loop: Header=BB127_5 Depth=1
	v_lshl_add_u64 v[16:17], v[10:11], 4, s[16:17]
	s_mov_b32 s25, 0
	global_load_b128 v[20:23], v[16:17], off
	s_wait_loadcnt 0x0
	s_wait_xcnt 0x0
	v_mul_f64_e64 v[16:17], v[22:23], -v[4:5]
	v_mul_f64_e32 v[18:19], v[2:3], v[22:23]
	v_lshl_add_u64 v[22:23], v[14:15], 4, s[22:23]
	s_delay_alu instid0(VALU_DEP_3) | instskip(NEXT) | instid1(VALU_DEP_3)
	v_fmac_f64_e32 v[16:17], v[2:3], v[20:21]
	v_fmac_f64_e32 v[18:19], v[4:5], v[20:21]
	v_lshl_add_u64 v[20:21], v[14:15], 3, s[8:9]
.LBB127_7:                              ;   Parent Loop BB127_5 Depth=1
                                        ; =>  This Inner Loop Header: Depth=2
	global_load_b128 v[24:27], v[22:23], off offset:-8
	global_load_b64 v[28:29], v[20:21], off
	v_add_nc_u64_e32 v[14:15], 4, v[14:15]
	s_wait_xcnt 0x0
	v_add_nc_u64_e32 v[20:21], 32, v[20:21]
	v_add_nc_u64_e32 v[22:23], 64, v[22:23]
	s_delay_alu instid0(VALU_DEP_3) | instskip(SKIP_3) | instid1(VALU_DEP_1)
	v_cmp_ge_i64_e32 vcc_lo, v[14:15], v[12:13]
	s_or_b32 s25, vcc_lo, s25
	s_wait_loadcnt 0x1
	v_xor_b32_e32 v1, 0x80000000, v27
	v_cndmask_b32_e64 v27, v27, v1, s2
	s_delay_alu instid0(VALU_DEP_1) | instskip(SKIP_1) | instid1(VALU_DEP_2)
	v_mul_f64_e64 v[30:31], v[26:27], -v[18:19]
	v_mul_f64_e32 v[26:27], v[16:17], v[26:27]
	v_fmac_f64_e32 v[30:31], v[16:17], v[24:25]
	s_delay_alu instid0(VALU_DEP_2) | instskip(SKIP_2) | instid1(VALU_DEP_1)
	v_fmac_f64_e32 v[26:27], v[18:19], v[24:25]
	s_wait_loadcnt 0x0
	v_sub_nc_u64_e64 v[24:25], v[28:29], s[20:21]
	v_lshl_add_u64 v[24:25], v[24:25], 4, s[18:19]
	global_atomic_add_f64 v[24:25], v[30:31], off scope:SCOPE_DEV
	s_wait_xcnt 0x0
	global_atomic_add_f64 v[24:25], v[26:27], off offset:8 scope:SCOPE_DEV
	s_wait_xcnt 0x0
	s_and_not1_b32 exec_lo, exec_lo, s25
	s_cbranch_execnz .LBB127_7
	s_branch .LBB127_4
.LBB127_8:
	s_or_b32 exec_lo, exec_lo, s1
	s_mov_b32 s1, 0
.LBB127_9:
	s_delay_alu instid0(SALU_CYCLE_1)
	s_and_not1_b32 vcc_lo, exec_lo, s1
	s_cbranch_vccnz .LBB127_18
; %bb.10:
	s_and_b32 exec_lo, exec_lo, s0
	s_cbranch_execz .LBB127_18
; %bb.11:
	v_mov_b32_e32 v1, 0
	s_mov_b32 s21, 0
	s_wait_kmcnt 0x0
	s_add_nc_u64 s[0:1], s[10:11], 8
	s_mov_b32 s3, s21
	v_sub_nc_u64_e64 v[0:1], v[0:1], s[20:21]
	s_branch .LBB127_13
.LBB127_12:                             ;   in Loop: Header=BB127_13 Depth=1
	s_or_b32 exec_lo, exec_lo, s10
	v_add_nc_u64_e32 v[6:7], s[14:15], v[6:7]
	s_delay_alu instid0(VALU_DEP_1) | instskip(SKIP_1) | instid1(SALU_CYCLE_1)
	v_cmp_le_i64_e32 vcc_lo, s[12:13], v[6:7]
	s_or_b32 s3, vcc_lo, s3
	s_and_not1_b32 exec_lo, exec_lo, s3
	s_cbranch_execz .LBB127_18
.LBB127_13:                             ; =>This Loop Header: Depth=1
                                        ;     Child Loop BB127_16 Depth 2
	v_lshlrev_b64_e32 v[8:9], 3, v[6:7]
	s_mov_b32 s10, exec_lo
	s_delay_alu instid0(VALU_DEP_1)
	v_add_nc_u64_e32 v[10:11], s[6:7], v[8:9]
	v_add_nc_u64_e32 v[8:9], s[4:5], v[8:9]
	global_load_b64 v[12:13], v[10:11], off
	global_load_b64 v[14:15], v[8:9], off
	s_wait_loadcnt 0x1
	s_wait_xcnt 0x0
	v_sub_nc_u64_e64 v[8:9], v[12:13], s[20:21]
	s_wait_loadcnt 0x0
	v_add_nc_u64_e32 v[10:11], v[14:15], v[0:1]
	s_delay_alu instid0(VALU_DEP_1)
	v_cmpx_lt_i64_e64 v[10:11], v[8:9]
	s_cbranch_execz .LBB127_12
; %bb.14:                               ;   in Loop: Header=BB127_13 Depth=1
	v_lshl_add_u64 v[12:13], v[6:7], 4, s[16:17]
	s_mov_b32 s11, 0
	global_load_b128 v[16:19], v[12:13], off
	s_wait_loadcnt 0x0
	v_mul_f64_e64 v[12:13], v[18:19], -v[4:5]
	v_mul_f64_e32 v[14:15], v[2:3], v[18:19]
	v_lshl_add_u64 v[18:19], v[10:11], 4, s[0:1]
	s_delay_alu instid0(VALU_DEP_3) | instskip(NEXT) | instid1(VALU_DEP_3)
	v_fmac_f64_e32 v[12:13], v[2:3], v[16:17]
	v_fmac_f64_e32 v[14:15], v[4:5], v[16:17]
	v_lshl_add_u64 v[16:17], v[10:11], 3, s[8:9]
	s_branch .LBB127_16
.LBB127_15:                             ;   in Loop: Header=BB127_16 Depth=2
	s_wait_xcnt 0x0
	s_or_b32 exec_lo, exec_lo, s22
	v_add_nc_u64_e32 v[10:11], 4, v[10:11]
	v_add_nc_u64_e32 v[16:17], 32, v[16:17]
	;; [unrolled: 1-line block ×3, first 2 shown]
	s_delay_alu instid0(VALU_DEP_3) | instskip(SKIP_1) | instid1(SALU_CYCLE_1)
	v_cmp_ge_i64_e32 vcc_lo, v[10:11], v[8:9]
	s_or_b32 s11, vcc_lo, s11
	s_and_not1_b32 exec_lo, exec_lo, s11
	s_cbranch_execz .LBB127_12
.LBB127_16:                             ;   Parent Loop BB127_13 Depth=1
                                        ; =>  This Inner Loop Header: Depth=2
	global_load_b64 v[20:21], v[16:17], off
	s_mov_b32 s22, exec_lo
	s_wait_loadcnt 0x0
	v_sub_nc_u64_e64 v[20:21], v[20:21], s[20:21]
	s_wait_xcnt 0x0
	s_delay_alu instid0(VALU_DEP_1)
	v_cmpx_ne_u64_e64 v[20:21], v[6:7]
	s_cbranch_execz .LBB127_15
; %bb.17:                               ;   in Loop: Header=BB127_16 Depth=2
	global_load_b128 v[22:25], v[18:19], off offset:-8
	v_lshl_add_u64 v[20:21], v[20:21], 4, s[18:19]
	s_wait_loadcnt 0x0
	v_xor_b32_e32 v26, 0x80000000, v25
	s_delay_alu instid0(VALU_DEP_1) | instskip(NEXT) | instid1(VALU_DEP_1)
	v_cndmask_b32_e64 v25, v25, v26, s2
	v_mul_f64_e64 v[26:27], v[24:25], -v[14:15]
	v_mul_f64_e32 v[24:25], v[12:13], v[24:25]
	s_delay_alu instid0(VALU_DEP_2) | instskip(NEXT) | instid1(VALU_DEP_2)
	v_fmac_f64_e32 v[26:27], v[12:13], v[22:23]
	v_fmac_f64_e32 v[24:25], v[14:15], v[22:23]
	s_wait_xcnt 0x0
	global_atomic_add_f64 v[20:21], v[26:27], off scope:SCOPE_DEV
	s_wait_xcnt 0x0
	global_atomic_add_f64 v[20:21], v[24:25], off offset:8 scope:SCOPE_DEV
	s_branch .LBB127_15
.LBB127_18:
	s_endpgm
	.section	.rodata,"a",@progbits
	.p2align	6, 0x0
	.amdhsa_kernel _ZN9rocsparseL21csrmvt_general_kernelILj256ELj4Ell21rocsparse_complex_numIdES2_S2_S2_EEvbbT2_NS_24const_host_device_scalarIT6_EEPKT1_S9_PKS3_PKT3_PKT4_PT5_21rocsparse_index_base_b
		.amdhsa_group_segment_fixed_size 0
		.amdhsa_private_segment_fixed_size 0
		.amdhsa_kernarg_size 344
		.amdhsa_user_sgpr_count 2
		.amdhsa_user_sgpr_dispatch_ptr 0
		.amdhsa_user_sgpr_queue_ptr 0
		.amdhsa_user_sgpr_kernarg_segment_ptr 1
		.amdhsa_user_sgpr_dispatch_id 0
		.amdhsa_user_sgpr_kernarg_preload_length 0
		.amdhsa_user_sgpr_kernarg_preload_offset 0
		.amdhsa_user_sgpr_private_segment_size 0
		.amdhsa_wavefront_size32 1
		.amdhsa_uses_dynamic_stack 0
		.amdhsa_enable_private_segment 0
		.amdhsa_system_sgpr_workgroup_id_x 1
		.amdhsa_system_sgpr_workgroup_id_y 0
		.amdhsa_system_sgpr_workgroup_id_z 0
		.amdhsa_system_sgpr_workgroup_info 0
		.amdhsa_system_vgpr_workitem_id 0
		.amdhsa_next_free_vgpr 32
		.amdhsa_next_free_sgpr 26
		.amdhsa_named_barrier_count 0
		.amdhsa_reserve_vcc 1
		.amdhsa_float_round_mode_32 0
		.amdhsa_float_round_mode_16_64 0
		.amdhsa_float_denorm_mode_32 3
		.amdhsa_float_denorm_mode_16_64 3
		.amdhsa_fp16_overflow 0
		.amdhsa_memory_ordered 1
		.amdhsa_forward_progress 1
		.amdhsa_inst_pref_size 9
		.amdhsa_round_robin_scheduling 0
		.amdhsa_exception_fp_ieee_invalid_op 0
		.amdhsa_exception_fp_denorm_src 0
		.amdhsa_exception_fp_ieee_div_zero 0
		.amdhsa_exception_fp_ieee_overflow 0
		.amdhsa_exception_fp_ieee_underflow 0
		.amdhsa_exception_fp_ieee_inexact 0
		.amdhsa_exception_int_div_zero 0
	.end_amdhsa_kernel
	.section	.text._ZN9rocsparseL21csrmvt_general_kernelILj256ELj4Ell21rocsparse_complex_numIdES2_S2_S2_EEvbbT2_NS_24const_host_device_scalarIT6_EEPKT1_S9_PKS3_PKT3_PKT4_PT5_21rocsparse_index_base_b,"axG",@progbits,_ZN9rocsparseL21csrmvt_general_kernelILj256ELj4Ell21rocsparse_complex_numIdES2_S2_S2_EEvbbT2_NS_24const_host_device_scalarIT6_EEPKT1_S9_PKS3_PKT3_PKT4_PT5_21rocsparse_index_base_b,comdat
.Lfunc_end127:
	.size	_ZN9rocsparseL21csrmvt_general_kernelILj256ELj4Ell21rocsparse_complex_numIdES2_S2_S2_EEvbbT2_NS_24const_host_device_scalarIT6_EEPKT1_S9_PKS3_PKT3_PKT4_PT5_21rocsparse_index_base_b, .Lfunc_end127-_ZN9rocsparseL21csrmvt_general_kernelILj256ELj4Ell21rocsparse_complex_numIdES2_S2_S2_EEvbbT2_NS_24const_host_device_scalarIT6_EEPKT1_S9_PKS3_PKT3_PKT4_PT5_21rocsparse_index_base_b
                                        ; -- End function
	.set _ZN9rocsparseL21csrmvt_general_kernelILj256ELj4Ell21rocsparse_complex_numIdES2_S2_S2_EEvbbT2_NS_24const_host_device_scalarIT6_EEPKT1_S9_PKS3_PKT3_PKT4_PT5_21rocsparse_index_base_b.num_vgpr, 32
	.set _ZN9rocsparseL21csrmvt_general_kernelILj256ELj4Ell21rocsparse_complex_numIdES2_S2_S2_EEvbbT2_NS_24const_host_device_scalarIT6_EEPKT1_S9_PKS3_PKT3_PKT4_PT5_21rocsparse_index_base_b.num_agpr, 0
	.set _ZN9rocsparseL21csrmvt_general_kernelILj256ELj4Ell21rocsparse_complex_numIdES2_S2_S2_EEvbbT2_NS_24const_host_device_scalarIT6_EEPKT1_S9_PKS3_PKT3_PKT4_PT5_21rocsparse_index_base_b.numbered_sgpr, 26
	.set _ZN9rocsparseL21csrmvt_general_kernelILj256ELj4Ell21rocsparse_complex_numIdES2_S2_S2_EEvbbT2_NS_24const_host_device_scalarIT6_EEPKT1_S9_PKS3_PKT3_PKT4_PT5_21rocsparse_index_base_b.num_named_barrier, 0
	.set _ZN9rocsparseL21csrmvt_general_kernelILj256ELj4Ell21rocsparse_complex_numIdES2_S2_S2_EEvbbT2_NS_24const_host_device_scalarIT6_EEPKT1_S9_PKS3_PKT3_PKT4_PT5_21rocsparse_index_base_b.private_seg_size, 0
	.set _ZN9rocsparseL21csrmvt_general_kernelILj256ELj4Ell21rocsparse_complex_numIdES2_S2_S2_EEvbbT2_NS_24const_host_device_scalarIT6_EEPKT1_S9_PKS3_PKT3_PKT4_PT5_21rocsparse_index_base_b.uses_vcc, 1
	.set _ZN9rocsparseL21csrmvt_general_kernelILj256ELj4Ell21rocsparse_complex_numIdES2_S2_S2_EEvbbT2_NS_24const_host_device_scalarIT6_EEPKT1_S9_PKS3_PKT3_PKT4_PT5_21rocsparse_index_base_b.uses_flat_scratch, 0
	.set _ZN9rocsparseL21csrmvt_general_kernelILj256ELj4Ell21rocsparse_complex_numIdES2_S2_S2_EEvbbT2_NS_24const_host_device_scalarIT6_EEPKT1_S9_PKS3_PKT3_PKT4_PT5_21rocsparse_index_base_b.has_dyn_sized_stack, 0
	.set _ZN9rocsparseL21csrmvt_general_kernelILj256ELj4Ell21rocsparse_complex_numIdES2_S2_S2_EEvbbT2_NS_24const_host_device_scalarIT6_EEPKT1_S9_PKS3_PKT3_PKT4_PT5_21rocsparse_index_base_b.has_recursion, 0
	.set _ZN9rocsparseL21csrmvt_general_kernelILj256ELj4Ell21rocsparse_complex_numIdES2_S2_S2_EEvbbT2_NS_24const_host_device_scalarIT6_EEPKT1_S9_PKS3_PKT3_PKT4_PT5_21rocsparse_index_base_b.has_indirect_call, 0
	.section	.AMDGPU.csdata,"",@progbits
; Kernel info:
; codeLenInByte = 1068
; TotalNumSgprs: 28
; NumVgprs: 32
; ScratchSize: 0
; MemoryBound: 0
; FloatMode: 240
; IeeeMode: 1
; LDSByteSize: 0 bytes/workgroup (compile time only)
; SGPRBlocks: 0
; VGPRBlocks: 1
; NumSGPRsForWavesPerEU: 28
; NumVGPRsForWavesPerEU: 32
; NamedBarCnt: 0
; Occupancy: 16
; WaveLimiterHint : 1
; COMPUTE_PGM_RSRC2:SCRATCH_EN: 0
; COMPUTE_PGM_RSRC2:USER_SGPR: 2
; COMPUTE_PGM_RSRC2:TRAP_HANDLER: 0
; COMPUTE_PGM_RSRC2:TGID_X_EN: 1
; COMPUTE_PGM_RSRC2:TGID_Y_EN: 0
; COMPUTE_PGM_RSRC2:TGID_Z_EN: 0
; COMPUTE_PGM_RSRC2:TIDIG_COMP_CNT: 0
	.section	.text._ZN9rocsparseL21csrmvt_general_kernelILj256ELj8Ell21rocsparse_complex_numIdES2_S2_S2_EEvbbT2_NS_24const_host_device_scalarIT6_EEPKT1_S9_PKS3_PKT3_PKT4_PT5_21rocsparse_index_base_b,"axG",@progbits,_ZN9rocsparseL21csrmvt_general_kernelILj256ELj8Ell21rocsparse_complex_numIdES2_S2_S2_EEvbbT2_NS_24const_host_device_scalarIT6_EEPKT1_S9_PKS3_PKT3_PKT4_PT5_21rocsparse_index_base_b,comdat
	.globl	_ZN9rocsparseL21csrmvt_general_kernelILj256ELj8Ell21rocsparse_complex_numIdES2_S2_S2_EEvbbT2_NS_24const_host_device_scalarIT6_EEPKT1_S9_PKS3_PKT3_PKT4_PT5_21rocsparse_index_base_b ; -- Begin function _ZN9rocsparseL21csrmvt_general_kernelILj256ELj8Ell21rocsparse_complex_numIdES2_S2_S2_EEvbbT2_NS_24const_host_device_scalarIT6_EEPKT1_S9_PKS3_PKT3_PKT4_PT5_21rocsparse_index_base_b
	.p2align	8
	.type	_ZN9rocsparseL21csrmvt_general_kernelILj256ELj8Ell21rocsparse_complex_numIdES2_S2_S2_EEvbbT2_NS_24const_host_device_scalarIT6_EEPKT1_S9_PKS3_PKT3_PKT4_PT5_21rocsparse_index_base_b,@function
_ZN9rocsparseL21csrmvt_general_kernelILj256ELj8Ell21rocsparse_complex_numIdES2_S2_S2_EEvbbT2_NS_24const_host_device_scalarIT6_EEPKT1_S9_PKS3_PKT3_PKT4_PT5_21rocsparse_index_base_b: ; @_ZN9rocsparseL21csrmvt_general_kernelILj256ELj8Ell21rocsparse_complex_numIdES2_S2_S2_EEvbbT2_NS_24const_host_device_scalarIT6_EEPKT1_S9_PKS3_PKT3_PKT4_PT5_21rocsparse_index_base_b
; %bb.0:
	s_clause 0x1
	s_load_b64 s[20:21], s[0:1], 0x50
	s_load_b128 s[12:15], s[0:1], 0x8
	v_mov_b32_e32 v7, 0
	s_add_nc_u64 s[2:3], s[0:1], 16
	s_wait_kmcnt 0x0
	s_bitcmp1_b32 s21, 0
	s_cselect_b32 s3, s3, s15
	s_cselect_b32 s2, s2, s14
	flat_load_b128 v[2:5], v7, s[2:3]
	s_wait_loadcnt_dscnt 0x0
	v_cmp_neq_f64_e32 vcc_lo, 0, v[2:3]
	v_cmp_neq_f64_e64 s2, 0, v[4:5]
	s_or_b32 s2, vcc_lo, s2
	s_delay_alu instid0(SALU_CYCLE_1)
	s_and_saveexec_b32 s3, s2
	s_cbranch_execz .LBB128_18
; %bb.1:
	s_clause 0x1
	s_load_b32 s2, s[0:1], 0x0
	s_load_b32 s3, s[0:1], 0x58
	s_getreg_b32 s5, hwreg(HW_REG_IB_STS2, 6, 4)
	s_load_b128 s[16:19], s[0:1], 0x40
	s_mov_b32 s15, 0
	s_wait_kmcnt 0x0
	s_and_b32 s21, s2, 1
	s_bitcmp1_b32 s2, 8
	s_cselect_b32 s2, -1, 0
	s_bfe_u32 s4, ttmp6, 0x4000c
	s_lshl_b32 s14, s3, 5
	s_add_co_i32 s4, s4, 1
	s_and_b32 s3, ttmp6, 15
	s_mul_i32 s4, ttmp9, s4
	s_delay_alu instid0(SALU_CYCLE_1)
	s_add_co_i32 s3, s3, s4
	s_cmp_eq_u32 s5, 0
	s_load_b256 s[4:11], s[0:1], 0x20
	s_wait_xcnt 0x0
	s_cselect_b32 s0, ttmp9, s3
	s_cmp_eq_u32 s21, 0
	v_lshl_or_b32 v1, s0, 8, v0
	s_mov_b32 s1, -1
	s_delay_alu instid0(VALU_DEP_1) | instskip(NEXT) | instid1(VALU_DEP_1)
	v_dual_lshrrev_b32 v6, 3, v1 :: v_dual_bitop2_b32 v0, 7, v0 bitop3:0x40
	v_cmp_gt_i64_e64 s0, s[12:13], v[6:7]
	s_cbranch_scc0 .LBB128_9
; %bb.2:
	s_and_saveexec_b32 s1, s0
	s_cbranch_execz .LBB128_8
; %bb.3:
	v_mov_b32_e32 v1, 0
	s_mov_b32 s21, 0
	v_mov_b64_e32 v[10:11], v[6:7]
	s_wait_kmcnt 0x0
	s_add_nc_u64 s[22:23], s[10:11], 8
	s_mov_b32 s3, s21
	v_sub_nc_u64_e64 v[8:9], v[0:1], s[20:21]
	s_branch .LBB128_5
.LBB128_4:                              ;   in Loop: Header=BB128_5 Depth=1
	s_or_b32 exec_lo, exec_lo, s24
	v_add_nc_u64_e32 v[10:11], s[14:15], v[10:11]
	s_delay_alu instid0(VALU_DEP_1) | instskip(SKIP_1) | instid1(SALU_CYCLE_1)
	v_cmp_le_i64_e32 vcc_lo, s[12:13], v[10:11]
	s_or_b32 s3, vcc_lo, s3
	s_and_not1_b32 exec_lo, exec_lo, s3
	s_cbranch_execz .LBB128_8
.LBB128_5:                              ; =>This Loop Header: Depth=1
                                        ;     Child Loop BB128_7 Depth 2
	s_delay_alu instid0(VALU_DEP_2) | instskip(SKIP_1) | instid1(VALU_DEP_1)
	v_lshlrev_b64_e32 v[12:13], 3, v[10:11]
	s_mov_b32 s24, exec_lo
	v_add_nc_u64_e32 v[14:15], s[6:7], v[12:13]
	v_add_nc_u64_e32 v[12:13], s[4:5], v[12:13]
	global_load_b64 v[16:17], v[14:15], off
	global_load_b64 v[18:19], v[12:13], off
	s_wait_loadcnt 0x1
	s_wait_xcnt 0x0
	v_sub_nc_u64_e64 v[12:13], v[16:17], s[20:21]
	s_wait_loadcnt 0x0
	v_add_nc_u64_e32 v[14:15], v[18:19], v[8:9]
	s_delay_alu instid0(VALU_DEP_1)
	v_cmpx_lt_i64_e64 v[14:15], v[12:13]
	s_cbranch_execz .LBB128_4
; %bb.6:                                ;   in Loop: Header=BB128_5 Depth=1
	v_lshl_add_u64 v[16:17], v[10:11], 4, s[16:17]
	s_mov_b32 s25, 0
	global_load_b128 v[20:23], v[16:17], off
	s_wait_loadcnt 0x0
	s_wait_xcnt 0x0
	v_mul_f64_e64 v[16:17], v[22:23], -v[4:5]
	v_mul_f64_e32 v[18:19], v[2:3], v[22:23]
	v_lshl_add_u64 v[22:23], v[14:15], 4, s[22:23]
	s_delay_alu instid0(VALU_DEP_3) | instskip(NEXT) | instid1(VALU_DEP_3)
	v_fmac_f64_e32 v[16:17], v[2:3], v[20:21]
	v_fmac_f64_e32 v[18:19], v[4:5], v[20:21]
	v_lshl_add_u64 v[20:21], v[14:15], 3, s[8:9]
.LBB128_7:                              ;   Parent Loop BB128_5 Depth=1
                                        ; =>  This Inner Loop Header: Depth=2
	global_load_b128 v[24:27], v[22:23], off offset:-8
	global_load_b64 v[28:29], v[20:21], off
	v_add_nc_u64_e32 v[14:15], 8, v[14:15]
	s_wait_xcnt 0x0
	v_add_nc_u64_e32 v[20:21], 64, v[20:21]
	v_add_nc_u64_e32 v[22:23], 0x80, v[22:23]
	s_delay_alu instid0(VALU_DEP_3) | instskip(SKIP_3) | instid1(VALU_DEP_1)
	v_cmp_ge_i64_e32 vcc_lo, v[14:15], v[12:13]
	s_or_b32 s25, vcc_lo, s25
	s_wait_loadcnt 0x1
	v_xor_b32_e32 v1, 0x80000000, v27
	v_cndmask_b32_e64 v27, v27, v1, s2
	s_delay_alu instid0(VALU_DEP_1) | instskip(SKIP_1) | instid1(VALU_DEP_2)
	v_mul_f64_e64 v[30:31], v[26:27], -v[18:19]
	v_mul_f64_e32 v[26:27], v[16:17], v[26:27]
	v_fmac_f64_e32 v[30:31], v[16:17], v[24:25]
	s_delay_alu instid0(VALU_DEP_2) | instskip(SKIP_2) | instid1(VALU_DEP_1)
	v_fmac_f64_e32 v[26:27], v[18:19], v[24:25]
	s_wait_loadcnt 0x0
	v_sub_nc_u64_e64 v[24:25], v[28:29], s[20:21]
	v_lshl_add_u64 v[24:25], v[24:25], 4, s[18:19]
	global_atomic_add_f64 v[24:25], v[30:31], off scope:SCOPE_DEV
	s_wait_xcnt 0x0
	global_atomic_add_f64 v[24:25], v[26:27], off offset:8 scope:SCOPE_DEV
	s_wait_xcnt 0x0
	s_and_not1_b32 exec_lo, exec_lo, s25
	s_cbranch_execnz .LBB128_7
	s_branch .LBB128_4
.LBB128_8:
	s_or_b32 exec_lo, exec_lo, s1
	s_mov_b32 s1, 0
.LBB128_9:
	s_delay_alu instid0(SALU_CYCLE_1)
	s_and_not1_b32 vcc_lo, exec_lo, s1
	s_cbranch_vccnz .LBB128_18
; %bb.10:
	s_and_b32 exec_lo, exec_lo, s0
	s_cbranch_execz .LBB128_18
; %bb.11:
	v_mov_b32_e32 v1, 0
	s_mov_b32 s21, 0
	s_wait_kmcnt 0x0
	s_add_nc_u64 s[0:1], s[10:11], 8
	s_mov_b32 s3, s21
	v_sub_nc_u64_e64 v[0:1], v[0:1], s[20:21]
	s_branch .LBB128_13
.LBB128_12:                             ;   in Loop: Header=BB128_13 Depth=1
	s_or_b32 exec_lo, exec_lo, s10
	v_add_nc_u64_e32 v[6:7], s[14:15], v[6:7]
	s_delay_alu instid0(VALU_DEP_1) | instskip(SKIP_1) | instid1(SALU_CYCLE_1)
	v_cmp_le_i64_e32 vcc_lo, s[12:13], v[6:7]
	s_or_b32 s3, vcc_lo, s3
	s_and_not1_b32 exec_lo, exec_lo, s3
	s_cbranch_execz .LBB128_18
.LBB128_13:                             ; =>This Loop Header: Depth=1
                                        ;     Child Loop BB128_16 Depth 2
	v_lshlrev_b64_e32 v[8:9], 3, v[6:7]
	s_mov_b32 s10, exec_lo
	s_delay_alu instid0(VALU_DEP_1)
	v_add_nc_u64_e32 v[10:11], s[6:7], v[8:9]
	v_add_nc_u64_e32 v[8:9], s[4:5], v[8:9]
	global_load_b64 v[12:13], v[10:11], off
	global_load_b64 v[14:15], v[8:9], off
	s_wait_loadcnt 0x1
	s_wait_xcnt 0x0
	v_sub_nc_u64_e64 v[8:9], v[12:13], s[20:21]
	s_wait_loadcnt 0x0
	v_add_nc_u64_e32 v[10:11], v[14:15], v[0:1]
	s_delay_alu instid0(VALU_DEP_1)
	v_cmpx_lt_i64_e64 v[10:11], v[8:9]
	s_cbranch_execz .LBB128_12
; %bb.14:                               ;   in Loop: Header=BB128_13 Depth=1
	v_lshl_add_u64 v[12:13], v[6:7], 4, s[16:17]
	s_mov_b32 s11, 0
	global_load_b128 v[16:19], v[12:13], off
	s_wait_loadcnt 0x0
	v_mul_f64_e64 v[12:13], v[18:19], -v[4:5]
	v_mul_f64_e32 v[14:15], v[2:3], v[18:19]
	v_lshl_add_u64 v[18:19], v[10:11], 4, s[0:1]
	s_delay_alu instid0(VALU_DEP_3) | instskip(NEXT) | instid1(VALU_DEP_3)
	v_fmac_f64_e32 v[12:13], v[2:3], v[16:17]
	v_fmac_f64_e32 v[14:15], v[4:5], v[16:17]
	v_lshl_add_u64 v[16:17], v[10:11], 3, s[8:9]
	s_branch .LBB128_16
.LBB128_15:                             ;   in Loop: Header=BB128_16 Depth=2
	s_wait_xcnt 0x0
	s_or_b32 exec_lo, exec_lo, s22
	v_add_nc_u64_e32 v[10:11], 8, v[10:11]
	v_add_nc_u64_e32 v[16:17], 64, v[16:17]
	;; [unrolled: 1-line block ×3, first 2 shown]
	s_delay_alu instid0(VALU_DEP_3) | instskip(SKIP_1) | instid1(SALU_CYCLE_1)
	v_cmp_ge_i64_e32 vcc_lo, v[10:11], v[8:9]
	s_or_b32 s11, vcc_lo, s11
	s_and_not1_b32 exec_lo, exec_lo, s11
	s_cbranch_execz .LBB128_12
.LBB128_16:                             ;   Parent Loop BB128_13 Depth=1
                                        ; =>  This Inner Loop Header: Depth=2
	global_load_b64 v[20:21], v[16:17], off
	s_mov_b32 s22, exec_lo
	s_wait_loadcnt 0x0
	v_sub_nc_u64_e64 v[20:21], v[20:21], s[20:21]
	s_wait_xcnt 0x0
	s_delay_alu instid0(VALU_DEP_1)
	v_cmpx_ne_u64_e64 v[20:21], v[6:7]
	s_cbranch_execz .LBB128_15
; %bb.17:                               ;   in Loop: Header=BB128_16 Depth=2
	global_load_b128 v[22:25], v[18:19], off offset:-8
	v_lshl_add_u64 v[20:21], v[20:21], 4, s[18:19]
	s_wait_loadcnt 0x0
	v_xor_b32_e32 v26, 0x80000000, v25
	s_delay_alu instid0(VALU_DEP_1) | instskip(NEXT) | instid1(VALU_DEP_1)
	v_cndmask_b32_e64 v25, v25, v26, s2
	v_mul_f64_e64 v[26:27], v[24:25], -v[14:15]
	v_mul_f64_e32 v[24:25], v[12:13], v[24:25]
	s_delay_alu instid0(VALU_DEP_2) | instskip(NEXT) | instid1(VALU_DEP_2)
	v_fmac_f64_e32 v[26:27], v[12:13], v[22:23]
	v_fmac_f64_e32 v[24:25], v[14:15], v[22:23]
	s_wait_xcnt 0x0
	global_atomic_add_f64 v[20:21], v[26:27], off scope:SCOPE_DEV
	s_wait_xcnt 0x0
	global_atomic_add_f64 v[20:21], v[24:25], off offset:8 scope:SCOPE_DEV
	s_branch .LBB128_15
.LBB128_18:
	s_endpgm
	.section	.rodata,"a",@progbits
	.p2align	6, 0x0
	.amdhsa_kernel _ZN9rocsparseL21csrmvt_general_kernelILj256ELj8Ell21rocsparse_complex_numIdES2_S2_S2_EEvbbT2_NS_24const_host_device_scalarIT6_EEPKT1_S9_PKS3_PKT3_PKT4_PT5_21rocsparse_index_base_b
		.amdhsa_group_segment_fixed_size 0
		.amdhsa_private_segment_fixed_size 0
		.amdhsa_kernarg_size 344
		.amdhsa_user_sgpr_count 2
		.amdhsa_user_sgpr_dispatch_ptr 0
		.amdhsa_user_sgpr_queue_ptr 0
		.amdhsa_user_sgpr_kernarg_segment_ptr 1
		.amdhsa_user_sgpr_dispatch_id 0
		.amdhsa_user_sgpr_kernarg_preload_length 0
		.amdhsa_user_sgpr_kernarg_preload_offset 0
		.amdhsa_user_sgpr_private_segment_size 0
		.amdhsa_wavefront_size32 1
		.amdhsa_uses_dynamic_stack 0
		.amdhsa_enable_private_segment 0
		.amdhsa_system_sgpr_workgroup_id_x 1
		.amdhsa_system_sgpr_workgroup_id_y 0
		.amdhsa_system_sgpr_workgroup_id_z 0
		.amdhsa_system_sgpr_workgroup_info 0
		.amdhsa_system_vgpr_workitem_id 0
		.amdhsa_next_free_vgpr 32
		.amdhsa_next_free_sgpr 26
		.amdhsa_named_barrier_count 0
		.amdhsa_reserve_vcc 1
		.amdhsa_float_round_mode_32 0
		.amdhsa_float_round_mode_16_64 0
		.amdhsa_float_denorm_mode_32 3
		.amdhsa_float_denorm_mode_16_64 3
		.amdhsa_fp16_overflow 0
		.amdhsa_memory_ordered 1
		.amdhsa_forward_progress 1
		.amdhsa_inst_pref_size 9
		.amdhsa_round_robin_scheduling 0
		.amdhsa_exception_fp_ieee_invalid_op 0
		.amdhsa_exception_fp_denorm_src 0
		.amdhsa_exception_fp_ieee_div_zero 0
		.amdhsa_exception_fp_ieee_overflow 0
		.amdhsa_exception_fp_ieee_underflow 0
		.amdhsa_exception_fp_ieee_inexact 0
		.amdhsa_exception_int_div_zero 0
	.end_amdhsa_kernel
	.section	.text._ZN9rocsparseL21csrmvt_general_kernelILj256ELj8Ell21rocsparse_complex_numIdES2_S2_S2_EEvbbT2_NS_24const_host_device_scalarIT6_EEPKT1_S9_PKS3_PKT3_PKT4_PT5_21rocsparse_index_base_b,"axG",@progbits,_ZN9rocsparseL21csrmvt_general_kernelILj256ELj8Ell21rocsparse_complex_numIdES2_S2_S2_EEvbbT2_NS_24const_host_device_scalarIT6_EEPKT1_S9_PKS3_PKT3_PKT4_PT5_21rocsparse_index_base_b,comdat
.Lfunc_end128:
	.size	_ZN9rocsparseL21csrmvt_general_kernelILj256ELj8Ell21rocsparse_complex_numIdES2_S2_S2_EEvbbT2_NS_24const_host_device_scalarIT6_EEPKT1_S9_PKS3_PKT3_PKT4_PT5_21rocsparse_index_base_b, .Lfunc_end128-_ZN9rocsparseL21csrmvt_general_kernelILj256ELj8Ell21rocsparse_complex_numIdES2_S2_S2_EEvbbT2_NS_24const_host_device_scalarIT6_EEPKT1_S9_PKS3_PKT3_PKT4_PT5_21rocsparse_index_base_b
                                        ; -- End function
	.set _ZN9rocsparseL21csrmvt_general_kernelILj256ELj8Ell21rocsparse_complex_numIdES2_S2_S2_EEvbbT2_NS_24const_host_device_scalarIT6_EEPKT1_S9_PKS3_PKT3_PKT4_PT5_21rocsparse_index_base_b.num_vgpr, 32
	.set _ZN9rocsparseL21csrmvt_general_kernelILj256ELj8Ell21rocsparse_complex_numIdES2_S2_S2_EEvbbT2_NS_24const_host_device_scalarIT6_EEPKT1_S9_PKS3_PKT3_PKT4_PT5_21rocsparse_index_base_b.num_agpr, 0
	.set _ZN9rocsparseL21csrmvt_general_kernelILj256ELj8Ell21rocsparse_complex_numIdES2_S2_S2_EEvbbT2_NS_24const_host_device_scalarIT6_EEPKT1_S9_PKS3_PKT3_PKT4_PT5_21rocsparse_index_base_b.numbered_sgpr, 26
	.set _ZN9rocsparseL21csrmvt_general_kernelILj256ELj8Ell21rocsparse_complex_numIdES2_S2_S2_EEvbbT2_NS_24const_host_device_scalarIT6_EEPKT1_S9_PKS3_PKT3_PKT4_PT5_21rocsparse_index_base_b.num_named_barrier, 0
	.set _ZN9rocsparseL21csrmvt_general_kernelILj256ELj8Ell21rocsparse_complex_numIdES2_S2_S2_EEvbbT2_NS_24const_host_device_scalarIT6_EEPKT1_S9_PKS3_PKT3_PKT4_PT5_21rocsparse_index_base_b.private_seg_size, 0
	.set _ZN9rocsparseL21csrmvt_general_kernelILj256ELj8Ell21rocsparse_complex_numIdES2_S2_S2_EEvbbT2_NS_24const_host_device_scalarIT6_EEPKT1_S9_PKS3_PKT3_PKT4_PT5_21rocsparse_index_base_b.uses_vcc, 1
	.set _ZN9rocsparseL21csrmvt_general_kernelILj256ELj8Ell21rocsparse_complex_numIdES2_S2_S2_EEvbbT2_NS_24const_host_device_scalarIT6_EEPKT1_S9_PKS3_PKT3_PKT4_PT5_21rocsparse_index_base_b.uses_flat_scratch, 0
	.set _ZN9rocsparseL21csrmvt_general_kernelILj256ELj8Ell21rocsparse_complex_numIdES2_S2_S2_EEvbbT2_NS_24const_host_device_scalarIT6_EEPKT1_S9_PKS3_PKT3_PKT4_PT5_21rocsparse_index_base_b.has_dyn_sized_stack, 0
	.set _ZN9rocsparseL21csrmvt_general_kernelILj256ELj8Ell21rocsparse_complex_numIdES2_S2_S2_EEvbbT2_NS_24const_host_device_scalarIT6_EEPKT1_S9_PKS3_PKT3_PKT4_PT5_21rocsparse_index_base_b.has_recursion, 0
	.set _ZN9rocsparseL21csrmvt_general_kernelILj256ELj8Ell21rocsparse_complex_numIdES2_S2_S2_EEvbbT2_NS_24const_host_device_scalarIT6_EEPKT1_S9_PKS3_PKT3_PKT4_PT5_21rocsparse_index_base_b.has_indirect_call, 0
	.section	.AMDGPU.csdata,"",@progbits
; Kernel info:
; codeLenInByte = 1076
; TotalNumSgprs: 28
; NumVgprs: 32
; ScratchSize: 0
; MemoryBound: 0
; FloatMode: 240
; IeeeMode: 1
; LDSByteSize: 0 bytes/workgroup (compile time only)
; SGPRBlocks: 0
; VGPRBlocks: 1
; NumSGPRsForWavesPerEU: 28
; NumVGPRsForWavesPerEU: 32
; NamedBarCnt: 0
; Occupancy: 16
; WaveLimiterHint : 1
; COMPUTE_PGM_RSRC2:SCRATCH_EN: 0
; COMPUTE_PGM_RSRC2:USER_SGPR: 2
; COMPUTE_PGM_RSRC2:TRAP_HANDLER: 0
; COMPUTE_PGM_RSRC2:TGID_X_EN: 1
; COMPUTE_PGM_RSRC2:TGID_Y_EN: 0
; COMPUTE_PGM_RSRC2:TGID_Z_EN: 0
; COMPUTE_PGM_RSRC2:TIDIG_COMP_CNT: 0
	.section	.text._ZN9rocsparseL21csrmvt_general_kernelILj256ELj16Ell21rocsparse_complex_numIdES2_S2_S2_EEvbbT2_NS_24const_host_device_scalarIT6_EEPKT1_S9_PKS3_PKT3_PKT4_PT5_21rocsparse_index_base_b,"axG",@progbits,_ZN9rocsparseL21csrmvt_general_kernelILj256ELj16Ell21rocsparse_complex_numIdES2_S2_S2_EEvbbT2_NS_24const_host_device_scalarIT6_EEPKT1_S9_PKS3_PKT3_PKT4_PT5_21rocsparse_index_base_b,comdat
	.globl	_ZN9rocsparseL21csrmvt_general_kernelILj256ELj16Ell21rocsparse_complex_numIdES2_S2_S2_EEvbbT2_NS_24const_host_device_scalarIT6_EEPKT1_S9_PKS3_PKT3_PKT4_PT5_21rocsparse_index_base_b ; -- Begin function _ZN9rocsparseL21csrmvt_general_kernelILj256ELj16Ell21rocsparse_complex_numIdES2_S2_S2_EEvbbT2_NS_24const_host_device_scalarIT6_EEPKT1_S9_PKS3_PKT3_PKT4_PT5_21rocsparse_index_base_b
	.p2align	8
	.type	_ZN9rocsparseL21csrmvt_general_kernelILj256ELj16Ell21rocsparse_complex_numIdES2_S2_S2_EEvbbT2_NS_24const_host_device_scalarIT6_EEPKT1_S9_PKS3_PKT3_PKT4_PT5_21rocsparse_index_base_b,@function
_ZN9rocsparseL21csrmvt_general_kernelILj256ELj16Ell21rocsparse_complex_numIdES2_S2_S2_EEvbbT2_NS_24const_host_device_scalarIT6_EEPKT1_S9_PKS3_PKT3_PKT4_PT5_21rocsparse_index_base_b: ; @_ZN9rocsparseL21csrmvt_general_kernelILj256ELj16Ell21rocsparse_complex_numIdES2_S2_S2_EEvbbT2_NS_24const_host_device_scalarIT6_EEPKT1_S9_PKS3_PKT3_PKT4_PT5_21rocsparse_index_base_b
; %bb.0:
	s_clause 0x1
	s_load_b64 s[20:21], s[0:1], 0x50
	s_load_b128 s[12:15], s[0:1], 0x8
	v_mov_b32_e32 v7, 0
	s_add_nc_u64 s[2:3], s[0:1], 16
	s_wait_kmcnt 0x0
	s_bitcmp1_b32 s21, 0
	s_cselect_b32 s3, s3, s15
	s_cselect_b32 s2, s2, s14
	flat_load_b128 v[2:5], v7, s[2:3]
	s_wait_loadcnt_dscnt 0x0
	v_cmp_neq_f64_e32 vcc_lo, 0, v[2:3]
	v_cmp_neq_f64_e64 s2, 0, v[4:5]
	s_or_b32 s2, vcc_lo, s2
	s_delay_alu instid0(SALU_CYCLE_1)
	s_and_saveexec_b32 s3, s2
	s_cbranch_execz .LBB129_18
; %bb.1:
	s_clause 0x1
	s_load_b32 s2, s[0:1], 0x0
	s_load_b32 s3, s[0:1], 0x58
	s_getreg_b32 s5, hwreg(HW_REG_IB_STS2, 6, 4)
	s_load_b128 s[16:19], s[0:1], 0x40
	s_mov_b32 s15, 0
	s_wait_kmcnt 0x0
	s_and_b32 s21, s2, 1
	s_bitcmp1_b32 s2, 8
	s_cselect_b32 s2, -1, 0
	s_bfe_u32 s4, ttmp6, 0x4000c
	s_lshl_b32 s14, s3, 4
	s_add_co_i32 s4, s4, 1
	s_and_b32 s3, ttmp6, 15
	s_mul_i32 s4, ttmp9, s4
	s_delay_alu instid0(SALU_CYCLE_1)
	s_add_co_i32 s3, s3, s4
	s_cmp_eq_u32 s5, 0
	s_load_b256 s[4:11], s[0:1], 0x20
	s_wait_xcnt 0x0
	s_cselect_b32 s0, ttmp9, s3
	s_cmp_eq_u32 s21, 0
	v_lshl_or_b32 v1, s0, 8, v0
	s_mov_b32 s1, -1
	s_delay_alu instid0(VALU_DEP_1) | instskip(NEXT) | instid1(VALU_DEP_1)
	v_dual_lshrrev_b32 v6, 4, v1 :: v_dual_bitop2_b32 v0, 15, v0 bitop3:0x40
	v_cmp_gt_i64_e64 s0, s[12:13], v[6:7]
	s_cbranch_scc0 .LBB129_9
; %bb.2:
	s_and_saveexec_b32 s1, s0
	s_cbranch_execz .LBB129_8
; %bb.3:
	v_mov_b32_e32 v1, 0
	s_mov_b32 s21, 0
	v_mov_b64_e32 v[10:11], v[6:7]
	s_wait_kmcnt 0x0
	s_add_nc_u64 s[22:23], s[10:11], 8
	s_mov_b32 s3, s21
	v_sub_nc_u64_e64 v[8:9], v[0:1], s[20:21]
	s_branch .LBB129_5
.LBB129_4:                              ;   in Loop: Header=BB129_5 Depth=1
	s_or_b32 exec_lo, exec_lo, s24
	v_add_nc_u64_e32 v[10:11], s[14:15], v[10:11]
	s_delay_alu instid0(VALU_DEP_1) | instskip(SKIP_1) | instid1(SALU_CYCLE_1)
	v_cmp_le_i64_e32 vcc_lo, s[12:13], v[10:11]
	s_or_b32 s3, vcc_lo, s3
	s_and_not1_b32 exec_lo, exec_lo, s3
	s_cbranch_execz .LBB129_8
.LBB129_5:                              ; =>This Loop Header: Depth=1
                                        ;     Child Loop BB129_7 Depth 2
	s_delay_alu instid0(VALU_DEP_2) | instskip(SKIP_1) | instid1(VALU_DEP_1)
	v_lshlrev_b64_e32 v[12:13], 3, v[10:11]
	s_mov_b32 s24, exec_lo
	v_add_nc_u64_e32 v[14:15], s[6:7], v[12:13]
	v_add_nc_u64_e32 v[12:13], s[4:5], v[12:13]
	global_load_b64 v[16:17], v[14:15], off
	global_load_b64 v[18:19], v[12:13], off
	s_wait_loadcnt 0x1
	s_wait_xcnt 0x0
	v_sub_nc_u64_e64 v[12:13], v[16:17], s[20:21]
	s_wait_loadcnt 0x0
	v_add_nc_u64_e32 v[14:15], v[18:19], v[8:9]
	s_delay_alu instid0(VALU_DEP_1)
	v_cmpx_lt_i64_e64 v[14:15], v[12:13]
	s_cbranch_execz .LBB129_4
; %bb.6:                                ;   in Loop: Header=BB129_5 Depth=1
	v_lshl_add_u64 v[16:17], v[10:11], 4, s[16:17]
	s_mov_b32 s25, 0
	global_load_b128 v[20:23], v[16:17], off
	s_wait_loadcnt 0x0
	s_wait_xcnt 0x0
	v_mul_f64_e64 v[16:17], v[22:23], -v[4:5]
	v_mul_f64_e32 v[18:19], v[2:3], v[22:23]
	v_lshl_add_u64 v[22:23], v[14:15], 4, s[22:23]
	s_delay_alu instid0(VALU_DEP_3) | instskip(NEXT) | instid1(VALU_DEP_3)
	v_fmac_f64_e32 v[16:17], v[2:3], v[20:21]
	v_fmac_f64_e32 v[18:19], v[4:5], v[20:21]
	v_lshl_add_u64 v[20:21], v[14:15], 3, s[8:9]
.LBB129_7:                              ;   Parent Loop BB129_5 Depth=1
                                        ; =>  This Inner Loop Header: Depth=2
	global_load_b128 v[24:27], v[22:23], off offset:-8
	global_load_b64 v[28:29], v[20:21], off
	v_add_nc_u64_e32 v[14:15], 16, v[14:15]
	s_wait_xcnt 0x0
	v_add_nc_u64_e32 v[20:21], 0x80, v[20:21]
	v_add_nc_u64_e32 v[22:23], 0x100, v[22:23]
	s_delay_alu instid0(VALU_DEP_3) | instskip(SKIP_3) | instid1(VALU_DEP_1)
	v_cmp_ge_i64_e32 vcc_lo, v[14:15], v[12:13]
	s_or_b32 s25, vcc_lo, s25
	s_wait_loadcnt 0x1
	v_xor_b32_e32 v1, 0x80000000, v27
	v_cndmask_b32_e64 v27, v27, v1, s2
	s_delay_alu instid0(VALU_DEP_1) | instskip(SKIP_1) | instid1(VALU_DEP_2)
	v_mul_f64_e64 v[30:31], v[26:27], -v[18:19]
	v_mul_f64_e32 v[26:27], v[16:17], v[26:27]
	v_fmac_f64_e32 v[30:31], v[16:17], v[24:25]
	s_delay_alu instid0(VALU_DEP_2) | instskip(SKIP_2) | instid1(VALU_DEP_1)
	v_fmac_f64_e32 v[26:27], v[18:19], v[24:25]
	s_wait_loadcnt 0x0
	v_sub_nc_u64_e64 v[24:25], v[28:29], s[20:21]
	v_lshl_add_u64 v[24:25], v[24:25], 4, s[18:19]
	global_atomic_add_f64 v[24:25], v[30:31], off scope:SCOPE_DEV
	s_wait_xcnt 0x0
	global_atomic_add_f64 v[24:25], v[26:27], off offset:8 scope:SCOPE_DEV
	s_wait_xcnt 0x0
	s_and_not1_b32 exec_lo, exec_lo, s25
	s_cbranch_execnz .LBB129_7
	s_branch .LBB129_4
.LBB129_8:
	s_or_b32 exec_lo, exec_lo, s1
	s_mov_b32 s1, 0
.LBB129_9:
	s_delay_alu instid0(SALU_CYCLE_1)
	s_and_not1_b32 vcc_lo, exec_lo, s1
	s_cbranch_vccnz .LBB129_18
; %bb.10:
	s_and_b32 exec_lo, exec_lo, s0
	s_cbranch_execz .LBB129_18
; %bb.11:
	v_mov_b32_e32 v1, 0
	s_mov_b32 s21, 0
	s_wait_kmcnt 0x0
	s_add_nc_u64 s[0:1], s[10:11], 8
	s_mov_b32 s3, s21
	v_sub_nc_u64_e64 v[0:1], v[0:1], s[20:21]
	s_branch .LBB129_13
.LBB129_12:                             ;   in Loop: Header=BB129_13 Depth=1
	s_or_b32 exec_lo, exec_lo, s10
	v_add_nc_u64_e32 v[6:7], s[14:15], v[6:7]
	s_delay_alu instid0(VALU_DEP_1) | instskip(SKIP_1) | instid1(SALU_CYCLE_1)
	v_cmp_le_i64_e32 vcc_lo, s[12:13], v[6:7]
	s_or_b32 s3, vcc_lo, s3
	s_and_not1_b32 exec_lo, exec_lo, s3
	s_cbranch_execz .LBB129_18
.LBB129_13:                             ; =>This Loop Header: Depth=1
                                        ;     Child Loop BB129_16 Depth 2
	v_lshlrev_b64_e32 v[8:9], 3, v[6:7]
	s_mov_b32 s10, exec_lo
	s_delay_alu instid0(VALU_DEP_1)
	v_add_nc_u64_e32 v[10:11], s[6:7], v[8:9]
	v_add_nc_u64_e32 v[8:9], s[4:5], v[8:9]
	global_load_b64 v[12:13], v[10:11], off
	global_load_b64 v[14:15], v[8:9], off
	s_wait_loadcnt 0x1
	s_wait_xcnt 0x0
	v_sub_nc_u64_e64 v[8:9], v[12:13], s[20:21]
	s_wait_loadcnt 0x0
	v_add_nc_u64_e32 v[10:11], v[14:15], v[0:1]
	s_delay_alu instid0(VALU_DEP_1)
	v_cmpx_lt_i64_e64 v[10:11], v[8:9]
	s_cbranch_execz .LBB129_12
; %bb.14:                               ;   in Loop: Header=BB129_13 Depth=1
	v_lshl_add_u64 v[12:13], v[6:7], 4, s[16:17]
	s_mov_b32 s11, 0
	global_load_b128 v[16:19], v[12:13], off
	s_wait_loadcnt 0x0
	v_mul_f64_e64 v[12:13], v[18:19], -v[4:5]
	v_mul_f64_e32 v[14:15], v[2:3], v[18:19]
	v_lshl_add_u64 v[18:19], v[10:11], 4, s[0:1]
	s_delay_alu instid0(VALU_DEP_3) | instskip(NEXT) | instid1(VALU_DEP_3)
	v_fmac_f64_e32 v[12:13], v[2:3], v[16:17]
	v_fmac_f64_e32 v[14:15], v[4:5], v[16:17]
	v_lshl_add_u64 v[16:17], v[10:11], 3, s[8:9]
	s_branch .LBB129_16
.LBB129_15:                             ;   in Loop: Header=BB129_16 Depth=2
	s_wait_xcnt 0x0
	s_or_b32 exec_lo, exec_lo, s22
	v_add_nc_u64_e32 v[10:11], 16, v[10:11]
	v_add_nc_u64_e32 v[16:17], 0x80, v[16:17]
	;; [unrolled: 1-line block ×3, first 2 shown]
	s_delay_alu instid0(VALU_DEP_3) | instskip(SKIP_1) | instid1(SALU_CYCLE_1)
	v_cmp_ge_i64_e32 vcc_lo, v[10:11], v[8:9]
	s_or_b32 s11, vcc_lo, s11
	s_and_not1_b32 exec_lo, exec_lo, s11
	s_cbranch_execz .LBB129_12
.LBB129_16:                             ;   Parent Loop BB129_13 Depth=1
                                        ; =>  This Inner Loop Header: Depth=2
	global_load_b64 v[20:21], v[16:17], off
	s_mov_b32 s22, exec_lo
	s_wait_loadcnt 0x0
	v_sub_nc_u64_e64 v[20:21], v[20:21], s[20:21]
	s_wait_xcnt 0x0
	s_delay_alu instid0(VALU_DEP_1)
	v_cmpx_ne_u64_e64 v[20:21], v[6:7]
	s_cbranch_execz .LBB129_15
; %bb.17:                               ;   in Loop: Header=BB129_16 Depth=2
	global_load_b128 v[22:25], v[18:19], off offset:-8
	v_lshl_add_u64 v[20:21], v[20:21], 4, s[18:19]
	s_wait_loadcnt 0x0
	v_xor_b32_e32 v26, 0x80000000, v25
	s_delay_alu instid0(VALU_DEP_1) | instskip(NEXT) | instid1(VALU_DEP_1)
	v_cndmask_b32_e64 v25, v25, v26, s2
	v_mul_f64_e64 v[26:27], v[24:25], -v[14:15]
	v_mul_f64_e32 v[24:25], v[12:13], v[24:25]
	s_delay_alu instid0(VALU_DEP_2) | instskip(NEXT) | instid1(VALU_DEP_2)
	v_fmac_f64_e32 v[26:27], v[12:13], v[22:23]
	v_fmac_f64_e32 v[24:25], v[14:15], v[22:23]
	s_wait_xcnt 0x0
	global_atomic_add_f64 v[20:21], v[26:27], off scope:SCOPE_DEV
	s_wait_xcnt 0x0
	global_atomic_add_f64 v[20:21], v[24:25], off offset:8 scope:SCOPE_DEV
	s_branch .LBB129_15
.LBB129_18:
	s_endpgm
	.section	.rodata,"a",@progbits
	.p2align	6, 0x0
	.amdhsa_kernel _ZN9rocsparseL21csrmvt_general_kernelILj256ELj16Ell21rocsparse_complex_numIdES2_S2_S2_EEvbbT2_NS_24const_host_device_scalarIT6_EEPKT1_S9_PKS3_PKT3_PKT4_PT5_21rocsparse_index_base_b
		.amdhsa_group_segment_fixed_size 0
		.amdhsa_private_segment_fixed_size 0
		.amdhsa_kernarg_size 344
		.amdhsa_user_sgpr_count 2
		.amdhsa_user_sgpr_dispatch_ptr 0
		.amdhsa_user_sgpr_queue_ptr 0
		.amdhsa_user_sgpr_kernarg_segment_ptr 1
		.amdhsa_user_sgpr_dispatch_id 0
		.amdhsa_user_sgpr_kernarg_preload_length 0
		.amdhsa_user_sgpr_kernarg_preload_offset 0
		.amdhsa_user_sgpr_private_segment_size 0
		.amdhsa_wavefront_size32 1
		.amdhsa_uses_dynamic_stack 0
		.amdhsa_enable_private_segment 0
		.amdhsa_system_sgpr_workgroup_id_x 1
		.amdhsa_system_sgpr_workgroup_id_y 0
		.amdhsa_system_sgpr_workgroup_id_z 0
		.amdhsa_system_sgpr_workgroup_info 0
		.amdhsa_system_vgpr_workitem_id 0
		.amdhsa_next_free_vgpr 32
		.amdhsa_next_free_sgpr 26
		.amdhsa_named_barrier_count 0
		.amdhsa_reserve_vcc 1
		.amdhsa_float_round_mode_32 0
		.amdhsa_float_round_mode_16_64 0
		.amdhsa_float_denorm_mode_32 3
		.amdhsa_float_denorm_mode_16_64 3
		.amdhsa_fp16_overflow 0
		.amdhsa_memory_ordered 1
		.amdhsa_forward_progress 1
		.amdhsa_inst_pref_size 9
		.amdhsa_round_robin_scheduling 0
		.amdhsa_exception_fp_ieee_invalid_op 0
		.amdhsa_exception_fp_denorm_src 0
		.amdhsa_exception_fp_ieee_div_zero 0
		.amdhsa_exception_fp_ieee_overflow 0
		.amdhsa_exception_fp_ieee_underflow 0
		.amdhsa_exception_fp_ieee_inexact 0
		.amdhsa_exception_int_div_zero 0
	.end_amdhsa_kernel
	.section	.text._ZN9rocsparseL21csrmvt_general_kernelILj256ELj16Ell21rocsparse_complex_numIdES2_S2_S2_EEvbbT2_NS_24const_host_device_scalarIT6_EEPKT1_S9_PKS3_PKT3_PKT4_PT5_21rocsparse_index_base_b,"axG",@progbits,_ZN9rocsparseL21csrmvt_general_kernelILj256ELj16Ell21rocsparse_complex_numIdES2_S2_S2_EEvbbT2_NS_24const_host_device_scalarIT6_EEPKT1_S9_PKS3_PKT3_PKT4_PT5_21rocsparse_index_base_b,comdat
.Lfunc_end129:
	.size	_ZN9rocsparseL21csrmvt_general_kernelILj256ELj16Ell21rocsparse_complex_numIdES2_S2_S2_EEvbbT2_NS_24const_host_device_scalarIT6_EEPKT1_S9_PKS3_PKT3_PKT4_PT5_21rocsparse_index_base_b, .Lfunc_end129-_ZN9rocsparseL21csrmvt_general_kernelILj256ELj16Ell21rocsparse_complex_numIdES2_S2_S2_EEvbbT2_NS_24const_host_device_scalarIT6_EEPKT1_S9_PKS3_PKT3_PKT4_PT5_21rocsparse_index_base_b
                                        ; -- End function
	.set _ZN9rocsparseL21csrmvt_general_kernelILj256ELj16Ell21rocsparse_complex_numIdES2_S2_S2_EEvbbT2_NS_24const_host_device_scalarIT6_EEPKT1_S9_PKS3_PKT3_PKT4_PT5_21rocsparse_index_base_b.num_vgpr, 32
	.set _ZN9rocsparseL21csrmvt_general_kernelILj256ELj16Ell21rocsparse_complex_numIdES2_S2_S2_EEvbbT2_NS_24const_host_device_scalarIT6_EEPKT1_S9_PKS3_PKT3_PKT4_PT5_21rocsparse_index_base_b.num_agpr, 0
	.set _ZN9rocsparseL21csrmvt_general_kernelILj256ELj16Ell21rocsparse_complex_numIdES2_S2_S2_EEvbbT2_NS_24const_host_device_scalarIT6_EEPKT1_S9_PKS3_PKT3_PKT4_PT5_21rocsparse_index_base_b.numbered_sgpr, 26
	.set _ZN9rocsparseL21csrmvt_general_kernelILj256ELj16Ell21rocsparse_complex_numIdES2_S2_S2_EEvbbT2_NS_24const_host_device_scalarIT6_EEPKT1_S9_PKS3_PKT3_PKT4_PT5_21rocsparse_index_base_b.num_named_barrier, 0
	.set _ZN9rocsparseL21csrmvt_general_kernelILj256ELj16Ell21rocsparse_complex_numIdES2_S2_S2_EEvbbT2_NS_24const_host_device_scalarIT6_EEPKT1_S9_PKS3_PKT3_PKT4_PT5_21rocsparse_index_base_b.private_seg_size, 0
	.set _ZN9rocsparseL21csrmvt_general_kernelILj256ELj16Ell21rocsparse_complex_numIdES2_S2_S2_EEvbbT2_NS_24const_host_device_scalarIT6_EEPKT1_S9_PKS3_PKT3_PKT4_PT5_21rocsparse_index_base_b.uses_vcc, 1
	.set _ZN9rocsparseL21csrmvt_general_kernelILj256ELj16Ell21rocsparse_complex_numIdES2_S2_S2_EEvbbT2_NS_24const_host_device_scalarIT6_EEPKT1_S9_PKS3_PKT3_PKT4_PT5_21rocsparse_index_base_b.uses_flat_scratch, 0
	.set _ZN9rocsparseL21csrmvt_general_kernelILj256ELj16Ell21rocsparse_complex_numIdES2_S2_S2_EEvbbT2_NS_24const_host_device_scalarIT6_EEPKT1_S9_PKS3_PKT3_PKT4_PT5_21rocsparse_index_base_b.has_dyn_sized_stack, 0
	.set _ZN9rocsparseL21csrmvt_general_kernelILj256ELj16Ell21rocsparse_complex_numIdES2_S2_S2_EEvbbT2_NS_24const_host_device_scalarIT6_EEPKT1_S9_PKS3_PKT3_PKT4_PT5_21rocsparse_index_base_b.has_recursion, 0
	.set _ZN9rocsparseL21csrmvt_general_kernelILj256ELj16Ell21rocsparse_complex_numIdES2_S2_S2_EEvbbT2_NS_24const_host_device_scalarIT6_EEPKT1_S9_PKS3_PKT3_PKT4_PT5_21rocsparse_index_base_b.has_indirect_call, 0
	.section	.AMDGPU.csdata,"",@progbits
; Kernel info:
; codeLenInByte = 1084
; TotalNumSgprs: 28
; NumVgprs: 32
; ScratchSize: 0
; MemoryBound: 0
; FloatMode: 240
; IeeeMode: 1
; LDSByteSize: 0 bytes/workgroup (compile time only)
; SGPRBlocks: 0
; VGPRBlocks: 1
; NumSGPRsForWavesPerEU: 28
; NumVGPRsForWavesPerEU: 32
; NamedBarCnt: 0
; Occupancy: 16
; WaveLimiterHint : 1
; COMPUTE_PGM_RSRC2:SCRATCH_EN: 0
; COMPUTE_PGM_RSRC2:USER_SGPR: 2
; COMPUTE_PGM_RSRC2:TRAP_HANDLER: 0
; COMPUTE_PGM_RSRC2:TGID_X_EN: 1
; COMPUTE_PGM_RSRC2:TGID_Y_EN: 0
; COMPUTE_PGM_RSRC2:TGID_Z_EN: 0
; COMPUTE_PGM_RSRC2:TIDIG_COMP_CNT: 0
	.section	.text._ZN9rocsparseL21csrmvt_general_kernelILj256ELj32Ell21rocsparse_complex_numIdES2_S2_S2_EEvbbT2_NS_24const_host_device_scalarIT6_EEPKT1_S9_PKS3_PKT3_PKT4_PT5_21rocsparse_index_base_b,"axG",@progbits,_ZN9rocsparseL21csrmvt_general_kernelILj256ELj32Ell21rocsparse_complex_numIdES2_S2_S2_EEvbbT2_NS_24const_host_device_scalarIT6_EEPKT1_S9_PKS3_PKT3_PKT4_PT5_21rocsparse_index_base_b,comdat
	.globl	_ZN9rocsparseL21csrmvt_general_kernelILj256ELj32Ell21rocsparse_complex_numIdES2_S2_S2_EEvbbT2_NS_24const_host_device_scalarIT6_EEPKT1_S9_PKS3_PKT3_PKT4_PT5_21rocsparse_index_base_b ; -- Begin function _ZN9rocsparseL21csrmvt_general_kernelILj256ELj32Ell21rocsparse_complex_numIdES2_S2_S2_EEvbbT2_NS_24const_host_device_scalarIT6_EEPKT1_S9_PKS3_PKT3_PKT4_PT5_21rocsparse_index_base_b
	.p2align	8
	.type	_ZN9rocsparseL21csrmvt_general_kernelILj256ELj32Ell21rocsparse_complex_numIdES2_S2_S2_EEvbbT2_NS_24const_host_device_scalarIT6_EEPKT1_S9_PKS3_PKT3_PKT4_PT5_21rocsparse_index_base_b,@function
_ZN9rocsparseL21csrmvt_general_kernelILj256ELj32Ell21rocsparse_complex_numIdES2_S2_S2_EEvbbT2_NS_24const_host_device_scalarIT6_EEPKT1_S9_PKS3_PKT3_PKT4_PT5_21rocsparse_index_base_b: ; @_ZN9rocsparseL21csrmvt_general_kernelILj256ELj32Ell21rocsparse_complex_numIdES2_S2_S2_EEvbbT2_NS_24const_host_device_scalarIT6_EEPKT1_S9_PKS3_PKT3_PKT4_PT5_21rocsparse_index_base_b
; %bb.0:
	s_clause 0x1
	s_load_b64 s[20:21], s[0:1], 0x50
	s_load_b128 s[12:15], s[0:1], 0x8
	v_mov_b32_e32 v7, 0
	s_add_nc_u64 s[2:3], s[0:1], 16
	s_wait_kmcnt 0x0
	s_bitcmp1_b32 s21, 0
	s_cselect_b32 s3, s3, s15
	s_cselect_b32 s2, s2, s14
	flat_load_b128 v[2:5], v7, s[2:3]
	s_wait_loadcnt_dscnt 0x0
	v_cmp_neq_f64_e32 vcc_lo, 0, v[2:3]
	v_cmp_neq_f64_e64 s2, 0, v[4:5]
	s_or_b32 s2, vcc_lo, s2
	s_delay_alu instid0(SALU_CYCLE_1)
	s_and_saveexec_b32 s3, s2
	s_cbranch_execz .LBB130_18
; %bb.1:
	s_clause 0x1
	s_load_b32 s2, s[0:1], 0x0
	s_load_b32 s3, s[0:1], 0x58
	s_getreg_b32 s5, hwreg(HW_REG_IB_STS2, 6, 4)
	s_load_b128 s[16:19], s[0:1], 0x40
	s_mov_b32 s15, 0
	s_wait_kmcnt 0x0
	s_and_b32 s21, s2, 1
	s_bitcmp1_b32 s2, 8
	s_cselect_b32 s2, -1, 0
	s_bfe_u32 s4, ttmp6, 0x4000c
	s_lshl_b32 s14, s3, 3
	s_add_co_i32 s4, s4, 1
	s_and_b32 s3, ttmp6, 15
	s_mul_i32 s4, ttmp9, s4
	s_delay_alu instid0(SALU_CYCLE_1)
	s_add_co_i32 s3, s3, s4
	s_cmp_eq_u32 s5, 0
	s_load_b256 s[4:11], s[0:1], 0x20
	s_wait_xcnt 0x0
	s_cselect_b32 s0, ttmp9, s3
	s_cmp_eq_u32 s21, 0
	v_lshl_or_b32 v1, s0, 8, v0
	s_mov_b32 s1, -1
	s_delay_alu instid0(VALU_DEP_1) | instskip(NEXT) | instid1(VALU_DEP_1)
	v_dual_lshrrev_b32 v6, 5, v1 :: v_dual_bitop2_b32 v0, 31, v0 bitop3:0x40
	v_cmp_gt_i64_e64 s0, s[12:13], v[6:7]
	s_cbranch_scc0 .LBB130_9
; %bb.2:
	s_and_saveexec_b32 s1, s0
	s_cbranch_execz .LBB130_8
; %bb.3:
	v_mov_b32_e32 v1, 0
	s_mov_b32 s21, 0
	v_mov_b64_e32 v[10:11], v[6:7]
	s_wait_kmcnt 0x0
	s_add_nc_u64 s[22:23], s[10:11], 8
	s_mov_b32 s3, s21
	v_sub_nc_u64_e64 v[8:9], v[0:1], s[20:21]
	s_branch .LBB130_5
.LBB130_4:                              ;   in Loop: Header=BB130_5 Depth=1
	s_or_b32 exec_lo, exec_lo, s24
	v_add_nc_u64_e32 v[10:11], s[14:15], v[10:11]
	s_delay_alu instid0(VALU_DEP_1) | instskip(SKIP_1) | instid1(SALU_CYCLE_1)
	v_cmp_le_i64_e32 vcc_lo, s[12:13], v[10:11]
	s_or_b32 s3, vcc_lo, s3
	s_and_not1_b32 exec_lo, exec_lo, s3
	s_cbranch_execz .LBB130_8
.LBB130_5:                              ; =>This Loop Header: Depth=1
                                        ;     Child Loop BB130_7 Depth 2
	s_delay_alu instid0(VALU_DEP_2) | instskip(SKIP_1) | instid1(VALU_DEP_1)
	v_lshlrev_b64_e32 v[12:13], 3, v[10:11]
	s_mov_b32 s24, exec_lo
	v_add_nc_u64_e32 v[14:15], s[6:7], v[12:13]
	v_add_nc_u64_e32 v[12:13], s[4:5], v[12:13]
	global_load_b64 v[16:17], v[14:15], off
	global_load_b64 v[18:19], v[12:13], off
	s_wait_loadcnt 0x1
	s_wait_xcnt 0x0
	v_sub_nc_u64_e64 v[12:13], v[16:17], s[20:21]
	s_wait_loadcnt 0x0
	v_add_nc_u64_e32 v[14:15], v[18:19], v[8:9]
	s_delay_alu instid0(VALU_DEP_1)
	v_cmpx_lt_i64_e64 v[14:15], v[12:13]
	s_cbranch_execz .LBB130_4
; %bb.6:                                ;   in Loop: Header=BB130_5 Depth=1
	v_lshl_add_u64 v[16:17], v[10:11], 4, s[16:17]
	s_mov_b32 s25, 0
	global_load_b128 v[20:23], v[16:17], off
	s_wait_loadcnt 0x0
	s_wait_xcnt 0x0
	v_mul_f64_e64 v[16:17], v[22:23], -v[4:5]
	v_mul_f64_e32 v[18:19], v[2:3], v[22:23]
	v_lshl_add_u64 v[22:23], v[14:15], 4, s[22:23]
	s_delay_alu instid0(VALU_DEP_3) | instskip(NEXT) | instid1(VALU_DEP_3)
	v_fmac_f64_e32 v[16:17], v[2:3], v[20:21]
	v_fmac_f64_e32 v[18:19], v[4:5], v[20:21]
	v_lshl_add_u64 v[20:21], v[14:15], 3, s[8:9]
.LBB130_7:                              ;   Parent Loop BB130_5 Depth=1
                                        ; =>  This Inner Loop Header: Depth=2
	global_load_b128 v[24:27], v[22:23], off offset:-8
	global_load_b64 v[28:29], v[20:21], off
	v_add_nc_u64_e32 v[14:15], 32, v[14:15]
	s_wait_xcnt 0x0
	v_add_nc_u64_e32 v[20:21], 0x100, v[20:21]
	v_add_nc_u64_e32 v[22:23], 0x200, v[22:23]
	s_delay_alu instid0(VALU_DEP_3) | instskip(SKIP_3) | instid1(VALU_DEP_1)
	v_cmp_ge_i64_e32 vcc_lo, v[14:15], v[12:13]
	s_or_b32 s25, vcc_lo, s25
	s_wait_loadcnt 0x1
	v_xor_b32_e32 v1, 0x80000000, v27
	v_cndmask_b32_e64 v27, v27, v1, s2
	s_delay_alu instid0(VALU_DEP_1) | instskip(SKIP_1) | instid1(VALU_DEP_2)
	v_mul_f64_e64 v[30:31], v[26:27], -v[18:19]
	v_mul_f64_e32 v[26:27], v[16:17], v[26:27]
	v_fmac_f64_e32 v[30:31], v[16:17], v[24:25]
	s_delay_alu instid0(VALU_DEP_2) | instskip(SKIP_2) | instid1(VALU_DEP_1)
	v_fmac_f64_e32 v[26:27], v[18:19], v[24:25]
	s_wait_loadcnt 0x0
	v_sub_nc_u64_e64 v[24:25], v[28:29], s[20:21]
	v_lshl_add_u64 v[24:25], v[24:25], 4, s[18:19]
	global_atomic_add_f64 v[24:25], v[30:31], off scope:SCOPE_DEV
	s_wait_xcnt 0x0
	global_atomic_add_f64 v[24:25], v[26:27], off offset:8 scope:SCOPE_DEV
	s_wait_xcnt 0x0
	s_and_not1_b32 exec_lo, exec_lo, s25
	s_cbranch_execnz .LBB130_7
	s_branch .LBB130_4
.LBB130_8:
	s_or_b32 exec_lo, exec_lo, s1
	s_mov_b32 s1, 0
.LBB130_9:
	s_delay_alu instid0(SALU_CYCLE_1)
	s_and_not1_b32 vcc_lo, exec_lo, s1
	s_cbranch_vccnz .LBB130_18
; %bb.10:
	s_and_b32 exec_lo, exec_lo, s0
	s_cbranch_execz .LBB130_18
; %bb.11:
	v_mov_b32_e32 v1, 0
	s_mov_b32 s21, 0
	s_wait_kmcnt 0x0
	s_add_nc_u64 s[0:1], s[10:11], 8
	s_mov_b32 s3, s21
	v_sub_nc_u64_e64 v[0:1], v[0:1], s[20:21]
	s_branch .LBB130_13
.LBB130_12:                             ;   in Loop: Header=BB130_13 Depth=1
	s_or_b32 exec_lo, exec_lo, s10
	v_add_nc_u64_e32 v[6:7], s[14:15], v[6:7]
	s_delay_alu instid0(VALU_DEP_1) | instskip(SKIP_1) | instid1(SALU_CYCLE_1)
	v_cmp_le_i64_e32 vcc_lo, s[12:13], v[6:7]
	s_or_b32 s3, vcc_lo, s3
	s_and_not1_b32 exec_lo, exec_lo, s3
	s_cbranch_execz .LBB130_18
.LBB130_13:                             ; =>This Loop Header: Depth=1
                                        ;     Child Loop BB130_16 Depth 2
	v_lshlrev_b64_e32 v[8:9], 3, v[6:7]
	s_mov_b32 s10, exec_lo
	s_delay_alu instid0(VALU_DEP_1)
	v_add_nc_u64_e32 v[10:11], s[6:7], v[8:9]
	v_add_nc_u64_e32 v[8:9], s[4:5], v[8:9]
	global_load_b64 v[12:13], v[10:11], off
	global_load_b64 v[14:15], v[8:9], off
	s_wait_loadcnt 0x1
	s_wait_xcnt 0x0
	v_sub_nc_u64_e64 v[8:9], v[12:13], s[20:21]
	s_wait_loadcnt 0x0
	v_add_nc_u64_e32 v[10:11], v[14:15], v[0:1]
	s_delay_alu instid0(VALU_DEP_1)
	v_cmpx_lt_i64_e64 v[10:11], v[8:9]
	s_cbranch_execz .LBB130_12
; %bb.14:                               ;   in Loop: Header=BB130_13 Depth=1
	v_lshl_add_u64 v[12:13], v[6:7], 4, s[16:17]
	s_mov_b32 s11, 0
	global_load_b128 v[16:19], v[12:13], off
	s_wait_loadcnt 0x0
	v_mul_f64_e64 v[12:13], v[18:19], -v[4:5]
	v_mul_f64_e32 v[14:15], v[2:3], v[18:19]
	v_lshl_add_u64 v[18:19], v[10:11], 4, s[0:1]
	s_delay_alu instid0(VALU_DEP_3) | instskip(NEXT) | instid1(VALU_DEP_3)
	v_fmac_f64_e32 v[12:13], v[2:3], v[16:17]
	v_fmac_f64_e32 v[14:15], v[4:5], v[16:17]
	v_lshl_add_u64 v[16:17], v[10:11], 3, s[8:9]
	s_branch .LBB130_16
.LBB130_15:                             ;   in Loop: Header=BB130_16 Depth=2
	s_wait_xcnt 0x0
	s_or_b32 exec_lo, exec_lo, s22
	v_add_nc_u64_e32 v[10:11], 32, v[10:11]
	v_add_nc_u64_e32 v[16:17], 0x100, v[16:17]
	;; [unrolled: 1-line block ×3, first 2 shown]
	s_delay_alu instid0(VALU_DEP_3) | instskip(SKIP_1) | instid1(SALU_CYCLE_1)
	v_cmp_ge_i64_e32 vcc_lo, v[10:11], v[8:9]
	s_or_b32 s11, vcc_lo, s11
	s_and_not1_b32 exec_lo, exec_lo, s11
	s_cbranch_execz .LBB130_12
.LBB130_16:                             ;   Parent Loop BB130_13 Depth=1
                                        ; =>  This Inner Loop Header: Depth=2
	global_load_b64 v[20:21], v[16:17], off
	s_mov_b32 s22, exec_lo
	s_wait_loadcnt 0x0
	v_sub_nc_u64_e64 v[20:21], v[20:21], s[20:21]
	s_wait_xcnt 0x0
	s_delay_alu instid0(VALU_DEP_1)
	v_cmpx_ne_u64_e64 v[20:21], v[6:7]
	s_cbranch_execz .LBB130_15
; %bb.17:                               ;   in Loop: Header=BB130_16 Depth=2
	global_load_b128 v[22:25], v[18:19], off offset:-8
	v_lshl_add_u64 v[20:21], v[20:21], 4, s[18:19]
	s_wait_loadcnt 0x0
	v_xor_b32_e32 v26, 0x80000000, v25
	s_delay_alu instid0(VALU_DEP_1) | instskip(NEXT) | instid1(VALU_DEP_1)
	v_cndmask_b32_e64 v25, v25, v26, s2
	v_mul_f64_e64 v[26:27], v[24:25], -v[14:15]
	v_mul_f64_e32 v[24:25], v[12:13], v[24:25]
	s_delay_alu instid0(VALU_DEP_2) | instskip(NEXT) | instid1(VALU_DEP_2)
	v_fmac_f64_e32 v[26:27], v[12:13], v[22:23]
	v_fmac_f64_e32 v[24:25], v[14:15], v[22:23]
	s_wait_xcnt 0x0
	global_atomic_add_f64 v[20:21], v[26:27], off scope:SCOPE_DEV
	s_wait_xcnt 0x0
	global_atomic_add_f64 v[20:21], v[24:25], off offset:8 scope:SCOPE_DEV
	s_branch .LBB130_15
.LBB130_18:
	s_endpgm
	.section	.rodata,"a",@progbits
	.p2align	6, 0x0
	.amdhsa_kernel _ZN9rocsparseL21csrmvt_general_kernelILj256ELj32Ell21rocsparse_complex_numIdES2_S2_S2_EEvbbT2_NS_24const_host_device_scalarIT6_EEPKT1_S9_PKS3_PKT3_PKT4_PT5_21rocsparse_index_base_b
		.amdhsa_group_segment_fixed_size 0
		.amdhsa_private_segment_fixed_size 0
		.amdhsa_kernarg_size 344
		.amdhsa_user_sgpr_count 2
		.amdhsa_user_sgpr_dispatch_ptr 0
		.amdhsa_user_sgpr_queue_ptr 0
		.amdhsa_user_sgpr_kernarg_segment_ptr 1
		.amdhsa_user_sgpr_dispatch_id 0
		.amdhsa_user_sgpr_kernarg_preload_length 0
		.amdhsa_user_sgpr_kernarg_preload_offset 0
		.amdhsa_user_sgpr_private_segment_size 0
		.amdhsa_wavefront_size32 1
		.amdhsa_uses_dynamic_stack 0
		.amdhsa_enable_private_segment 0
		.amdhsa_system_sgpr_workgroup_id_x 1
		.amdhsa_system_sgpr_workgroup_id_y 0
		.amdhsa_system_sgpr_workgroup_id_z 0
		.amdhsa_system_sgpr_workgroup_info 0
		.amdhsa_system_vgpr_workitem_id 0
		.amdhsa_next_free_vgpr 32
		.amdhsa_next_free_sgpr 26
		.amdhsa_named_barrier_count 0
		.amdhsa_reserve_vcc 1
		.amdhsa_float_round_mode_32 0
		.amdhsa_float_round_mode_16_64 0
		.amdhsa_float_denorm_mode_32 3
		.amdhsa_float_denorm_mode_16_64 3
		.amdhsa_fp16_overflow 0
		.amdhsa_memory_ordered 1
		.amdhsa_forward_progress 1
		.amdhsa_inst_pref_size 9
		.amdhsa_round_robin_scheduling 0
		.amdhsa_exception_fp_ieee_invalid_op 0
		.amdhsa_exception_fp_denorm_src 0
		.amdhsa_exception_fp_ieee_div_zero 0
		.amdhsa_exception_fp_ieee_overflow 0
		.amdhsa_exception_fp_ieee_underflow 0
		.amdhsa_exception_fp_ieee_inexact 0
		.amdhsa_exception_int_div_zero 0
	.end_amdhsa_kernel
	.section	.text._ZN9rocsparseL21csrmvt_general_kernelILj256ELj32Ell21rocsparse_complex_numIdES2_S2_S2_EEvbbT2_NS_24const_host_device_scalarIT6_EEPKT1_S9_PKS3_PKT3_PKT4_PT5_21rocsparse_index_base_b,"axG",@progbits,_ZN9rocsparseL21csrmvt_general_kernelILj256ELj32Ell21rocsparse_complex_numIdES2_S2_S2_EEvbbT2_NS_24const_host_device_scalarIT6_EEPKT1_S9_PKS3_PKT3_PKT4_PT5_21rocsparse_index_base_b,comdat
.Lfunc_end130:
	.size	_ZN9rocsparseL21csrmvt_general_kernelILj256ELj32Ell21rocsparse_complex_numIdES2_S2_S2_EEvbbT2_NS_24const_host_device_scalarIT6_EEPKT1_S9_PKS3_PKT3_PKT4_PT5_21rocsparse_index_base_b, .Lfunc_end130-_ZN9rocsparseL21csrmvt_general_kernelILj256ELj32Ell21rocsparse_complex_numIdES2_S2_S2_EEvbbT2_NS_24const_host_device_scalarIT6_EEPKT1_S9_PKS3_PKT3_PKT4_PT5_21rocsparse_index_base_b
                                        ; -- End function
	.set _ZN9rocsparseL21csrmvt_general_kernelILj256ELj32Ell21rocsparse_complex_numIdES2_S2_S2_EEvbbT2_NS_24const_host_device_scalarIT6_EEPKT1_S9_PKS3_PKT3_PKT4_PT5_21rocsparse_index_base_b.num_vgpr, 32
	.set _ZN9rocsparseL21csrmvt_general_kernelILj256ELj32Ell21rocsparse_complex_numIdES2_S2_S2_EEvbbT2_NS_24const_host_device_scalarIT6_EEPKT1_S9_PKS3_PKT3_PKT4_PT5_21rocsparse_index_base_b.num_agpr, 0
	.set _ZN9rocsparseL21csrmvt_general_kernelILj256ELj32Ell21rocsparse_complex_numIdES2_S2_S2_EEvbbT2_NS_24const_host_device_scalarIT6_EEPKT1_S9_PKS3_PKT3_PKT4_PT5_21rocsparse_index_base_b.numbered_sgpr, 26
	.set _ZN9rocsparseL21csrmvt_general_kernelILj256ELj32Ell21rocsparse_complex_numIdES2_S2_S2_EEvbbT2_NS_24const_host_device_scalarIT6_EEPKT1_S9_PKS3_PKT3_PKT4_PT5_21rocsparse_index_base_b.num_named_barrier, 0
	.set _ZN9rocsparseL21csrmvt_general_kernelILj256ELj32Ell21rocsparse_complex_numIdES2_S2_S2_EEvbbT2_NS_24const_host_device_scalarIT6_EEPKT1_S9_PKS3_PKT3_PKT4_PT5_21rocsparse_index_base_b.private_seg_size, 0
	.set _ZN9rocsparseL21csrmvt_general_kernelILj256ELj32Ell21rocsparse_complex_numIdES2_S2_S2_EEvbbT2_NS_24const_host_device_scalarIT6_EEPKT1_S9_PKS3_PKT3_PKT4_PT5_21rocsparse_index_base_b.uses_vcc, 1
	.set _ZN9rocsparseL21csrmvt_general_kernelILj256ELj32Ell21rocsparse_complex_numIdES2_S2_S2_EEvbbT2_NS_24const_host_device_scalarIT6_EEPKT1_S9_PKS3_PKT3_PKT4_PT5_21rocsparse_index_base_b.uses_flat_scratch, 0
	.set _ZN9rocsparseL21csrmvt_general_kernelILj256ELj32Ell21rocsparse_complex_numIdES2_S2_S2_EEvbbT2_NS_24const_host_device_scalarIT6_EEPKT1_S9_PKS3_PKT3_PKT4_PT5_21rocsparse_index_base_b.has_dyn_sized_stack, 0
	.set _ZN9rocsparseL21csrmvt_general_kernelILj256ELj32Ell21rocsparse_complex_numIdES2_S2_S2_EEvbbT2_NS_24const_host_device_scalarIT6_EEPKT1_S9_PKS3_PKT3_PKT4_PT5_21rocsparse_index_base_b.has_recursion, 0
	.set _ZN9rocsparseL21csrmvt_general_kernelILj256ELj32Ell21rocsparse_complex_numIdES2_S2_S2_EEvbbT2_NS_24const_host_device_scalarIT6_EEPKT1_S9_PKS3_PKT3_PKT4_PT5_21rocsparse_index_base_b.has_indirect_call, 0
	.section	.AMDGPU.csdata,"",@progbits
; Kernel info:
; codeLenInByte = 1084
; TotalNumSgprs: 28
; NumVgprs: 32
; ScratchSize: 0
; MemoryBound: 0
; FloatMode: 240
; IeeeMode: 1
; LDSByteSize: 0 bytes/workgroup (compile time only)
; SGPRBlocks: 0
; VGPRBlocks: 1
; NumSGPRsForWavesPerEU: 28
; NumVGPRsForWavesPerEU: 32
; NamedBarCnt: 0
; Occupancy: 16
; WaveLimiterHint : 1
; COMPUTE_PGM_RSRC2:SCRATCH_EN: 0
; COMPUTE_PGM_RSRC2:USER_SGPR: 2
; COMPUTE_PGM_RSRC2:TRAP_HANDLER: 0
; COMPUTE_PGM_RSRC2:TGID_X_EN: 1
; COMPUTE_PGM_RSRC2:TGID_Y_EN: 0
; COMPUTE_PGM_RSRC2:TGID_Z_EN: 0
; COMPUTE_PGM_RSRC2:TIDIG_COMP_CNT: 0
	.section	.text._ZN9rocsparseL21csrmvt_general_kernelILj256ELj64Ell21rocsparse_complex_numIdES2_S2_S2_EEvbbT2_NS_24const_host_device_scalarIT6_EEPKT1_S9_PKS3_PKT3_PKT4_PT5_21rocsparse_index_base_b,"axG",@progbits,_ZN9rocsparseL21csrmvt_general_kernelILj256ELj64Ell21rocsparse_complex_numIdES2_S2_S2_EEvbbT2_NS_24const_host_device_scalarIT6_EEPKT1_S9_PKS3_PKT3_PKT4_PT5_21rocsparse_index_base_b,comdat
	.globl	_ZN9rocsparseL21csrmvt_general_kernelILj256ELj64Ell21rocsparse_complex_numIdES2_S2_S2_EEvbbT2_NS_24const_host_device_scalarIT6_EEPKT1_S9_PKS3_PKT3_PKT4_PT5_21rocsparse_index_base_b ; -- Begin function _ZN9rocsparseL21csrmvt_general_kernelILj256ELj64Ell21rocsparse_complex_numIdES2_S2_S2_EEvbbT2_NS_24const_host_device_scalarIT6_EEPKT1_S9_PKS3_PKT3_PKT4_PT5_21rocsparse_index_base_b
	.p2align	8
	.type	_ZN9rocsparseL21csrmvt_general_kernelILj256ELj64Ell21rocsparse_complex_numIdES2_S2_S2_EEvbbT2_NS_24const_host_device_scalarIT6_EEPKT1_S9_PKS3_PKT3_PKT4_PT5_21rocsparse_index_base_b,@function
_ZN9rocsparseL21csrmvt_general_kernelILj256ELj64Ell21rocsparse_complex_numIdES2_S2_S2_EEvbbT2_NS_24const_host_device_scalarIT6_EEPKT1_S9_PKS3_PKT3_PKT4_PT5_21rocsparse_index_base_b: ; @_ZN9rocsparseL21csrmvt_general_kernelILj256ELj64Ell21rocsparse_complex_numIdES2_S2_S2_EEvbbT2_NS_24const_host_device_scalarIT6_EEPKT1_S9_PKS3_PKT3_PKT4_PT5_21rocsparse_index_base_b
; %bb.0:
	s_clause 0x1
	s_load_b64 s[20:21], s[0:1], 0x50
	s_load_b128 s[12:15], s[0:1], 0x8
	v_mov_b32_e32 v7, 0
	s_add_nc_u64 s[2:3], s[0:1], 16
	s_wait_kmcnt 0x0
	s_bitcmp1_b32 s21, 0
	s_cselect_b32 s3, s3, s15
	s_cselect_b32 s2, s2, s14
	flat_load_b128 v[2:5], v7, s[2:3]
	s_wait_loadcnt_dscnt 0x0
	v_cmp_neq_f64_e32 vcc_lo, 0, v[2:3]
	v_cmp_neq_f64_e64 s2, 0, v[4:5]
	s_or_b32 s2, vcc_lo, s2
	s_delay_alu instid0(SALU_CYCLE_1)
	s_and_saveexec_b32 s3, s2
	s_cbranch_execz .LBB131_18
; %bb.1:
	s_clause 0x1
	s_load_b32 s2, s[0:1], 0x0
	s_load_b32 s3, s[0:1], 0x58
	s_getreg_b32 s5, hwreg(HW_REG_IB_STS2, 6, 4)
	s_load_b128 s[16:19], s[0:1], 0x40
	s_mov_b32 s15, 0
	s_wait_kmcnt 0x0
	s_and_b32 s21, s2, 1
	s_bitcmp1_b32 s2, 8
	s_cselect_b32 s2, -1, 0
	s_bfe_u32 s4, ttmp6, 0x4000c
	s_lshl_b32 s14, s3, 2
	s_add_co_i32 s4, s4, 1
	s_and_b32 s3, ttmp6, 15
	s_mul_i32 s4, ttmp9, s4
	s_delay_alu instid0(SALU_CYCLE_1)
	s_add_co_i32 s3, s3, s4
	s_cmp_eq_u32 s5, 0
	s_load_b256 s[4:11], s[0:1], 0x20
	s_wait_xcnt 0x0
	s_cselect_b32 s0, ttmp9, s3
	s_cmp_eq_u32 s21, 0
	v_lshl_or_b32 v1, s0, 8, v0
	s_mov_b32 s1, -1
	s_delay_alu instid0(VALU_DEP_1) | instskip(NEXT) | instid1(VALU_DEP_1)
	v_dual_lshrrev_b32 v6, 6, v1 :: v_dual_bitop2_b32 v0, 63, v0 bitop3:0x40
	v_cmp_gt_i64_e64 s0, s[12:13], v[6:7]
	s_cbranch_scc0 .LBB131_9
; %bb.2:
	s_and_saveexec_b32 s1, s0
	s_cbranch_execz .LBB131_8
; %bb.3:
	v_mov_b32_e32 v1, 0
	s_mov_b32 s21, 0
	v_mov_b64_e32 v[10:11], v[6:7]
	s_wait_kmcnt 0x0
	s_add_nc_u64 s[22:23], s[10:11], 8
	s_mov_b32 s3, s21
	v_sub_nc_u64_e64 v[8:9], v[0:1], s[20:21]
	s_branch .LBB131_5
.LBB131_4:                              ;   in Loop: Header=BB131_5 Depth=1
	s_or_b32 exec_lo, exec_lo, s24
	v_add_nc_u64_e32 v[10:11], s[14:15], v[10:11]
	s_delay_alu instid0(VALU_DEP_1) | instskip(SKIP_1) | instid1(SALU_CYCLE_1)
	v_cmp_le_i64_e32 vcc_lo, s[12:13], v[10:11]
	s_or_b32 s3, vcc_lo, s3
	s_and_not1_b32 exec_lo, exec_lo, s3
	s_cbranch_execz .LBB131_8
.LBB131_5:                              ; =>This Loop Header: Depth=1
                                        ;     Child Loop BB131_7 Depth 2
	s_delay_alu instid0(VALU_DEP_2) | instskip(SKIP_1) | instid1(VALU_DEP_1)
	v_lshlrev_b64_e32 v[12:13], 3, v[10:11]
	s_mov_b32 s24, exec_lo
	v_add_nc_u64_e32 v[14:15], s[6:7], v[12:13]
	v_add_nc_u64_e32 v[12:13], s[4:5], v[12:13]
	global_load_b64 v[16:17], v[14:15], off
	global_load_b64 v[18:19], v[12:13], off
	s_wait_loadcnt 0x1
	s_wait_xcnt 0x0
	v_sub_nc_u64_e64 v[12:13], v[16:17], s[20:21]
	s_wait_loadcnt 0x0
	v_add_nc_u64_e32 v[14:15], v[18:19], v[8:9]
	s_delay_alu instid0(VALU_DEP_1)
	v_cmpx_lt_i64_e64 v[14:15], v[12:13]
	s_cbranch_execz .LBB131_4
; %bb.6:                                ;   in Loop: Header=BB131_5 Depth=1
	v_lshl_add_u64 v[16:17], v[10:11], 4, s[16:17]
	s_mov_b32 s25, 0
	global_load_b128 v[20:23], v[16:17], off
	s_wait_loadcnt 0x0
	s_wait_xcnt 0x0
	v_mul_f64_e64 v[16:17], v[22:23], -v[4:5]
	v_mul_f64_e32 v[18:19], v[2:3], v[22:23]
	v_lshl_add_u64 v[22:23], v[14:15], 4, s[22:23]
	s_delay_alu instid0(VALU_DEP_3) | instskip(NEXT) | instid1(VALU_DEP_3)
	v_fmac_f64_e32 v[16:17], v[2:3], v[20:21]
	v_fmac_f64_e32 v[18:19], v[4:5], v[20:21]
	v_lshl_add_u64 v[20:21], v[14:15], 3, s[8:9]
.LBB131_7:                              ;   Parent Loop BB131_5 Depth=1
                                        ; =>  This Inner Loop Header: Depth=2
	global_load_b128 v[24:27], v[22:23], off offset:-8
	global_load_b64 v[28:29], v[20:21], off
	v_add_nc_u64_e32 v[14:15], 64, v[14:15]
	s_wait_xcnt 0x0
	v_add_nc_u64_e32 v[20:21], 0x200, v[20:21]
	v_add_nc_u64_e32 v[22:23], 0x400, v[22:23]
	s_delay_alu instid0(VALU_DEP_3) | instskip(SKIP_3) | instid1(VALU_DEP_1)
	v_cmp_ge_i64_e32 vcc_lo, v[14:15], v[12:13]
	s_or_b32 s25, vcc_lo, s25
	s_wait_loadcnt 0x1
	v_xor_b32_e32 v1, 0x80000000, v27
	v_cndmask_b32_e64 v27, v27, v1, s2
	s_delay_alu instid0(VALU_DEP_1) | instskip(SKIP_1) | instid1(VALU_DEP_2)
	v_mul_f64_e64 v[30:31], v[26:27], -v[18:19]
	v_mul_f64_e32 v[26:27], v[16:17], v[26:27]
	v_fmac_f64_e32 v[30:31], v[16:17], v[24:25]
	s_delay_alu instid0(VALU_DEP_2) | instskip(SKIP_2) | instid1(VALU_DEP_1)
	v_fmac_f64_e32 v[26:27], v[18:19], v[24:25]
	s_wait_loadcnt 0x0
	v_sub_nc_u64_e64 v[24:25], v[28:29], s[20:21]
	v_lshl_add_u64 v[24:25], v[24:25], 4, s[18:19]
	global_atomic_add_f64 v[24:25], v[30:31], off scope:SCOPE_DEV
	s_wait_xcnt 0x0
	global_atomic_add_f64 v[24:25], v[26:27], off offset:8 scope:SCOPE_DEV
	s_wait_xcnt 0x0
	s_and_not1_b32 exec_lo, exec_lo, s25
	s_cbranch_execnz .LBB131_7
	s_branch .LBB131_4
.LBB131_8:
	s_or_b32 exec_lo, exec_lo, s1
	s_mov_b32 s1, 0
.LBB131_9:
	s_delay_alu instid0(SALU_CYCLE_1)
	s_and_not1_b32 vcc_lo, exec_lo, s1
	s_cbranch_vccnz .LBB131_18
; %bb.10:
	s_and_b32 exec_lo, exec_lo, s0
	s_cbranch_execz .LBB131_18
; %bb.11:
	v_mov_b32_e32 v1, 0
	s_mov_b32 s21, 0
	s_wait_kmcnt 0x0
	s_add_nc_u64 s[0:1], s[10:11], 8
	s_mov_b32 s3, s21
	v_sub_nc_u64_e64 v[0:1], v[0:1], s[20:21]
	s_branch .LBB131_13
.LBB131_12:                             ;   in Loop: Header=BB131_13 Depth=1
	s_or_b32 exec_lo, exec_lo, s10
	v_add_nc_u64_e32 v[6:7], s[14:15], v[6:7]
	s_delay_alu instid0(VALU_DEP_1) | instskip(SKIP_1) | instid1(SALU_CYCLE_1)
	v_cmp_le_i64_e32 vcc_lo, s[12:13], v[6:7]
	s_or_b32 s3, vcc_lo, s3
	s_and_not1_b32 exec_lo, exec_lo, s3
	s_cbranch_execz .LBB131_18
.LBB131_13:                             ; =>This Loop Header: Depth=1
                                        ;     Child Loop BB131_16 Depth 2
	v_lshlrev_b64_e32 v[8:9], 3, v[6:7]
	s_mov_b32 s10, exec_lo
	s_delay_alu instid0(VALU_DEP_1)
	v_add_nc_u64_e32 v[10:11], s[6:7], v[8:9]
	v_add_nc_u64_e32 v[8:9], s[4:5], v[8:9]
	global_load_b64 v[12:13], v[10:11], off
	global_load_b64 v[14:15], v[8:9], off
	s_wait_loadcnt 0x1
	s_wait_xcnt 0x0
	v_sub_nc_u64_e64 v[8:9], v[12:13], s[20:21]
	s_wait_loadcnt 0x0
	v_add_nc_u64_e32 v[10:11], v[14:15], v[0:1]
	s_delay_alu instid0(VALU_DEP_1)
	v_cmpx_lt_i64_e64 v[10:11], v[8:9]
	s_cbranch_execz .LBB131_12
; %bb.14:                               ;   in Loop: Header=BB131_13 Depth=1
	v_lshl_add_u64 v[12:13], v[6:7], 4, s[16:17]
	s_mov_b32 s11, 0
	global_load_b128 v[16:19], v[12:13], off
	s_wait_loadcnt 0x0
	v_mul_f64_e64 v[12:13], v[18:19], -v[4:5]
	v_mul_f64_e32 v[14:15], v[2:3], v[18:19]
	v_lshl_add_u64 v[18:19], v[10:11], 4, s[0:1]
	s_delay_alu instid0(VALU_DEP_3) | instskip(NEXT) | instid1(VALU_DEP_3)
	v_fmac_f64_e32 v[12:13], v[2:3], v[16:17]
	v_fmac_f64_e32 v[14:15], v[4:5], v[16:17]
	v_lshl_add_u64 v[16:17], v[10:11], 3, s[8:9]
	s_branch .LBB131_16
.LBB131_15:                             ;   in Loop: Header=BB131_16 Depth=2
	s_wait_xcnt 0x0
	s_or_b32 exec_lo, exec_lo, s22
	v_add_nc_u64_e32 v[10:11], 64, v[10:11]
	v_add_nc_u64_e32 v[16:17], 0x200, v[16:17]
	;; [unrolled: 1-line block ×3, first 2 shown]
	s_delay_alu instid0(VALU_DEP_3) | instskip(SKIP_1) | instid1(SALU_CYCLE_1)
	v_cmp_ge_i64_e32 vcc_lo, v[10:11], v[8:9]
	s_or_b32 s11, vcc_lo, s11
	s_and_not1_b32 exec_lo, exec_lo, s11
	s_cbranch_execz .LBB131_12
.LBB131_16:                             ;   Parent Loop BB131_13 Depth=1
                                        ; =>  This Inner Loop Header: Depth=2
	global_load_b64 v[20:21], v[16:17], off
	s_mov_b32 s22, exec_lo
	s_wait_loadcnt 0x0
	v_sub_nc_u64_e64 v[20:21], v[20:21], s[20:21]
	s_wait_xcnt 0x0
	s_delay_alu instid0(VALU_DEP_1)
	v_cmpx_ne_u64_e64 v[20:21], v[6:7]
	s_cbranch_execz .LBB131_15
; %bb.17:                               ;   in Loop: Header=BB131_16 Depth=2
	global_load_b128 v[22:25], v[18:19], off offset:-8
	v_lshl_add_u64 v[20:21], v[20:21], 4, s[18:19]
	s_wait_loadcnt 0x0
	v_xor_b32_e32 v26, 0x80000000, v25
	s_delay_alu instid0(VALU_DEP_1) | instskip(NEXT) | instid1(VALU_DEP_1)
	v_cndmask_b32_e64 v25, v25, v26, s2
	v_mul_f64_e64 v[26:27], v[24:25], -v[14:15]
	v_mul_f64_e32 v[24:25], v[12:13], v[24:25]
	s_delay_alu instid0(VALU_DEP_2) | instskip(NEXT) | instid1(VALU_DEP_2)
	v_fmac_f64_e32 v[26:27], v[12:13], v[22:23]
	v_fmac_f64_e32 v[24:25], v[14:15], v[22:23]
	s_wait_xcnt 0x0
	global_atomic_add_f64 v[20:21], v[26:27], off scope:SCOPE_DEV
	s_wait_xcnt 0x0
	global_atomic_add_f64 v[20:21], v[24:25], off offset:8 scope:SCOPE_DEV
	s_branch .LBB131_15
.LBB131_18:
	s_endpgm
	.section	.rodata,"a",@progbits
	.p2align	6, 0x0
	.amdhsa_kernel _ZN9rocsparseL21csrmvt_general_kernelILj256ELj64Ell21rocsparse_complex_numIdES2_S2_S2_EEvbbT2_NS_24const_host_device_scalarIT6_EEPKT1_S9_PKS3_PKT3_PKT4_PT5_21rocsparse_index_base_b
		.amdhsa_group_segment_fixed_size 0
		.amdhsa_private_segment_fixed_size 0
		.amdhsa_kernarg_size 344
		.amdhsa_user_sgpr_count 2
		.amdhsa_user_sgpr_dispatch_ptr 0
		.amdhsa_user_sgpr_queue_ptr 0
		.amdhsa_user_sgpr_kernarg_segment_ptr 1
		.amdhsa_user_sgpr_dispatch_id 0
		.amdhsa_user_sgpr_kernarg_preload_length 0
		.amdhsa_user_sgpr_kernarg_preload_offset 0
		.amdhsa_user_sgpr_private_segment_size 0
		.amdhsa_wavefront_size32 1
		.amdhsa_uses_dynamic_stack 0
		.amdhsa_enable_private_segment 0
		.amdhsa_system_sgpr_workgroup_id_x 1
		.amdhsa_system_sgpr_workgroup_id_y 0
		.amdhsa_system_sgpr_workgroup_id_z 0
		.amdhsa_system_sgpr_workgroup_info 0
		.amdhsa_system_vgpr_workitem_id 0
		.amdhsa_next_free_vgpr 32
		.amdhsa_next_free_sgpr 26
		.amdhsa_named_barrier_count 0
		.amdhsa_reserve_vcc 1
		.amdhsa_float_round_mode_32 0
		.amdhsa_float_round_mode_16_64 0
		.amdhsa_float_denorm_mode_32 3
		.amdhsa_float_denorm_mode_16_64 3
		.amdhsa_fp16_overflow 0
		.amdhsa_memory_ordered 1
		.amdhsa_forward_progress 1
		.amdhsa_inst_pref_size 9
		.amdhsa_round_robin_scheduling 0
		.amdhsa_exception_fp_ieee_invalid_op 0
		.amdhsa_exception_fp_denorm_src 0
		.amdhsa_exception_fp_ieee_div_zero 0
		.amdhsa_exception_fp_ieee_overflow 0
		.amdhsa_exception_fp_ieee_underflow 0
		.amdhsa_exception_fp_ieee_inexact 0
		.amdhsa_exception_int_div_zero 0
	.end_amdhsa_kernel
	.section	.text._ZN9rocsparseL21csrmvt_general_kernelILj256ELj64Ell21rocsparse_complex_numIdES2_S2_S2_EEvbbT2_NS_24const_host_device_scalarIT6_EEPKT1_S9_PKS3_PKT3_PKT4_PT5_21rocsparse_index_base_b,"axG",@progbits,_ZN9rocsparseL21csrmvt_general_kernelILj256ELj64Ell21rocsparse_complex_numIdES2_S2_S2_EEvbbT2_NS_24const_host_device_scalarIT6_EEPKT1_S9_PKS3_PKT3_PKT4_PT5_21rocsparse_index_base_b,comdat
.Lfunc_end131:
	.size	_ZN9rocsparseL21csrmvt_general_kernelILj256ELj64Ell21rocsparse_complex_numIdES2_S2_S2_EEvbbT2_NS_24const_host_device_scalarIT6_EEPKT1_S9_PKS3_PKT3_PKT4_PT5_21rocsparse_index_base_b, .Lfunc_end131-_ZN9rocsparseL21csrmvt_general_kernelILj256ELj64Ell21rocsparse_complex_numIdES2_S2_S2_EEvbbT2_NS_24const_host_device_scalarIT6_EEPKT1_S9_PKS3_PKT3_PKT4_PT5_21rocsparse_index_base_b
                                        ; -- End function
	.set _ZN9rocsparseL21csrmvt_general_kernelILj256ELj64Ell21rocsparse_complex_numIdES2_S2_S2_EEvbbT2_NS_24const_host_device_scalarIT6_EEPKT1_S9_PKS3_PKT3_PKT4_PT5_21rocsparse_index_base_b.num_vgpr, 32
	.set _ZN9rocsparseL21csrmvt_general_kernelILj256ELj64Ell21rocsparse_complex_numIdES2_S2_S2_EEvbbT2_NS_24const_host_device_scalarIT6_EEPKT1_S9_PKS3_PKT3_PKT4_PT5_21rocsparse_index_base_b.num_agpr, 0
	.set _ZN9rocsparseL21csrmvt_general_kernelILj256ELj64Ell21rocsparse_complex_numIdES2_S2_S2_EEvbbT2_NS_24const_host_device_scalarIT6_EEPKT1_S9_PKS3_PKT3_PKT4_PT5_21rocsparse_index_base_b.numbered_sgpr, 26
	.set _ZN9rocsparseL21csrmvt_general_kernelILj256ELj64Ell21rocsparse_complex_numIdES2_S2_S2_EEvbbT2_NS_24const_host_device_scalarIT6_EEPKT1_S9_PKS3_PKT3_PKT4_PT5_21rocsparse_index_base_b.num_named_barrier, 0
	.set _ZN9rocsparseL21csrmvt_general_kernelILj256ELj64Ell21rocsparse_complex_numIdES2_S2_S2_EEvbbT2_NS_24const_host_device_scalarIT6_EEPKT1_S9_PKS3_PKT3_PKT4_PT5_21rocsparse_index_base_b.private_seg_size, 0
	.set _ZN9rocsparseL21csrmvt_general_kernelILj256ELj64Ell21rocsparse_complex_numIdES2_S2_S2_EEvbbT2_NS_24const_host_device_scalarIT6_EEPKT1_S9_PKS3_PKT3_PKT4_PT5_21rocsparse_index_base_b.uses_vcc, 1
	.set _ZN9rocsparseL21csrmvt_general_kernelILj256ELj64Ell21rocsparse_complex_numIdES2_S2_S2_EEvbbT2_NS_24const_host_device_scalarIT6_EEPKT1_S9_PKS3_PKT3_PKT4_PT5_21rocsparse_index_base_b.uses_flat_scratch, 0
	.set _ZN9rocsparseL21csrmvt_general_kernelILj256ELj64Ell21rocsparse_complex_numIdES2_S2_S2_EEvbbT2_NS_24const_host_device_scalarIT6_EEPKT1_S9_PKS3_PKT3_PKT4_PT5_21rocsparse_index_base_b.has_dyn_sized_stack, 0
	.set _ZN9rocsparseL21csrmvt_general_kernelILj256ELj64Ell21rocsparse_complex_numIdES2_S2_S2_EEvbbT2_NS_24const_host_device_scalarIT6_EEPKT1_S9_PKS3_PKT3_PKT4_PT5_21rocsparse_index_base_b.has_recursion, 0
	.set _ZN9rocsparseL21csrmvt_general_kernelILj256ELj64Ell21rocsparse_complex_numIdES2_S2_S2_EEvbbT2_NS_24const_host_device_scalarIT6_EEPKT1_S9_PKS3_PKT3_PKT4_PT5_21rocsparse_index_base_b.has_indirect_call, 0
	.section	.AMDGPU.csdata,"",@progbits
; Kernel info:
; codeLenInByte = 1084
; TotalNumSgprs: 28
; NumVgprs: 32
; ScratchSize: 0
; MemoryBound: 0
; FloatMode: 240
; IeeeMode: 1
; LDSByteSize: 0 bytes/workgroup (compile time only)
; SGPRBlocks: 0
; VGPRBlocks: 1
; NumSGPRsForWavesPerEU: 28
; NumVGPRsForWavesPerEU: 32
; NamedBarCnt: 0
; Occupancy: 16
; WaveLimiterHint : 1
; COMPUTE_PGM_RSRC2:SCRATCH_EN: 0
; COMPUTE_PGM_RSRC2:USER_SGPR: 2
; COMPUTE_PGM_RSRC2:TRAP_HANDLER: 0
; COMPUTE_PGM_RSRC2:TGID_X_EN: 1
; COMPUTE_PGM_RSRC2:TGID_Y_EN: 0
; COMPUTE_PGM_RSRC2:TGID_Z_EN: 0
; COMPUTE_PGM_RSRC2:TIDIG_COMP_CNT: 0
	.section	.text._ZN9rocsparseL21csrmvn_general_kernelILj256ELj2EiiaaiiEEvbT2_NS_24const_host_device_scalarIT6_EEPKT1_S7_PKS1_PKT3_PKT4_S4_PT5_21rocsparse_index_base_b,"axG",@progbits,_ZN9rocsparseL21csrmvn_general_kernelILj256ELj2EiiaaiiEEvbT2_NS_24const_host_device_scalarIT6_EEPKT1_S7_PKS1_PKT3_PKT4_S4_PT5_21rocsparse_index_base_b,comdat
	.globl	_ZN9rocsparseL21csrmvn_general_kernelILj256ELj2EiiaaiiEEvbT2_NS_24const_host_device_scalarIT6_EEPKT1_S7_PKS1_PKT3_PKT4_S4_PT5_21rocsparse_index_base_b ; -- Begin function _ZN9rocsparseL21csrmvn_general_kernelILj256ELj2EiiaaiiEEvbT2_NS_24const_host_device_scalarIT6_EEPKT1_S7_PKS1_PKT3_PKT4_S4_PT5_21rocsparse_index_base_b
	.p2align	8
	.type	_ZN9rocsparseL21csrmvn_general_kernelILj256ELj2EiiaaiiEEvbT2_NS_24const_host_device_scalarIT6_EEPKT1_S7_PKS1_PKT3_PKT4_S4_PT5_21rocsparse_index_base_b,@function
_ZN9rocsparseL21csrmvn_general_kernelILj256ELj2EiiaaiiEEvbT2_NS_24const_host_device_scalarIT6_EEPKT1_S7_PKS1_PKT3_PKT4_S4_PT5_21rocsparse_index_base_b: ; @_ZN9rocsparseL21csrmvn_general_kernelILj256ELj2EiiaaiiEEvbT2_NS_24const_host_device_scalarIT6_EEPKT1_S7_PKS1_PKT3_PKT4_S4_PT5_21rocsparse_index_base_b
; %bb.0:
	s_clause 0x1
	s_load_b64 s[2:3], s[0:1], 0x48
	s_load_b128 s[12:15], s[0:1], 0x8
	s_mov_b32 s6, -1
                                        ; implicit-def: $sgpr16
	s_wait_kmcnt 0x0
	s_bitcmp1_b32 s3, 0
	s_cselect_b32 s3, -1, 0
	s_delay_alu instid0(SALU_CYCLE_1) | instskip(NEXT) | instid1(SALU_CYCLE_1)
	s_xor_b32 s3, s3, -1
	s_and_b32 vcc_lo, exec_lo, s3
	s_cbranch_vccnz .LBB132_4
; %bb.1:
	s_load_b64 s[4:5], s[0:1], 0x38
	s_and_not1_b32 vcc_lo, exec_lo, s6
	s_cbranch_vccz .LBB132_5
.LBB132_2:
	s_and_b32 vcc_lo, exec_lo, s3
	s_cbranch_vccz .LBB132_6
.LBB132_3:
	s_wait_kmcnt 0x0
	s_load_b32 s17, s[4:5], 0x0
	s_cbranch_execz .LBB132_7
	s_branch .LBB132_8
.LBB132_4:
	s_load_b32 s16, s[12:13], 0x0
	s_load_b64 s[4:5], s[0:1], 0x38
	s_cbranch_execnz .LBB132_2
.LBB132_5:
	s_wait_kmcnt 0x0
	s_mov_b32 s16, s12
	s_and_b32 vcc_lo, exec_lo, s3
	s_cbranch_vccnz .LBB132_3
.LBB132_6:
                                        ; implicit-def: $sgpr17
.LBB132_7:
	s_wait_kmcnt 0x0
	s_mov_b32 s17, s4
.LBB132_8:
	s_wait_kmcnt 0x0
	s_cmp_lg_u32 s16, 0
	s_cselect_b32 s3, -1, 0
	s_cmp_lg_u32 s17, 1
	s_cselect_b32 s4, -1, 0
	s_delay_alu instid0(SALU_CYCLE_1) | instskip(NEXT) | instid1(SALU_CYCLE_1)
	s_or_b32 s3, s3, s4
	s_and_not1_b32 vcc_lo, exec_lo, s3
	s_cbranch_vccnz .LBB132_28
; %bb.9:
	s_bfe_u32 s3, ttmp6, 0x4000c
	s_load_b32 s18, s[0:1], 0x4
	s_add_co_i32 s3, s3, 1
	s_and_b32 s4, ttmp6, 15
	s_mul_i32 s3, ttmp9, s3
	s_getreg_b32 s5, hwreg(HW_REG_IB_STS2, 6, 4)
	s_add_co_i32 s4, s4, s3
	s_cmp_eq_u32 s5, 0
	s_cselect_b32 s3, ttmp9, s4
	s_delay_alu instid0(SALU_CYCLE_1) | instskip(SKIP_1) | instid1(VALU_DEP_1)
	v_lshl_or_b32 v1, s3, 8, v0
	s_mov_b32 s3, exec_lo
	v_lshrrev_b32_e32 v2, 1, v1
	s_wait_kmcnt 0x0
	s_delay_alu instid0(VALU_DEP_1)
	v_cmpx_gt_i32_e64 s18, v2
	s_cbranch_execz .LBB132_28
; %bb.10:
	v_mbcnt_lo_u32_b32 v1, -1, 0
	s_clause 0x2
	s_load_b32 s19, s[0:1], 0x50
	s_load_b256 s[4:11], s[0:1], 0x18
	s_load_b64 s[12:13], s[0:1], 0x40
	s_ashr_i32 s3, s2, 31
	s_delay_alu instid0(SALU_CYCLE_1) | instskip(SKIP_1) | instid1(VALU_DEP_1)
	s_sub_nc_u64 s[20:21], 0, s[2:3]
	v_xor_b32_e32 v3, 1, v1
	v_cmp_gt_i32_e32 vcc_lo, 32, v3
	v_dual_cndmask_b32 v1, v1, v3, vcc_lo :: v_dual_bitop2_b32 v0, 1, v0 bitop3:0x40
	s_delay_alu instid0(VALU_DEP_1)
	v_or_b32_e32 v4, 2, v0
	v_subrev_nc_u32_e32 v6, s2, v0
	s_wait_xcnt 0x0
	v_cmp_eq_u32_e64 s0, 1, v0
	v_xad_u32 v7, v0, -1, s2
	s_wait_kmcnt 0x0
	s_lshl_b32 s1, s19, 7
	v_subrev_nc_u32_e32 v8, s2, v4
	v_lshlrev_b32_e32 v9, 2, v1
	s_cmp_lg_u32 s17, 0
	s_add_nc_u64 s[10:11], s[10:11], s[20:21]
	s_cselect_b32 s3, -1, 0
	s_mov_b32 s19, 0
	s_mov_b32 s20, s16
	s_branch .LBB132_13
.LBB132_11:                             ;   in Loop: Header=BB132_13 Depth=1
	global_store_b32 v[0:1], v4, off
.LBB132_12:                             ;   in Loop: Header=BB132_13 Depth=1
	s_wait_xcnt 0x0
	s_or_b32 exec_lo, exec_lo, s21
	v_add_nc_u32_e32 v2, s1, v2
	s_delay_alu instid0(VALU_DEP_1) | instskip(SKIP_1) | instid1(SALU_CYCLE_1)
	v_cmp_le_i32_e32 vcc_lo, s18, v2
	s_or_b32 s19, vcc_lo, s19
	s_and_not1_b32 exec_lo, exec_lo, s19
	s_cbranch_execz .LBB132_28
.LBB132_13:                             ; =>This Loop Header: Depth=1
                                        ;     Child Loop BB132_17 Depth 2
                                        ;     Child Loop BB132_22 Depth 2
	s_wait_dscnt 0x0
	s_clause 0x1
	global_load_b32 v0, v2, s[4:5] scale_offset
	global_load_b32 v4, v2, s[14:15] scale_offset
	s_mov_b32 s21, exec_lo
	v_mov_b32_e32 v1, 0
	s_wait_loadcnt 0x1
	v_subrev_nc_u32_e32 v3, s2, v0
	s_wait_loadcnt 0x0
	v_add_nc_u32_e32 v0, v4, v6
	s_wait_xcnt 0x0
	s_delay_alu instid0(VALU_DEP_1)
	v_cmpx_lt_i32_e64 v0, v3
	s_cbranch_execz .LBB132_25
; %bb.14:                               ;   in Loop: Header=BB132_13 Depth=1
	v_add_max_i32_e64 v1, v8, v4, v3
	s_mov_b32 s23, exec_lo
	s_delay_alu instid0(VALU_DEP_1) | instskip(NEXT) | instid1(VALU_DEP_1)
	v_add_nc_u32_e32 v1, v7, v1
	v_dual_mov_b32 v1, 0 :: v_dual_sub_nc_u32 v4, v1, v4
	s_delay_alu instid0(VALU_DEP_1)
	v_cmp_gt_u32_e64 s22, 26, v4
	v_cmpx_lt_u32_e32 25, v4
	s_cbranch_execz .LBB132_20
; %bb.15:                               ;   in Loop: Header=BB132_13 Depth=1
	v_and_b32_e32 v1, -2, v4
	s_mov_b32 s25, -1
	s_delay_alu instid0(VALU_DEP_1) | instskip(NEXT) | instid1(VALU_DEP_1)
	v_add_nc_u32_e32 v1, v0, v1
	v_cmp_ge_i32_e32 vcc_lo, v1, v0
	v_mov_b32_e32 v1, 0
	s_and_saveexec_b32 s24, vcc_lo
	s_cbranch_execz .LBB132_19
; %bb.16:                               ;   in Loop: Header=BB132_13 Depth=1
	v_dual_mov_b32 v12, 0 :: v_dual_lshrrev_b32 v1, 1, v4
	v_mov_b32_e32 v13, 0
	s_mov_b32 s25, 0
	s_delay_alu instid0(VALU_DEP_2) | instskip(NEXT) | instid1(VALU_DEP_1)
	v_dual_add_nc_u32 v10, 1, v1 :: v_dual_add_nc_u32 v1, 2, v0
	v_and_b32_e32 v11, -2, v10
	s_delay_alu instid0(VALU_DEP_2) | instskip(NEXT) | instid1(VALU_DEP_2)
	v_mov_b64_e32 v[4:5], v[0:1]
	v_mov_b32_e32 v14, v11
.LBB132_17:                             ;   Parent Loop BB132_13 Depth=1
                                        ; =>  This Inner Loop Header: Depth=2
	s_clause 0x1
	global_load_b32 v1, v5, s[6:7] scale_offset
	global_load_b32 v15, v4, s[6:7] scale_offset
	s_clause 0x1
	global_load_i8 v16, v5, s[8:9]
	global_load_i8 v17, v4, s[8:9]
	s_wait_xcnt 0x1
	v_dual_add_nc_u32 v14, -2, v14 :: v_dual_add_nc_u32 v5, 4, v5
	s_wait_xcnt 0x0
	v_add_nc_u32_e32 v4, 4, v4
	s_wait_loadcnt 0x3
	global_load_i8 v18, v1, s[10:11]
	s_wait_loadcnt 0x3
	global_load_i8 v19, v15, s[10:11]
	s_wait_loadcnt 0x3
	s_wait_xcnt 0x1
	v_mul_lo_u32 v1, s20, v16
	s_wait_loadcnt 0x2
	s_wait_xcnt 0x0
	v_mul_lo_u32 v15, s16, v17
	v_cmp_eq_u32_e32 vcc_lo, 0, v14
	s_or_b32 s25, vcc_lo, s25
	s_wait_loadcnt 0x1
	s_delay_alu instid0(VALU_DEP_3) | instskip(SKIP_1) | instid1(VALU_DEP_3)
	v_mad_u32 v13, v1, v18, v13
	s_wait_loadcnt 0x0
	v_mad_u32 v12, v15, v19, v12
	s_and_not1_b32 exec_lo, exec_lo, s25
	s_cbranch_execnz .LBB132_17
; %bb.18:                               ;   in Loop: Header=BB132_13 Depth=1
	s_or_b32 exec_lo, exec_lo, s25
	v_cmp_ne_u32_e32 vcc_lo, v10, v11
	v_lshl_add_u32 v0, v11, 1, v0
	s_delay_alu instid0(VALU_DEP_3)
	v_add_nc_u32_e32 v1, v12, v13
	s_or_not1_b32 s25, vcc_lo, exec_lo
.LBB132_19:                             ;   in Loop: Header=BB132_13 Depth=1
	s_or_b32 exec_lo, exec_lo, s24
	s_delay_alu instid0(SALU_CYCLE_1) | instskip(SKIP_1) | instid1(SALU_CYCLE_1)
	s_and_not1_b32 s22, s22, exec_lo
	s_and_b32 s24, s25, exec_lo
	s_or_b32 s22, s22, s24
.LBB132_20:                             ;   in Loop: Header=BB132_13 Depth=1
	s_or_b32 exec_lo, exec_lo, s23
	s_and_saveexec_b32 s23, s22
	s_cbranch_execz .LBB132_24
; %bb.21:                               ;   in Loop: Header=BB132_13 Depth=1
	s_mov_b32 s22, 0
.LBB132_22:                             ;   Parent Loop BB132_13 Depth=1
                                        ; =>  This Inner Loop Header: Depth=2
	s_clause 0x1
	global_load_b32 v4, v0, s[6:7] scale_offset
	global_load_i8 v5, v0, s[8:9]
	s_wait_xcnt 0x0
	v_add_nc_u32_e32 v0, 2, v0
	s_delay_alu instid0(VALU_DEP_1)
	v_cmp_ge_i32_e32 vcc_lo, v0, v3
	s_or_b32 s22, vcc_lo, s22
	s_wait_loadcnt 0x1
	global_load_i8 v4, v4, s[10:11]
	s_wait_loadcnt 0x1
	v_mul_lo_u32 v5, s16, v5
	s_wait_loadcnt 0x0
	s_delay_alu instid0(VALU_DEP_1)
	v_mad_u32 v1, v5, v4, v1
	s_wait_xcnt 0x0
	s_and_not1_b32 exec_lo, exec_lo, s22
	s_cbranch_execnz .LBB132_22
; %bb.23:                               ;   in Loop: Header=BB132_13 Depth=1
	s_or_b32 exec_lo, exec_lo, s22
.LBB132_24:                             ;   in Loop: Header=BB132_13 Depth=1
	s_delay_alu instid0(SALU_CYCLE_1)
	s_or_b32 exec_lo, exec_lo, s23
.LBB132_25:                             ;   in Loop: Header=BB132_13 Depth=1
	s_delay_alu instid0(SALU_CYCLE_1)
	s_or_b32 exec_lo, exec_lo, s21
	ds_bpermute_b32 v0, v9, v1
	v_ashrrev_i32_e32 v3, 31, v2
	s_and_saveexec_b32 s21, s0
	s_cbranch_execz .LBB132_12
; %bb.26:                               ;   in Loop: Header=BB132_13 Depth=1
	s_wait_dscnt 0x0
	v_add_nc_u32_e32 v4, v0, v1
	v_lshl_add_u64 v[0:1], v[2:3], 2, s[12:13]
	s_and_not1_b32 vcc_lo, exec_lo, s3
	s_cbranch_vccnz .LBB132_11
; %bb.27:                               ;   in Loop: Header=BB132_13 Depth=1
	global_load_b32 v3, v[0:1], off
	s_wait_loadcnt 0x0
	v_mad_u32 v4, v3, s17, v4
	s_branch .LBB132_11
.LBB132_28:
	s_endpgm
	.section	.rodata,"a",@progbits
	.p2align	6, 0x0
	.amdhsa_kernel _ZN9rocsparseL21csrmvn_general_kernelILj256ELj2EiiaaiiEEvbT2_NS_24const_host_device_scalarIT6_EEPKT1_S7_PKS1_PKT3_PKT4_S4_PT5_21rocsparse_index_base_b
		.amdhsa_group_segment_fixed_size 0
		.amdhsa_private_segment_fixed_size 0
		.amdhsa_kernarg_size 336
		.amdhsa_user_sgpr_count 2
		.amdhsa_user_sgpr_dispatch_ptr 0
		.amdhsa_user_sgpr_queue_ptr 0
		.amdhsa_user_sgpr_kernarg_segment_ptr 1
		.amdhsa_user_sgpr_dispatch_id 0
		.amdhsa_user_sgpr_kernarg_preload_length 0
		.amdhsa_user_sgpr_kernarg_preload_offset 0
		.amdhsa_user_sgpr_private_segment_size 0
		.amdhsa_wavefront_size32 1
		.amdhsa_uses_dynamic_stack 0
		.amdhsa_enable_private_segment 0
		.amdhsa_system_sgpr_workgroup_id_x 1
		.amdhsa_system_sgpr_workgroup_id_y 0
		.amdhsa_system_sgpr_workgroup_id_z 0
		.amdhsa_system_sgpr_workgroup_info 0
		.amdhsa_system_vgpr_workitem_id 0
		.amdhsa_next_free_vgpr 20
		.amdhsa_next_free_sgpr 26
		.amdhsa_named_barrier_count 0
		.amdhsa_reserve_vcc 1
		.amdhsa_float_round_mode_32 0
		.amdhsa_float_round_mode_16_64 0
		.amdhsa_float_denorm_mode_32 3
		.amdhsa_float_denorm_mode_16_64 3
		.amdhsa_fp16_overflow 0
		.amdhsa_memory_ordered 1
		.amdhsa_forward_progress 1
		.amdhsa_inst_pref_size 9
		.amdhsa_round_robin_scheduling 0
		.amdhsa_exception_fp_ieee_invalid_op 0
		.amdhsa_exception_fp_denorm_src 0
		.amdhsa_exception_fp_ieee_div_zero 0
		.amdhsa_exception_fp_ieee_overflow 0
		.amdhsa_exception_fp_ieee_underflow 0
		.amdhsa_exception_fp_ieee_inexact 0
		.amdhsa_exception_int_div_zero 0
	.end_amdhsa_kernel
	.section	.text._ZN9rocsparseL21csrmvn_general_kernelILj256ELj2EiiaaiiEEvbT2_NS_24const_host_device_scalarIT6_EEPKT1_S7_PKS1_PKT3_PKT4_S4_PT5_21rocsparse_index_base_b,"axG",@progbits,_ZN9rocsparseL21csrmvn_general_kernelILj256ELj2EiiaaiiEEvbT2_NS_24const_host_device_scalarIT6_EEPKT1_S7_PKS1_PKT3_PKT4_S4_PT5_21rocsparse_index_base_b,comdat
.Lfunc_end132:
	.size	_ZN9rocsparseL21csrmvn_general_kernelILj256ELj2EiiaaiiEEvbT2_NS_24const_host_device_scalarIT6_EEPKT1_S7_PKS1_PKT3_PKT4_S4_PT5_21rocsparse_index_base_b, .Lfunc_end132-_ZN9rocsparseL21csrmvn_general_kernelILj256ELj2EiiaaiiEEvbT2_NS_24const_host_device_scalarIT6_EEPKT1_S7_PKS1_PKT3_PKT4_S4_PT5_21rocsparse_index_base_b
                                        ; -- End function
	.set _ZN9rocsparseL21csrmvn_general_kernelILj256ELj2EiiaaiiEEvbT2_NS_24const_host_device_scalarIT6_EEPKT1_S7_PKS1_PKT3_PKT4_S4_PT5_21rocsparse_index_base_b.num_vgpr, 20
	.set _ZN9rocsparseL21csrmvn_general_kernelILj256ELj2EiiaaiiEEvbT2_NS_24const_host_device_scalarIT6_EEPKT1_S7_PKS1_PKT3_PKT4_S4_PT5_21rocsparse_index_base_b.num_agpr, 0
	.set _ZN9rocsparseL21csrmvn_general_kernelILj256ELj2EiiaaiiEEvbT2_NS_24const_host_device_scalarIT6_EEPKT1_S7_PKS1_PKT3_PKT4_S4_PT5_21rocsparse_index_base_b.numbered_sgpr, 26
	.set _ZN9rocsparseL21csrmvn_general_kernelILj256ELj2EiiaaiiEEvbT2_NS_24const_host_device_scalarIT6_EEPKT1_S7_PKS1_PKT3_PKT4_S4_PT5_21rocsparse_index_base_b.num_named_barrier, 0
	.set _ZN9rocsparseL21csrmvn_general_kernelILj256ELj2EiiaaiiEEvbT2_NS_24const_host_device_scalarIT6_EEPKT1_S7_PKS1_PKT3_PKT4_S4_PT5_21rocsparse_index_base_b.private_seg_size, 0
	.set _ZN9rocsparseL21csrmvn_general_kernelILj256ELj2EiiaaiiEEvbT2_NS_24const_host_device_scalarIT6_EEPKT1_S7_PKS1_PKT3_PKT4_S4_PT5_21rocsparse_index_base_b.uses_vcc, 1
	.set _ZN9rocsparseL21csrmvn_general_kernelILj256ELj2EiiaaiiEEvbT2_NS_24const_host_device_scalarIT6_EEPKT1_S7_PKS1_PKT3_PKT4_S4_PT5_21rocsparse_index_base_b.uses_flat_scratch, 0
	.set _ZN9rocsparseL21csrmvn_general_kernelILj256ELj2EiiaaiiEEvbT2_NS_24const_host_device_scalarIT6_EEPKT1_S7_PKS1_PKT3_PKT4_S4_PT5_21rocsparse_index_base_b.has_dyn_sized_stack, 0
	.set _ZN9rocsparseL21csrmvn_general_kernelILj256ELj2EiiaaiiEEvbT2_NS_24const_host_device_scalarIT6_EEPKT1_S7_PKS1_PKT3_PKT4_S4_PT5_21rocsparse_index_base_b.has_recursion, 0
	.set _ZN9rocsparseL21csrmvn_general_kernelILj256ELj2EiiaaiiEEvbT2_NS_24const_host_device_scalarIT6_EEPKT1_S7_PKS1_PKT3_PKT4_S4_PT5_21rocsparse_index_base_b.has_indirect_call, 0
	.section	.AMDGPU.csdata,"",@progbits
; Kernel info:
; codeLenInByte = 1100
; TotalNumSgprs: 28
; NumVgprs: 20
; ScratchSize: 0
; MemoryBound: 0
; FloatMode: 240
; IeeeMode: 1
; LDSByteSize: 0 bytes/workgroup (compile time only)
; SGPRBlocks: 0
; VGPRBlocks: 1
; NumSGPRsForWavesPerEU: 28
; NumVGPRsForWavesPerEU: 20
; NamedBarCnt: 0
; Occupancy: 16
; WaveLimiterHint : 1
; COMPUTE_PGM_RSRC2:SCRATCH_EN: 0
; COMPUTE_PGM_RSRC2:USER_SGPR: 2
; COMPUTE_PGM_RSRC2:TRAP_HANDLER: 0
; COMPUTE_PGM_RSRC2:TGID_X_EN: 1
; COMPUTE_PGM_RSRC2:TGID_Y_EN: 0
; COMPUTE_PGM_RSRC2:TGID_Z_EN: 0
; COMPUTE_PGM_RSRC2:TIDIG_COMP_CNT: 0
	.section	.text._ZN9rocsparseL21csrmvn_general_kernelILj256ELj4EiiaaiiEEvbT2_NS_24const_host_device_scalarIT6_EEPKT1_S7_PKS1_PKT3_PKT4_S4_PT5_21rocsparse_index_base_b,"axG",@progbits,_ZN9rocsparseL21csrmvn_general_kernelILj256ELj4EiiaaiiEEvbT2_NS_24const_host_device_scalarIT6_EEPKT1_S7_PKS1_PKT3_PKT4_S4_PT5_21rocsparse_index_base_b,comdat
	.globl	_ZN9rocsparseL21csrmvn_general_kernelILj256ELj4EiiaaiiEEvbT2_NS_24const_host_device_scalarIT6_EEPKT1_S7_PKS1_PKT3_PKT4_S4_PT5_21rocsparse_index_base_b ; -- Begin function _ZN9rocsparseL21csrmvn_general_kernelILj256ELj4EiiaaiiEEvbT2_NS_24const_host_device_scalarIT6_EEPKT1_S7_PKS1_PKT3_PKT4_S4_PT5_21rocsparse_index_base_b
	.p2align	8
	.type	_ZN9rocsparseL21csrmvn_general_kernelILj256ELj4EiiaaiiEEvbT2_NS_24const_host_device_scalarIT6_EEPKT1_S7_PKS1_PKT3_PKT4_S4_PT5_21rocsparse_index_base_b,@function
_ZN9rocsparseL21csrmvn_general_kernelILj256ELj4EiiaaiiEEvbT2_NS_24const_host_device_scalarIT6_EEPKT1_S7_PKS1_PKT3_PKT4_S4_PT5_21rocsparse_index_base_b: ; @_ZN9rocsparseL21csrmvn_general_kernelILj256ELj4EiiaaiiEEvbT2_NS_24const_host_device_scalarIT6_EEPKT1_S7_PKS1_PKT3_PKT4_S4_PT5_21rocsparse_index_base_b
; %bb.0:
	s_clause 0x1
	s_load_b64 s[2:3], s[0:1], 0x48
	s_load_b128 s[12:15], s[0:1], 0x8
	s_mov_b32 s6, -1
                                        ; implicit-def: $sgpr16
	s_wait_kmcnt 0x0
	s_bitcmp1_b32 s3, 0
	s_cselect_b32 s3, -1, 0
	s_delay_alu instid0(SALU_CYCLE_1) | instskip(NEXT) | instid1(SALU_CYCLE_1)
	s_xor_b32 s3, s3, -1
	s_and_b32 vcc_lo, exec_lo, s3
	s_cbranch_vccnz .LBB133_4
; %bb.1:
	s_load_b64 s[4:5], s[0:1], 0x38
	s_and_not1_b32 vcc_lo, exec_lo, s6
	s_cbranch_vccz .LBB133_5
.LBB133_2:
	s_and_b32 vcc_lo, exec_lo, s3
	s_cbranch_vccz .LBB133_6
.LBB133_3:
	s_wait_kmcnt 0x0
	s_load_b32 s17, s[4:5], 0x0
	s_cbranch_execz .LBB133_7
	s_branch .LBB133_8
.LBB133_4:
	s_load_b32 s16, s[12:13], 0x0
	s_load_b64 s[4:5], s[0:1], 0x38
	s_cbranch_execnz .LBB133_2
.LBB133_5:
	s_wait_kmcnt 0x0
	s_mov_b32 s16, s12
	s_and_b32 vcc_lo, exec_lo, s3
	s_cbranch_vccnz .LBB133_3
.LBB133_6:
                                        ; implicit-def: $sgpr17
.LBB133_7:
	s_wait_kmcnt 0x0
	s_mov_b32 s17, s4
.LBB133_8:
	s_wait_kmcnt 0x0
	s_cmp_lg_u32 s16, 0
	s_cselect_b32 s3, -1, 0
	s_cmp_lg_u32 s17, 1
	s_cselect_b32 s4, -1, 0
	s_delay_alu instid0(SALU_CYCLE_1) | instskip(NEXT) | instid1(SALU_CYCLE_1)
	s_or_b32 s3, s3, s4
	s_and_not1_b32 vcc_lo, exec_lo, s3
	s_cbranch_vccnz .LBB133_28
; %bb.9:
	s_bfe_u32 s3, ttmp6, 0x4000c
	s_load_b32 s18, s[0:1], 0x4
	s_add_co_i32 s3, s3, 1
	s_and_b32 s4, ttmp6, 15
	s_mul_i32 s3, ttmp9, s3
	s_getreg_b32 s5, hwreg(HW_REG_IB_STS2, 6, 4)
	s_add_co_i32 s4, s4, s3
	s_cmp_eq_u32 s5, 0
	s_cselect_b32 s3, ttmp9, s4
	s_delay_alu instid0(SALU_CYCLE_1) | instskip(SKIP_1) | instid1(VALU_DEP_1)
	v_lshl_or_b32 v1, s3, 8, v0
	s_mov_b32 s3, exec_lo
	v_lshrrev_b32_e32 v2, 2, v1
	s_wait_kmcnt 0x0
	s_delay_alu instid0(VALU_DEP_1)
	v_cmpx_gt_i32_e64 s18, v2
	s_cbranch_execz .LBB133_28
; %bb.10:
	v_mbcnt_lo_u32_b32 v1, -1, 0
	s_clause 0x2
	s_load_b32 s19, s[0:1], 0x50
	s_load_b256 s[4:11], s[0:1], 0x18
	s_load_b64 s[12:13], s[0:1], 0x40
	s_ashr_i32 s3, s2, 31
	s_delay_alu instid0(SALU_CYCLE_1) | instskip(SKIP_2) | instid1(VALU_DEP_1)
	s_sub_nc_u64 s[20:21], 0, s[2:3]
	v_xor_b32_e32 v4, 1, v1
	v_xor_b32_e32 v3, 2, v1
	v_cmp_gt_i32_e32 vcc_lo, 32, v3
	v_dual_cndmask_b32 v3, v1, v3, vcc_lo :: v_dual_bitop2_b32 v0, 3, v0 bitop3:0x40
	s_delay_alu instid0(VALU_DEP_1)
	v_subrev_nc_u32_e32 v6, s2, v0
	s_wait_xcnt 0x0
	v_cmp_eq_u32_e64 s0, 3, v0
	v_or_b32_e32 v5, 4, v0
	v_xad_u32 v7, v0, -1, s2
	v_lshlrev_b32_e32 v9, 2, v3
	v_cmp_gt_i32_e32 vcc_lo, 32, v4
	s_wait_kmcnt 0x0
	s_lshl_b32 s1, s19, 6
	s_cmp_lg_u32 s17, 0
	s_add_nc_u64 s[10:11], s[10:11], s[20:21]
	s_cselect_b32 s3, -1, 0
	v_cndmask_b32_e32 v0, v1, v4, vcc_lo
	s_mov_b32 s19, 0
	s_mov_b32 s20, s16
	s_delay_alu instid0(VALU_DEP_1)
	v_lshlrev_b32_e32 v10, 2, v0
	v_subrev_nc_u32_e32 v8, s2, v5
	s_branch .LBB133_13
.LBB133_11:                             ;   in Loop: Header=BB133_13 Depth=1
	global_store_b32 v[0:1], v4, off
.LBB133_12:                             ;   in Loop: Header=BB133_13 Depth=1
	s_wait_xcnt 0x0
	s_or_b32 exec_lo, exec_lo, s21
	v_add_nc_u32_e32 v2, s1, v2
	s_delay_alu instid0(VALU_DEP_1) | instskip(SKIP_1) | instid1(SALU_CYCLE_1)
	v_cmp_le_i32_e32 vcc_lo, s18, v2
	s_or_b32 s19, vcc_lo, s19
	s_and_not1_b32 exec_lo, exec_lo, s19
	s_cbranch_execz .LBB133_28
.LBB133_13:                             ; =>This Loop Header: Depth=1
                                        ;     Child Loop BB133_17 Depth 2
                                        ;     Child Loop BB133_22 Depth 2
	s_clause 0x1
	global_load_b32 v0, v2, s[4:5] scale_offset
	global_load_b32 v4, v2, s[14:15] scale_offset
	s_mov_b32 s21, exec_lo
	s_wait_dscnt 0x0
	v_mov_b32_e32 v1, 0
	s_wait_loadcnt 0x1
	v_subrev_nc_u32_e32 v3, s2, v0
	s_wait_loadcnt 0x0
	v_add_nc_u32_e32 v0, v4, v6
	s_wait_xcnt 0x0
	s_delay_alu instid0(VALU_DEP_1)
	v_cmpx_lt_i32_e64 v0, v3
	s_cbranch_execz .LBB133_25
; %bb.14:                               ;   in Loop: Header=BB133_13 Depth=1
	v_add_max_i32_e64 v1, v8, v4, v3
	s_mov_b32 s23, exec_lo
	s_delay_alu instid0(VALU_DEP_1) | instskip(NEXT) | instid1(VALU_DEP_1)
	v_add_nc_u32_e32 v1, v7, v1
	v_dual_mov_b32 v1, 0 :: v_dual_sub_nc_u32 v4, v1, v4
	s_delay_alu instid0(VALU_DEP_1)
	v_cmp_gt_u32_e64 s22, 52, v4
	v_cmpx_lt_u32_e32 51, v4
	s_cbranch_execz .LBB133_20
; %bb.15:                               ;   in Loop: Header=BB133_13 Depth=1
	v_and_b32_e32 v1, -4, v4
	s_mov_b32 s25, -1
	s_delay_alu instid0(VALU_DEP_1) | instskip(NEXT) | instid1(VALU_DEP_1)
	v_add_nc_u32_e32 v1, v0, v1
	v_cmp_ge_i32_e32 vcc_lo, v1, v0
	v_mov_b32_e32 v1, 0
	s_and_saveexec_b32 s24, vcc_lo
	s_cbranch_execz .LBB133_19
; %bb.16:                               ;   in Loop: Header=BB133_13 Depth=1
	v_dual_lshrrev_b32 v1, 2, v4 :: v_dual_mov_b32 v13, 0
	s_mov_b32 s25, 0
	s_delay_alu instid0(VALU_DEP_1) | instskip(NEXT) | instid1(VALU_DEP_1)
	v_dual_add_nc_u32 v11, 1, v1 :: v_dual_add_nc_u32 v1, 4, v0
	v_and_b32_e32 v12, 0x7ffffffe, v11
	s_delay_alu instid0(VALU_DEP_2) | instskip(NEXT) | instid1(VALU_DEP_2)
	v_mov_b64_e32 v[4:5], v[0:1]
	v_dual_mov_b32 v14, 0 :: v_dual_mov_b32 v15, v12
.LBB133_17:                             ;   Parent Loop BB133_13 Depth=1
                                        ; =>  This Inner Loop Header: Depth=2
	s_clause 0x1
	global_load_b32 v1, v5, s[6:7] scale_offset
	global_load_b32 v16, v4, s[6:7] scale_offset
	s_clause 0x1
	global_load_i8 v17, v5, s[8:9]
	global_load_i8 v18, v4, s[8:9]
	s_wait_xcnt 0x1
	v_dual_add_nc_u32 v15, -2, v15 :: v_dual_add_nc_u32 v5, 8, v5
	s_wait_xcnt 0x0
	v_add_nc_u32_e32 v4, 8, v4
	s_wait_loadcnt 0x3
	global_load_i8 v19, v1, s[10:11]
	s_wait_loadcnt 0x3
	global_load_i8 v20, v16, s[10:11]
	s_wait_loadcnt 0x3
	s_wait_xcnt 0x1
	v_mul_lo_u32 v1, s20, v17
	s_wait_loadcnt 0x2
	s_wait_xcnt 0x0
	v_mul_lo_u32 v16, s16, v18
	v_cmp_eq_u32_e32 vcc_lo, 0, v15
	s_or_b32 s25, vcc_lo, s25
	s_wait_loadcnt 0x1
	s_delay_alu instid0(VALU_DEP_3) | instskip(SKIP_1) | instid1(VALU_DEP_3)
	v_mad_u32 v14, v1, v19, v14
	s_wait_loadcnt 0x0
	v_mad_u32 v13, v16, v20, v13
	s_and_not1_b32 exec_lo, exec_lo, s25
	s_cbranch_execnz .LBB133_17
; %bb.18:                               ;   in Loop: Header=BB133_13 Depth=1
	s_or_b32 exec_lo, exec_lo, s25
	v_cmp_ne_u32_e32 vcc_lo, v11, v12
	v_lshl_add_u32 v0, v12, 2, v0
	s_delay_alu instid0(VALU_DEP_3)
	v_add_nc_u32_e32 v1, v13, v14
	s_or_not1_b32 s25, vcc_lo, exec_lo
.LBB133_19:                             ;   in Loop: Header=BB133_13 Depth=1
	s_or_b32 exec_lo, exec_lo, s24
	s_delay_alu instid0(SALU_CYCLE_1) | instskip(SKIP_1) | instid1(SALU_CYCLE_1)
	s_and_not1_b32 s22, s22, exec_lo
	s_and_b32 s24, s25, exec_lo
	s_or_b32 s22, s22, s24
.LBB133_20:                             ;   in Loop: Header=BB133_13 Depth=1
	s_or_b32 exec_lo, exec_lo, s23
	s_and_saveexec_b32 s23, s22
	s_cbranch_execz .LBB133_24
; %bb.21:                               ;   in Loop: Header=BB133_13 Depth=1
	s_mov_b32 s22, 0
.LBB133_22:                             ;   Parent Loop BB133_13 Depth=1
                                        ; =>  This Inner Loop Header: Depth=2
	s_clause 0x1
	global_load_b32 v4, v0, s[6:7] scale_offset
	global_load_i8 v5, v0, s[8:9]
	s_wait_xcnt 0x0
	v_add_nc_u32_e32 v0, 4, v0
	s_delay_alu instid0(VALU_DEP_1)
	v_cmp_ge_i32_e32 vcc_lo, v0, v3
	s_or_b32 s22, vcc_lo, s22
	s_wait_loadcnt 0x1
	global_load_i8 v4, v4, s[10:11]
	s_wait_loadcnt 0x1
	v_mul_lo_u32 v5, s16, v5
	s_wait_loadcnt 0x0
	s_delay_alu instid0(VALU_DEP_1)
	v_mad_u32 v1, v5, v4, v1
	s_wait_xcnt 0x0
	s_and_not1_b32 exec_lo, exec_lo, s22
	s_cbranch_execnz .LBB133_22
; %bb.23:                               ;   in Loop: Header=BB133_13 Depth=1
	s_or_b32 exec_lo, exec_lo, s22
.LBB133_24:                             ;   in Loop: Header=BB133_13 Depth=1
	s_delay_alu instid0(SALU_CYCLE_1)
	s_or_b32 exec_lo, exec_lo, s23
.LBB133_25:                             ;   in Loop: Header=BB133_13 Depth=1
	s_delay_alu instid0(SALU_CYCLE_1)
	s_or_b32 exec_lo, exec_lo, s21
	ds_bpermute_b32 v0, v9, v1
	s_wait_dscnt 0x0
	v_dual_ashrrev_i32 v3, 31, v2 :: v_dual_add_nc_u32 v0, v0, v1
	ds_bpermute_b32 v1, v10, v0
	s_and_saveexec_b32 s21, s0
	s_cbranch_execz .LBB133_12
; %bb.26:                               ;   in Loop: Header=BB133_13 Depth=1
	s_wait_dscnt 0x0
	v_add_nc_u32_e32 v4, v1, v0
	v_lshl_add_u64 v[0:1], v[2:3], 2, s[12:13]
	s_and_not1_b32 vcc_lo, exec_lo, s3
	s_cbranch_vccnz .LBB133_11
; %bb.27:                               ;   in Loop: Header=BB133_13 Depth=1
	global_load_b32 v3, v[0:1], off
	s_wait_loadcnt 0x0
	v_mad_u32 v4, v3, s17, v4
	s_branch .LBB133_11
.LBB133_28:
	s_endpgm
	.section	.rodata,"a",@progbits
	.p2align	6, 0x0
	.amdhsa_kernel _ZN9rocsparseL21csrmvn_general_kernelILj256ELj4EiiaaiiEEvbT2_NS_24const_host_device_scalarIT6_EEPKT1_S7_PKS1_PKT3_PKT4_S4_PT5_21rocsparse_index_base_b
		.amdhsa_group_segment_fixed_size 0
		.amdhsa_private_segment_fixed_size 0
		.amdhsa_kernarg_size 336
		.amdhsa_user_sgpr_count 2
		.amdhsa_user_sgpr_dispatch_ptr 0
		.amdhsa_user_sgpr_queue_ptr 0
		.amdhsa_user_sgpr_kernarg_segment_ptr 1
		.amdhsa_user_sgpr_dispatch_id 0
		.amdhsa_user_sgpr_kernarg_preload_length 0
		.amdhsa_user_sgpr_kernarg_preload_offset 0
		.amdhsa_user_sgpr_private_segment_size 0
		.amdhsa_wavefront_size32 1
		.amdhsa_uses_dynamic_stack 0
		.amdhsa_enable_private_segment 0
		.amdhsa_system_sgpr_workgroup_id_x 1
		.amdhsa_system_sgpr_workgroup_id_y 0
		.amdhsa_system_sgpr_workgroup_id_z 0
		.amdhsa_system_sgpr_workgroup_info 0
		.amdhsa_system_vgpr_workitem_id 0
		.amdhsa_next_free_vgpr 21
		.amdhsa_next_free_sgpr 26
		.amdhsa_named_barrier_count 0
		.amdhsa_reserve_vcc 1
		.amdhsa_float_round_mode_32 0
		.amdhsa_float_round_mode_16_64 0
		.amdhsa_float_denorm_mode_32 3
		.amdhsa_float_denorm_mode_16_64 3
		.amdhsa_fp16_overflow 0
		.amdhsa_memory_ordered 1
		.amdhsa_forward_progress 1
		.amdhsa_inst_pref_size 9
		.amdhsa_round_robin_scheduling 0
		.amdhsa_exception_fp_ieee_invalid_op 0
		.amdhsa_exception_fp_denorm_src 0
		.amdhsa_exception_fp_ieee_div_zero 0
		.amdhsa_exception_fp_ieee_overflow 0
		.amdhsa_exception_fp_ieee_underflow 0
		.amdhsa_exception_fp_ieee_inexact 0
		.amdhsa_exception_int_div_zero 0
	.end_amdhsa_kernel
	.section	.text._ZN9rocsparseL21csrmvn_general_kernelILj256ELj4EiiaaiiEEvbT2_NS_24const_host_device_scalarIT6_EEPKT1_S7_PKS1_PKT3_PKT4_S4_PT5_21rocsparse_index_base_b,"axG",@progbits,_ZN9rocsparseL21csrmvn_general_kernelILj256ELj4EiiaaiiEEvbT2_NS_24const_host_device_scalarIT6_EEPKT1_S7_PKS1_PKT3_PKT4_S4_PT5_21rocsparse_index_base_b,comdat
.Lfunc_end133:
	.size	_ZN9rocsparseL21csrmvn_general_kernelILj256ELj4EiiaaiiEEvbT2_NS_24const_host_device_scalarIT6_EEPKT1_S7_PKS1_PKT3_PKT4_S4_PT5_21rocsparse_index_base_b, .Lfunc_end133-_ZN9rocsparseL21csrmvn_general_kernelILj256ELj4EiiaaiiEEvbT2_NS_24const_host_device_scalarIT6_EEPKT1_S7_PKS1_PKT3_PKT4_S4_PT5_21rocsparse_index_base_b
                                        ; -- End function
	.set _ZN9rocsparseL21csrmvn_general_kernelILj256ELj4EiiaaiiEEvbT2_NS_24const_host_device_scalarIT6_EEPKT1_S7_PKS1_PKT3_PKT4_S4_PT5_21rocsparse_index_base_b.num_vgpr, 21
	.set _ZN9rocsparseL21csrmvn_general_kernelILj256ELj4EiiaaiiEEvbT2_NS_24const_host_device_scalarIT6_EEPKT1_S7_PKS1_PKT3_PKT4_S4_PT5_21rocsparse_index_base_b.num_agpr, 0
	.set _ZN9rocsparseL21csrmvn_general_kernelILj256ELj4EiiaaiiEEvbT2_NS_24const_host_device_scalarIT6_EEPKT1_S7_PKS1_PKT3_PKT4_S4_PT5_21rocsparse_index_base_b.numbered_sgpr, 26
	.set _ZN9rocsparseL21csrmvn_general_kernelILj256ELj4EiiaaiiEEvbT2_NS_24const_host_device_scalarIT6_EEPKT1_S7_PKS1_PKT3_PKT4_S4_PT5_21rocsparse_index_base_b.num_named_barrier, 0
	.set _ZN9rocsparseL21csrmvn_general_kernelILj256ELj4EiiaaiiEEvbT2_NS_24const_host_device_scalarIT6_EEPKT1_S7_PKS1_PKT3_PKT4_S4_PT5_21rocsparse_index_base_b.private_seg_size, 0
	.set _ZN9rocsparseL21csrmvn_general_kernelILj256ELj4EiiaaiiEEvbT2_NS_24const_host_device_scalarIT6_EEPKT1_S7_PKS1_PKT3_PKT4_S4_PT5_21rocsparse_index_base_b.uses_vcc, 1
	.set _ZN9rocsparseL21csrmvn_general_kernelILj256ELj4EiiaaiiEEvbT2_NS_24const_host_device_scalarIT6_EEPKT1_S7_PKS1_PKT3_PKT4_S4_PT5_21rocsparse_index_base_b.uses_flat_scratch, 0
	.set _ZN9rocsparseL21csrmvn_general_kernelILj256ELj4EiiaaiiEEvbT2_NS_24const_host_device_scalarIT6_EEPKT1_S7_PKS1_PKT3_PKT4_S4_PT5_21rocsparse_index_base_b.has_dyn_sized_stack, 0
	.set _ZN9rocsparseL21csrmvn_general_kernelILj256ELj4EiiaaiiEEvbT2_NS_24const_host_device_scalarIT6_EEPKT1_S7_PKS1_PKT3_PKT4_S4_PT5_21rocsparse_index_base_b.has_recursion, 0
	.set _ZN9rocsparseL21csrmvn_general_kernelILj256ELj4EiiaaiiEEvbT2_NS_24const_host_device_scalarIT6_EEPKT1_S7_PKS1_PKT3_PKT4_S4_PT5_21rocsparse_index_base_b.has_indirect_call, 0
	.section	.AMDGPU.csdata,"",@progbits
; Kernel info:
; codeLenInByte = 1148
; TotalNumSgprs: 28
; NumVgprs: 21
; ScratchSize: 0
; MemoryBound: 0
; FloatMode: 240
; IeeeMode: 1
; LDSByteSize: 0 bytes/workgroup (compile time only)
; SGPRBlocks: 0
; VGPRBlocks: 1
; NumSGPRsForWavesPerEU: 28
; NumVGPRsForWavesPerEU: 21
; NamedBarCnt: 0
; Occupancy: 16
; WaveLimiterHint : 1
; COMPUTE_PGM_RSRC2:SCRATCH_EN: 0
; COMPUTE_PGM_RSRC2:USER_SGPR: 2
; COMPUTE_PGM_RSRC2:TRAP_HANDLER: 0
; COMPUTE_PGM_RSRC2:TGID_X_EN: 1
; COMPUTE_PGM_RSRC2:TGID_Y_EN: 0
; COMPUTE_PGM_RSRC2:TGID_Z_EN: 0
; COMPUTE_PGM_RSRC2:TIDIG_COMP_CNT: 0
	.section	.text._ZN9rocsparseL21csrmvn_general_kernelILj256ELj8EiiaaiiEEvbT2_NS_24const_host_device_scalarIT6_EEPKT1_S7_PKS1_PKT3_PKT4_S4_PT5_21rocsparse_index_base_b,"axG",@progbits,_ZN9rocsparseL21csrmvn_general_kernelILj256ELj8EiiaaiiEEvbT2_NS_24const_host_device_scalarIT6_EEPKT1_S7_PKS1_PKT3_PKT4_S4_PT5_21rocsparse_index_base_b,comdat
	.globl	_ZN9rocsparseL21csrmvn_general_kernelILj256ELj8EiiaaiiEEvbT2_NS_24const_host_device_scalarIT6_EEPKT1_S7_PKS1_PKT3_PKT4_S4_PT5_21rocsparse_index_base_b ; -- Begin function _ZN9rocsparseL21csrmvn_general_kernelILj256ELj8EiiaaiiEEvbT2_NS_24const_host_device_scalarIT6_EEPKT1_S7_PKS1_PKT3_PKT4_S4_PT5_21rocsparse_index_base_b
	.p2align	8
	.type	_ZN9rocsparseL21csrmvn_general_kernelILj256ELj8EiiaaiiEEvbT2_NS_24const_host_device_scalarIT6_EEPKT1_S7_PKS1_PKT3_PKT4_S4_PT5_21rocsparse_index_base_b,@function
_ZN9rocsparseL21csrmvn_general_kernelILj256ELj8EiiaaiiEEvbT2_NS_24const_host_device_scalarIT6_EEPKT1_S7_PKS1_PKT3_PKT4_S4_PT5_21rocsparse_index_base_b: ; @_ZN9rocsparseL21csrmvn_general_kernelILj256ELj8EiiaaiiEEvbT2_NS_24const_host_device_scalarIT6_EEPKT1_S7_PKS1_PKT3_PKT4_S4_PT5_21rocsparse_index_base_b
; %bb.0:
	s_clause 0x1
	s_load_b64 s[2:3], s[0:1], 0x48
	s_load_b128 s[12:15], s[0:1], 0x8
	s_mov_b32 s6, -1
                                        ; implicit-def: $sgpr16
	s_wait_kmcnt 0x0
	s_bitcmp1_b32 s3, 0
	s_cselect_b32 s3, -1, 0
	s_delay_alu instid0(SALU_CYCLE_1) | instskip(NEXT) | instid1(SALU_CYCLE_1)
	s_xor_b32 s3, s3, -1
	s_and_b32 vcc_lo, exec_lo, s3
	s_cbranch_vccnz .LBB134_4
; %bb.1:
	s_load_b64 s[4:5], s[0:1], 0x38
	s_and_not1_b32 vcc_lo, exec_lo, s6
	s_cbranch_vccz .LBB134_5
.LBB134_2:
	s_and_b32 vcc_lo, exec_lo, s3
	s_cbranch_vccz .LBB134_6
.LBB134_3:
	s_wait_kmcnt 0x0
	s_load_b32 s17, s[4:5], 0x0
	s_cbranch_execz .LBB134_7
	s_branch .LBB134_8
.LBB134_4:
	s_load_b32 s16, s[12:13], 0x0
	s_load_b64 s[4:5], s[0:1], 0x38
	s_cbranch_execnz .LBB134_2
.LBB134_5:
	s_wait_kmcnt 0x0
	s_mov_b32 s16, s12
	s_and_b32 vcc_lo, exec_lo, s3
	s_cbranch_vccnz .LBB134_3
.LBB134_6:
                                        ; implicit-def: $sgpr17
.LBB134_7:
	s_wait_kmcnt 0x0
	s_mov_b32 s17, s4
.LBB134_8:
	s_wait_kmcnt 0x0
	s_cmp_lg_u32 s16, 0
	s_cselect_b32 s3, -1, 0
	s_cmp_lg_u32 s17, 1
	s_cselect_b32 s4, -1, 0
	s_delay_alu instid0(SALU_CYCLE_1) | instskip(NEXT) | instid1(SALU_CYCLE_1)
	s_or_b32 s3, s3, s4
	s_and_not1_b32 vcc_lo, exec_lo, s3
	s_cbranch_vccnz .LBB134_28
; %bb.9:
	s_bfe_u32 s3, ttmp6, 0x4000c
	s_load_b32 s18, s[0:1], 0x4
	s_add_co_i32 s3, s3, 1
	s_and_b32 s4, ttmp6, 15
	s_mul_i32 s3, ttmp9, s3
	s_getreg_b32 s5, hwreg(HW_REG_IB_STS2, 6, 4)
	s_add_co_i32 s4, s4, s3
	s_cmp_eq_u32 s5, 0
	s_cselect_b32 s3, ttmp9, s4
	s_delay_alu instid0(SALU_CYCLE_1) | instskip(SKIP_1) | instid1(VALU_DEP_1)
	v_lshl_or_b32 v1, s3, 8, v0
	s_mov_b32 s3, exec_lo
	v_lshrrev_b32_e32 v2, 3, v1
	s_wait_kmcnt 0x0
	s_delay_alu instid0(VALU_DEP_1)
	v_cmpx_gt_i32_e64 s18, v2
	s_cbranch_execz .LBB134_28
; %bb.10:
	v_mbcnt_lo_u32_b32 v1, -1, 0
	s_clause 0x2
	s_load_b32 s19, s[0:1], 0x50
	s_load_b64 s[12:13], s[0:1], 0x40
	s_load_b256 s[4:11], s[0:1], 0x18
	s_ashr_i32 s3, s2, 31
	s_delay_alu instid0(SALU_CYCLE_1) | instskip(SKIP_2) | instid1(VALU_DEP_1)
	s_sub_nc_u64 s[20:21], 0, s[2:3]
	v_xor_b32_e32 v4, 2, v1
	v_xor_b32_e32 v3, 4, v1
	v_cmp_gt_i32_e32 vcc_lo, 32, v3
	v_dual_cndmask_b32 v3, v1, v3, vcc_lo :: v_dual_bitop2_b32 v0, 7, v0 bitop3:0x40
	s_delay_alu instid0(VALU_DEP_1)
	v_subrev_nc_u32_e32 v6, s2, v0
	s_wait_xcnt 0x0
	v_cmp_eq_u32_e64 s0, 7, v0
	v_xad_u32 v10, v0, -1, s2
	s_wait_kmcnt 0x0
	s_lshl_b32 s1, s19, 5
	v_lshlrev_b32_e32 v7, 2, v3
	v_cmp_gt_i32_e32 vcc_lo, 32, v4
	s_cmp_lg_u32 s17, 0
	s_add_nc_u64 s[10:11], s[10:11], s[20:21]
	s_cselect_b32 s3, -1, 0
	s_mov_b32 s19, 0
	v_dual_cndmask_b32 v4, v1, v4, vcc_lo :: v_dual_bitop2_b32 v5, 1, v1 bitop3:0x14
	s_mov_b32 s20, s16
	s_delay_alu instid0(VALU_DEP_1) | instskip(NEXT) | instid1(VALU_DEP_2)
	v_lshlrev_b32_e32 v8, 2, v4
	v_cmp_gt_i32_e32 vcc_lo, 32, v5
	v_dual_cndmask_b32 v1, v1, v5, vcc_lo :: v_dual_bitop2_b32 v5, 8, v0 bitop3:0x54
	s_delay_alu instid0(VALU_DEP_1) | instskip(NEXT) | instid1(VALU_DEP_2)
	v_lshlrev_b32_e32 v9, 2, v1
	v_subrev_nc_u32_e32 v11, s2, v5
	s_branch .LBB134_13
.LBB134_11:                             ;   in Loop: Header=BB134_13 Depth=1
	global_store_b32 v[0:1], v4, off
.LBB134_12:                             ;   in Loop: Header=BB134_13 Depth=1
	s_wait_xcnt 0x0
	s_or_b32 exec_lo, exec_lo, s21
	v_add_nc_u32_e32 v2, s1, v2
	s_delay_alu instid0(VALU_DEP_1) | instskip(SKIP_1) | instid1(SALU_CYCLE_1)
	v_cmp_le_i32_e32 vcc_lo, s18, v2
	s_or_b32 s19, vcc_lo, s19
	s_and_not1_b32 exec_lo, exec_lo, s19
	s_cbranch_execz .LBB134_28
.LBB134_13:                             ; =>This Loop Header: Depth=1
                                        ;     Child Loop BB134_17 Depth 2
                                        ;     Child Loop BB134_22 Depth 2
	s_clause 0x1
	global_load_b32 v0, v2, s[4:5] scale_offset
	global_load_b32 v4, v2, s[14:15] scale_offset
	s_mov_b32 s21, exec_lo
	s_wait_dscnt 0x0
	v_mov_b32_e32 v1, 0
	s_wait_loadcnt 0x1
	v_subrev_nc_u32_e32 v3, s2, v0
	s_wait_loadcnt 0x0
	v_add_nc_u32_e32 v0, v4, v6
	s_wait_xcnt 0x0
	s_delay_alu instid0(VALU_DEP_1)
	v_cmpx_lt_i32_e64 v0, v3
	s_cbranch_execz .LBB134_25
; %bb.14:                               ;   in Loop: Header=BB134_13 Depth=1
	v_add_max_i32_e64 v1, v11, v4, v3
	s_mov_b32 s23, exec_lo
	s_delay_alu instid0(VALU_DEP_1) | instskip(NEXT) | instid1(VALU_DEP_1)
	v_add_nc_u32_e32 v1, v10, v1
	v_dual_mov_b32 v1, 0 :: v_dual_sub_nc_u32 v4, v1, v4
	s_delay_alu instid0(VALU_DEP_1)
	v_cmp_gt_u32_e64 s22, 0x68, v4
	v_cmpx_lt_u32_e32 0x67, v4
	s_cbranch_execz .LBB134_20
; %bb.15:                               ;   in Loop: Header=BB134_13 Depth=1
	v_and_b32_e32 v1, -8, v4
	s_mov_b32 s25, -1
	s_delay_alu instid0(VALU_DEP_1) | instskip(NEXT) | instid1(VALU_DEP_1)
	v_add_nc_u32_e32 v1, v0, v1
	v_cmp_ge_i32_e32 vcc_lo, v1, v0
	v_mov_b32_e32 v1, 0
	s_and_saveexec_b32 s24, vcc_lo
	s_cbranch_execz .LBB134_19
; %bb.16:                               ;   in Loop: Header=BB134_13 Depth=1
	v_dual_mov_b32 v14, 0 :: v_dual_lshrrev_b32 v1, 3, v4
	s_mov_b32 s25, 0
	s_delay_alu instid0(VALU_DEP_1) | instskip(NEXT) | instid1(VALU_DEP_1)
	v_dual_add_nc_u32 v12, 1, v1 :: v_dual_add_nc_u32 v1, 8, v0
	v_and_b32_e32 v13, 0x3ffffffe, v12
	s_delay_alu instid0(VALU_DEP_2) | instskip(NEXT) | instid1(VALU_DEP_2)
	v_mov_b64_e32 v[4:5], v[0:1]
	v_dual_mov_b32 v15, 0 :: v_dual_mov_b32 v16, v13
.LBB134_17:                             ;   Parent Loop BB134_13 Depth=1
                                        ; =>  This Inner Loop Header: Depth=2
	s_clause 0x1
	global_load_b32 v1, v5, s[6:7] scale_offset
	global_load_b32 v17, v4, s[6:7] scale_offset
	s_clause 0x1
	global_load_i8 v18, v5, s[8:9]
	global_load_i8 v19, v4, s[8:9]
	s_wait_xcnt 0x1
	v_dual_add_nc_u32 v16, -2, v16 :: v_dual_add_nc_u32 v5, 16, v5
	s_wait_xcnt 0x0
	v_add_nc_u32_e32 v4, 16, v4
	s_wait_loadcnt 0x3
	global_load_i8 v20, v1, s[10:11]
	s_wait_loadcnt 0x3
	global_load_i8 v21, v17, s[10:11]
	s_wait_loadcnt 0x3
	s_wait_xcnt 0x1
	v_mul_lo_u32 v1, s20, v18
	s_wait_loadcnt 0x2
	s_wait_xcnt 0x0
	v_mul_lo_u32 v17, s16, v19
	v_cmp_eq_u32_e32 vcc_lo, 0, v16
	s_or_b32 s25, vcc_lo, s25
	s_wait_loadcnt 0x1
	s_delay_alu instid0(VALU_DEP_3) | instskip(SKIP_1) | instid1(VALU_DEP_3)
	v_mad_u32 v15, v1, v20, v15
	s_wait_loadcnt 0x0
	v_mad_u32 v14, v17, v21, v14
	s_and_not1_b32 exec_lo, exec_lo, s25
	s_cbranch_execnz .LBB134_17
; %bb.18:                               ;   in Loop: Header=BB134_13 Depth=1
	s_or_b32 exec_lo, exec_lo, s25
	v_cmp_ne_u32_e32 vcc_lo, v12, v13
	v_lshl_add_u32 v0, v13, 3, v0
	s_delay_alu instid0(VALU_DEP_3)
	v_add_nc_u32_e32 v1, v14, v15
	s_or_not1_b32 s25, vcc_lo, exec_lo
.LBB134_19:                             ;   in Loop: Header=BB134_13 Depth=1
	s_or_b32 exec_lo, exec_lo, s24
	s_delay_alu instid0(SALU_CYCLE_1) | instskip(SKIP_1) | instid1(SALU_CYCLE_1)
	s_and_not1_b32 s22, s22, exec_lo
	s_and_b32 s24, s25, exec_lo
	s_or_b32 s22, s22, s24
.LBB134_20:                             ;   in Loop: Header=BB134_13 Depth=1
	s_or_b32 exec_lo, exec_lo, s23
	s_and_saveexec_b32 s23, s22
	s_cbranch_execz .LBB134_24
; %bb.21:                               ;   in Loop: Header=BB134_13 Depth=1
	s_mov_b32 s22, 0
.LBB134_22:                             ;   Parent Loop BB134_13 Depth=1
                                        ; =>  This Inner Loop Header: Depth=2
	s_clause 0x1
	global_load_b32 v4, v0, s[6:7] scale_offset
	global_load_i8 v5, v0, s[8:9]
	s_wait_xcnt 0x0
	v_add_nc_u32_e32 v0, 8, v0
	s_delay_alu instid0(VALU_DEP_1)
	v_cmp_ge_i32_e32 vcc_lo, v0, v3
	s_or_b32 s22, vcc_lo, s22
	s_wait_loadcnt 0x1
	global_load_i8 v4, v4, s[10:11]
	s_wait_loadcnt 0x1
	v_mul_lo_u32 v5, s16, v5
	s_wait_loadcnt 0x0
	s_delay_alu instid0(VALU_DEP_1)
	v_mad_u32 v1, v5, v4, v1
	s_wait_xcnt 0x0
	s_and_not1_b32 exec_lo, exec_lo, s22
	s_cbranch_execnz .LBB134_22
; %bb.23:                               ;   in Loop: Header=BB134_13 Depth=1
	s_or_b32 exec_lo, exec_lo, s22
.LBB134_24:                             ;   in Loop: Header=BB134_13 Depth=1
	s_delay_alu instid0(SALU_CYCLE_1)
	s_or_b32 exec_lo, exec_lo, s23
.LBB134_25:                             ;   in Loop: Header=BB134_13 Depth=1
	s_delay_alu instid0(SALU_CYCLE_1)
	s_or_b32 exec_lo, exec_lo, s21
	ds_bpermute_b32 v0, v7, v1
	s_wait_dscnt 0x0
	v_dual_ashrrev_i32 v3, 31, v2 :: v_dual_add_nc_u32 v0, v0, v1
	ds_bpermute_b32 v1, v8, v0
	s_wait_dscnt 0x0
	v_add_nc_u32_e32 v0, v1, v0
	ds_bpermute_b32 v1, v9, v0
	s_and_saveexec_b32 s21, s0
	s_cbranch_execz .LBB134_12
; %bb.26:                               ;   in Loop: Header=BB134_13 Depth=1
	s_wait_dscnt 0x0
	v_add_nc_u32_e32 v4, v1, v0
	v_lshl_add_u64 v[0:1], v[2:3], 2, s[12:13]
	s_and_not1_b32 vcc_lo, exec_lo, s3
	s_cbranch_vccnz .LBB134_11
; %bb.27:                               ;   in Loop: Header=BB134_13 Depth=1
	global_load_b32 v3, v[0:1], off
	s_wait_loadcnt 0x0
	v_mad_u32 v4, v3, s17, v4
	s_branch .LBB134_11
.LBB134_28:
	s_endpgm
	.section	.rodata,"a",@progbits
	.p2align	6, 0x0
	.amdhsa_kernel _ZN9rocsparseL21csrmvn_general_kernelILj256ELj8EiiaaiiEEvbT2_NS_24const_host_device_scalarIT6_EEPKT1_S7_PKS1_PKT3_PKT4_S4_PT5_21rocsparse_index_base_b
		.amdhsa_group_segment_fixed_size 0
		.amdhsa_private_segment_fixed_size 0
		.amdhsa_kernarg_size 336
		.amdhsa_user_sgpr_count 2
		.amdhsa_user_sgpr_dispatch_ptr 0
		.amdhsa_user_sgpr_queue_ptr 0
		.amdhsa_user_sgpr_kernarg_segment_ptr 1
		.amdhsa_user_sgpr_dispatch_id 0
		.amdhsa_user_sgpr_kernarg_preload_length 0
		.amdhsa_user_sgpr_kernarg_preload_offset 0
		.amdhsa_user_sgpr_private_segment_size 0
		.amdhsa_wavefront_size32 1
		.amdhsa_uses_dynamic_stack 0
		.amdhsa_enable_private_segment 0
		.amdhsa_system_sgpr_workgroup_id_x 1
		.amdhsa_system_sgpr_workgroup_id_y 0
		.amdhsa_system_sgpr_workgroup_id_z 0
		.amdhsa_system_sgpr_workgroup_info 0
		.amdhsa_system_vgpr_workitem_id 0
		.amdhsa_next_free_vgpr 22
		.amdhsa_next_free_sgpr 26
		.amdhsa_named_barrier_count 0
		.amdhsa_reserve_vcc 1
		.amdhsa_float_round_mode_32 0
		.amdhsa_float_round_mode_16_64 0
		.amdhsa_float_denorm_mode_32 3
		.amdhsa_float_denorm_mode_16_64 3
		.amdhsa_fp16_overflow 0
		.amdhsa_memory_ordered 1
		.amdhsa_forward_progress 1
		.amdhsa_inst_pref_size 10
		.amdhsa_round_robin_scheduling 0
		.amdhsa_exception_fp_ieee_invalid_op 0
		.amdhsa_exception_fp_denorm_src 0
		.amdhsa_exception_fp_ieee_div_zero 0
		.amdhsa_exception_fp_ieee_overflow 0
		.amdhsa_exception_fp_ieee_underflow 0
		.amdhsa_exception_fp_ieee_inexact 0
		.amdhsa_exception_int_div_zero 0
	.end_amdhsa_kernel
	.section	.text._ZN9rocsparseL21csrmvn_general_kernelILj256ELj8EiiaaiiEEvbT2_NS_24const_host_device_scalarIT6_EEPKT1_S7_PKS1_PKT3_PKT4_S4_PT5_21rocsparse_index_base_b,"axG",@progbits,_ZN9rocsparseL21csrmvn_general_kernelILj256ELj8EiiaaiiEEvbT2_NS_24const_host_device_scalarIT6_EEPKT1_S7_PKS1_PKT3_PKT4_S4_PT5_21rocsparse_index_base_b,comdat
.Lfunc_end134:
	.size	_ZN9rocsparseL21csrmvn_general_kernelILj256ELj8EiiaaiiEEvbT2_NS_24const_host_device_scalarIT6_EEPKT1_S7_PKS1_PKT3_PKT4_S4_PT5_21rocsparse_index_base_b, .Lfunc_end134-_ZN9rocsparseL21csrmvn_general_kernelILj256ELj8EiiaaiiEEvbT2_NS_24const_host_device_scalarIT6_EEPKT1_S7_PKS1_PKT3_PKT4_S4_PT5_21rocsparse_index_base_b
                                        ; -- End function
	.set _ZN9rocsparseL21csrmvn_general_kernelILj256ELj8EiiaaiiEEvbT2_NS_24const_host_device_scalarIT6_EEPKT1_S7_PKS1_PKT3_PKT4_S4_PT5_21rocsparse_index_base_b.num_vgpr, 22
	.set _ZN9rocsparseL21csrmvn_general_kernelILj256ELj8EiiaaiiEEvbT2_NS_24const_host_device_scalarIT6_EEPKT1_S7_PKS1_PKT3_PKT4_S4_PT5_21rocsparse_index_base_b.num_agpr, 0
	.set _ZN9rocsparseL21csrmvn_general_kernelILj256ELj8EiiaaiiEEvbT2_NS_24const_host_device_scalarIT6_EEPKT1_S7_PKS1_PKT3_PKT4_S4_PT5_21rocsparse_index_base_b.numbered_sgpr, 26
	.set _ZN9rocsparseL21csrmvn_general_kernelILj256ELj8EiiaaiiEEvbT2_NS_24const_host_device_scalarIT6_EEPKT1_S7_PKS1_PKT3_PKT4_S4_PT5_21rocsparse_index_base_b.num_named_barrier, 0
	.set _ZN9rocsparseL21csrmvn_general_kernelILj256ELj8EiiaaiiEEvbT2_NS_24const_host_device_scalarIT6_EEPKT1_S7_PKS1_PKT3_PKT4_S4_PT5_21rocsparse_index_base_b.private_seg_size, 0
	.set _ZN9rocsparseL21csrmvn_general_kernelILj256ELj8EiiaaiiEEvbT2_NS_24const_host_device_scalarIT6_EEPKT1_S7_PKS1_PKT3_PKT4_S4_PT5_21rocsparse_index_base_b.uses_vcc, 1
	.set _ZN9rocsparseL21csrmvn_general_kernelILj256ELj8EiiaaiiEEvbT2_NS_24const_host_device_scalarIT6_EEPKT1_S7_PKS1_PKT3_PKT4_S4_PT5_21rocsparse_index_base_b.uses_flat_scratch, 0
	.set _ZN9rocsparseL21csrmvn_general_kernelILj256ELj8EiiaaiiEEvbT2_NS_24const_host_device_scalarIT6_EEPKT1_S7_PKS1_PKT3_PKT4_S4_PT5_21rocsparse_index_base_b.has_dyn_sized_stack, 0
	.set _ZN9rocsparseL21csrmvn_general_kernelILj256ELj8EiiaaiiEEvbT2_NS_24const_host_device_scalarIT6_EEPKT1_S7_PKS1_PKT3_PKT4_S4_PT5_21rocsparse_index_base_b.has_recursion, 0
	.set _ZN9rocsparseL21csrmvn_general_kernelILj256ELj8EiiaaiiEEvbT2_NS_24const_host_device_scalarIT6_EEPKT1_S7_PKS1_PKT3_PKT4_S4_PT5_21rocsparse_index_base_b.has_indirect_call, 0
	.section	.AMDGPU.csdata,"",@progbits
; Kernel info:
; codeLenInByte = 1196
; TotalNumSgprs: 28
; NumVgprs: 22
; ScratchSize: 0
; MemoryBound: 0
; FloatMode: 240
; IeeeMode: 1
; LDSByteSize: 0 bytes/workgroup (compile time only)
; SGPRBlocks: 0
; VGPRBlocks: 1
; NumSGPRsForWavesPerEU: 28
; NumVGPRsForWavesPerEU: 22
; NamedBarCnt: 0
; Occupancy: 16
; WaveLimiterHint : 1
; COMPUTE_PGM_RSRC2:SCRATCH_EN: 0
; COMPUTE_PGM_RSRC2:USER_SGPR: 2
; COMPUTE_PGM_RSRC2:TRAP_HANDLER: 0
; COMPUTE_PGM_RSRC2:TGID_X_EN: 1
; COMPUTE_PGM_RSRC2:TGID_Y_EN: 0
; COMPUTE_PGM_RSRC2:TGID_Z_EN: 0
; COMPUTE_PGM_RSRC2:TIDIG_COMP_CNT: 0
	.section	.text._ZN9rocsparseL21csrmvn_general_kernelILj256ELj16EiiaaiiEEvbT2_NS_24const_host_device_scalarIT6_EEPKT1_S7_PKS1_PKT3_PKT4_S4_PT5_21rocsparse_index_base_b,"axG",@progbits,_ZN9rocsparseL21csrmvn_general_kernelILj256ELj16EiiaaiiEEvbT2_NS_24const_host_device_scalarIT6_EEPKT1_S7_PKS1_PKT3_PKT4_S4_PT5_21rocsparse_index_base_b,comdat
	.globl	_ZN9rocsparseL21csrmvn_general_kernelILj256ELj16EiiaaiiEEvbT2_NS_24const_host_device_scalarIT6_EEPKT1_S7_PKS1_PKT3_PKT4_S4_PT5_21rocsparse_index_base_b ; -- Begin function _ZN9rocsparseL21csrmvn_general_kernelILj256ELj16EiiaaiiEEvbT2_NS_24const_host_device_scalarIT6_EEPKT1_S7_PKS1_PKT3_PKT4_S4_PT5_21rocsparse_index_base_b
	.p2align	8
	.type	_ZN9rocsparseL21csrmvn_general_kernelILj256ELj16EiiaaiiEEvbT2_NS_24const_host_device_scalarIT6_EEPKT1_S7_PKS1_PKT3_PKT4_S4_PT5_21rocsparse_index_base_b,@function
_ZN9rocsparseL21csrmvn_general_kernelILj256ELj16EiiaaiiEEvbT2_NS_24const_host_device_scalarIT6_EEPKT1_S7_PKS1_PKT3_PKT4_S4_PT5_21rocsparse_index_base_b: ; @_ZN9rocsparseL21csrmvn_general_kernelILj256ELj16EiiaaiiEEvbT2_NS_24const_host_device_scalarIT6_EEPKT1_S7_PKS1_PKT3_PKT4_S4_PT5_21rocsparse_index_base_b
; %bb.0:
	s_clause 0x1
	s_load_b64 s[2:3], s[0:1], 0x48
	s_load_b128 s[12:15], s[0:1], 0x8
	s_mov_b32 s6, -1
                                        ; implicit-def: $sgpr16
	s_wait_kmcnt 0x0
	s_bitcmp1_b32 s3, 0
	s_cselect_b32 s3, -1, 0
	s_delay_alu instid0(SALU_CYCLE_1) | instskip(NEXT) | instid1(SALU_CYCLE_1)
	s_xor_b32 s3, s3, -1
	s_and_b32 vcc_lo, exec_lo, s3
	s_cbranch_vccnz .LBB135_4
; %bb.1:
	s_load_b64 s[4:5], s[0:1], 0x38
	s_and_not1_b32 vcc_lo, exec_lo, s6
	s_cbranch_vccz .LBB135_5
.LBB135_2:
	s_and_b32 vcc_lo, exec_lo, s3
	s_cbranch_vccz .LBB135_6
.LBB135_3:
	s_wait_kmcnt 0x0
	s_load_b32 s17, s[4:5], 0x0
	s_cbranch_execz .LBB135_7
	s_branch .LBB135_8
.LBB135_4:
	s_load_b32 s16, s[12:13], 0x0
	s_load_b64 s[4:5], s[0:1], 0x38
	s_cbranch_execnz .LBB135_2
.LBB135_5:
	s_wait_kmcnt 0x0
	s_mov_b32 s16, s12
	s_and_b32 vcc_lo, exec_lo, s3
	s_cbranch_vccnz .LBB135_3
.LBB135_6:
                                        ; implicit-def: $sgpr17
.LBB135_7:
	s_wait_kmcnt 0x0
	s_mov_b32 s17, s4
.LBB135_8:
	s_wait_kmcnt 0x0
	s_cmp_lg_u32 s16, 0
	s_cselect_b32 s3, -1, 0
	s_cmp_lg_u32 s17, 1
	s_cselect_b32 s4, -1, 0
	s_delay_alu instid0(SALU_CYCLE_1) | instskip(NEXT) | instid1(SALU_CYCLE_1)
	s_or_b32 s3, s3, s4
	s_and_not1_b32 vcc_lo, exec_lo, s3
	s_cbranch_vccnz .LBB135_28
; %bb.9:
	s_bfe_u32 s3, ttmp6, 0x4000c
	s_load_b32 s18, s[0:1], 0x4
	s_add_co_i32 s3, s3, 1
	s_and_b32 s4, ttmp6, 15
	s_mul_i32 s3, ttmp9, s3
	s_getreg_b32 s5, hwreg(HW_REG_IB_STS2, 6, 4)
	s_add_co_i32 s4, s4, s3
	s_cmp_eq_u32 s5, 0
	s_cselect_b32 s3, ttmp9, s4
	s_delay_alu instid0(SALU_CYCLE_1) | instskip(SKIP_1) | instid1(VALU_DEP_1)
	v_lshl_or_b32 v1, s3, 8, v0
	s_mov_b32 s3, exec_lo
	v_lshrrev_b32_e32 v2, 4, v1
	s_wait_kmcnt 0x0
	s_delay_alu instid0(VALU_DEP_1)
	v_cmpx_gt_i32_e64 s18, v2
	s_cbranch_execz .LBB135_28
; %bb.10:
	v_mbcnt_lo_u32_b32 v1, -1, 0
	s_clause 0x2
	s_load_b32 s19, s[0:1], 0x50
	s_load_b64 s[12:13], s[0:1], 0x40
	s_load_b256 s[4:11], s[0:1], 0x18
	s_ashr_i32 s3, s2, 31
	s_delay_alu instid0(SALU_CYCLE_1) | instskip(SKIP_3) | instid1(VALU_DEP_1)
	s_sub_nc_u64 s[20:21], 0, s[2:3]
	v_xor_b32_e32 v7, 1, v1
	v_xor_b32_e32 v4, 4, v1
	;; [unrolled: 1-line block ×3, first 2 shown]
	v_cmp_gt_i32_e32 vcc_lo, 32, v3
	v_dual_cndmask_b32 v3, v1, v3, vcc_lo :: v_dual_bitop2_b32 v0, 15, v0 bitop3:0x40
	v_xor_b32_e32 v5, 2, v1
	v_cmp_gt_i32_e32 vcc_lo, 32, v4
	s_delay_alu instid0(VALU_DEP_3)
	v_subrev_nc_u32_e32 v6, s2, v0
	s_wait_kmcnt 0x0
	s_lshl_b32 s1, s19, 4
	v_cmp_eq_u32_e64 s0, 15, v0
	v_xad_u32 v11, v0, -1, s2
	v_cndmask_b32_e32 v4, v1, v4, vcc_lo
	v_cmp_gt_i32_e32 vcc_lo, 32, v5
	s_cmp_lg_u32 s17, 0
	s_add_nc_u64 s[10:11], s[10:11], s[20:21]
	s_cselect_b32 s3, -1, 0
	v_dual_cndmask_b32 v5, v1, v5 :: v_dual_lshlrev_b32 v8, 2, v4
	v_cmp_gt_i32_e32 vcc_lo, 32, v7
	s_mov_b32 s19, 0
	s_mov_b32 s20, s16
	v_cndmask_b32_e32 v1, v1, v7, vcc_lo
	v_dual_lshlrev_b32 v7, 2, v3 :: v_dual_bitop2_b32 v3, 16, v0 bitop3:0x54
	v_lshlrev_b32_e32 v9, 2, v5
	s_delay_alu instid0(VALU_DEP_3) | instskip(NEXT) | instid1(VALU_DEP_3)
	v_lshlrev_b32_e32 v10, 2, v1
	v_subrev_nc_u32_e32 v12, s2, v3
	s_branch .LBB135_13
.LBB135_11:                             ;   in Loop: Header=BB135_13 Depth=1
	global_store_b32 v[0:1], v4, off
.LBB135_12:                             ;   in Loop: Header=BB135_13 Depth=1
	s_wait_xcnt 0x0
	s_or_b32 exec_lo, exec_lo, s21
	v_add_nc_u32_e32 v2, s1, v2
	s_delay_alu instid0(VALU_DEP_1) | instskip(SKIP_1) | instid1(SALU_CYCLE_1)
	v_cmp_le_i32_e32 vcc_lo, s18, v2
	s_or_b32 s19, vcc_lo, s19
	s_and_not1_b32 exec_lo, exec_lo, s19
	s_cbranch_execz .LBB135_28
.LBB135_13:                             ; =>This Loop Header: Depth=1
                                        ;     Child Loop BB135_17 Depth 2
                                        ;     Child Loop BB135_22 Depth 2
	s_clause 0x1
	global_load_b32 v0, v2, s[4:5] scale_offset
	global_load_b32 v4, v2, s[14:15] scale_offset
	s_mov_b32 s21, exec_lo
	s_wait_dscnt 0x0
	v_mov_b32_e32 v1, 0
	s_wait_loadcnt 0x1
	v_subrev_nc_u32_e32 v3, s2, v0
	s_wait_loadcnt 0x0
	v_add_nc_u32_e32 v0, v4, v6
	s_wait_xcnt 0x0
	s_delay_alu instid0(VALU_DEP_1)
	v_cmpx_lt_i32_e64 v0, v3
	s_cbranch_execz .LBB135_25
; %bb.14:                               ;   in Loop: Header=BB135_13 Depth=1
	v_add_max_i32_e64 v1, v12, v4, v3
	s_mov_b32 s23, exec_lo
	s_delay_alu instid0(VALU_DEP_1) | instskip(NEXT) | instid1(VALU_DEP_1)
	v_add_nc_u32_e32 v1, v11, v1
	v_dual_mov_b32 v1, 0 :: v_dual_sub_nc_u32 v4, v1, v4
	s_delay_alu instid0(VALU_DEP_1)
	v_cmp_gt_u32_e64 s22, 0xd0, v4
	v_cmpx_lt_u32_e32 0xcf, v4
	s_cbranch_execz .LBB135_20
; %bb.15:                               ;   in Loop: Header=BB135_13 Depth=1
	v_and_b32_e32 v1, -16, v4
	s_mov_b32 s25, -1
	s_delay_alu instid0(VALU_DEP_1) | instskip(NEXT) | instid1(VALU_DEP_1)
	v_add_nc_u32_e32 v1, v0, v1
	v_cmp_ge_i32_e32 vcc_lo, v1, v0
	v_mov_b32_e32 v1, 0
	s_and_saveexec_b32 s24, vcc_lo
	s_cbranch_execz .LBB135_19
; %bb.16:                               ;   in Loop: Header=BB135_13 Depth=1
	v_dual_lshrrev_b32 v1, 4, v4 :: v_dual_mov_b32 v15, 0
	s_mov_b32 s25, 0
	s_delay_alu instid0(VALU_DEP_1) | instskip(NEXT) | instid1(VALU_DEP_1)
	v_dual_add_nc_u32 v13, 1, v1 :: v_dual_add_nc_u32 v1, 16, v0
	v_and_b32_e32 v14, 0x1ffffffe, v13
	s_delay_alu instid0(VALU_DEP_2) | instskip(NEXT) | instid1(VALU_DEP_2)
	v_mov_b64_e32 v[4:5], v[0:1]
	v_dual_mov_b32 v16, 0 :: v_dual_mov_b32 v17, v14
.LBB135_17:                             ;   Parent Loop BB135_13 Depth=1
                                        ; =>  This Inner Loop Header: Depth=2
	s_clause 0x1
	global_load_b32 v1, v5, s[6:7] scale_offset
	global_load_b32 v18, v4, s[6:7] scale_offset
	s_clause 0x1
	global_load_i8 v19, v5, s[8:9]
	global_load_i8 v20, v4, s[8:9]
	s_wait_xcnt 0x0
	v_dual_add_nc_u32 v17, -2, v17 :: v_dual_add_nc_u32 v4, 32, v4
	v_add_nc_u32_e32 v5, 32, v5
	s_wait_loadcnt 0x3
	global_load_i8 v21, v1, s[10:11]
	s_wait_loadcnt 0x3
	global_load_i8 v22, v18, s[10:11]
	s_wait_loadcnt 0x3
	s_wait_xcnt 0x1
	v_mul_lo_u32 v1, s20, v19
	s_wait_loadcnt 0x2
	s_wait_xcnt 0x0
	v_mul_lo_u32 v18, s16, v20
	v_cmp_eq_u32_e32 vcc_lo, 0, v17
	s_or_b32 s25, vcc_lo, s25
	s_wait_loadcnt 0x1
	s_delay_alu instid0(VALU_DEP_3) | instskip(SKIP_1) | instid1(VALU_DEP_3)
	v_mad_u32 v16, v1, v21, v16
	s_wait_loadcnt 0x0
	v_mad_u32 v15, v18, v22, v15
	s_and_not1_b32 exec_lo, exec_lo, s25
	s_cbranch_execnz .LBB135_17
; %bb.18:                               ;   in Loop: Header=BB135_13 Depth=1
	s_or_b32 exec_lo, exec_lo, s25
	v_cmp_ne_u32_e32 vcc_lo, v13, v14
	v_lshl_add_u32 v0, v14, 4, v0
	s_delay_alu instid0(VALU_DEP_3)
	v_add_nc_u32_e32 v1, v15, v16
	s_or_not1_b32 s25, vcc_lo, exec_lo
.LBB135_19:                             ;   in Loop: Header=BB135_13 Depth=1
	s_or_b32 exec_lo, exec_lo, s24
	s_delay_alu instid0(SALU_CYCLE_1) | instskip(SKIP_1) | instid1(SALU_CYCLE_1)
	s_and_not1_b32 s22, s22, exec_lo
	s_and_b32 s24, s25, exec_lo
	s_or_b32 s22, s22, s24
.LBB135_20:                             ;   in Loop: Header=BB135_13 Depth=1
	s_or_b32 exec_lo, exec_lo, s23
	s_and_saveexec_b32 s23, s22
	s_cbranch_execz .LBB135_24
; %bb.21:                               ;   in Loop: Header=BB135_13 Depth=1
	s_mov_b32 s22, 0
.LBB135_22:                             ;   Parent Loop BB135_13 Depth=1
                                        ; =>  This Inner Loop Header: Depth=2
	s_clause 0x1
	global_load_b32 v4, v0, s[6:7] scale_offset
	global_load_i8 v5, v0, s[8:9]
	s_wait_xcnt 0x0
	v_add_nc_u32_e32 v0, 16, v0
	s_delay_alu instid0(VALU_DEP_1)
	v_cmp_ge_i32_e32 vcc_lo, v0, v3
	s_or_b32 s22, vcc_lo, s22
	s_wait_loadcnt 0x1
	global_load_i8 v4, v4, s[10:11]
	s_wait_loadcnt 0x1
	v_mul_lo_u32 v5, s16, v5
	s_wait_loadcnt 0x0
	s_delay_alu instid0(VALU_DEP_1)
	v_mad_u32 v1, v5, v4, v1
	s_wait_xcnt 0x0
	s_and_not1_b32 exec_lo, exec_lo, s22
	s_cbranch_execnz .LBB135_22
; %bb.23:                               ;   in Loop: Header=BB135_13 Depth=1
	s_or_b32 exec_lo, exec_lo, s22
.LBB135_24:                             ;   in Loop: Header=BB135_13 Depth=1
	s_delay_alu instid0(SALU_CYCLE_1)
	s_or_b32 exec_lo, exec_lo, s23
.LBB135_25:                             ;   in Loop: Header=BB135_13 Depth=1
	s_delay_alu instid0(SALU_CYCLE_1)
	s_or_b32 exec_lo, exec_lo, s21
	ds_bpermute_b32 v0, v7, v1
	s_wait_dscnt 0x0
	v_dual_ashrrev_i32 v3, 31, v2 :: v_dual_add_nc_u32 v0, v0, v1
	ds_bpermute_b32 v1, v8, v0
	s_wait_dscnt 0x0
	v_add_nc_u32_e32 v0, v1, v0
	ds_bpermute_b32 v1, v9, v0
	s_wait_dscnt 0x0
	v_add_nc_u32_e32 v0, v1, v0
	ds_bpermute_b32 v1, v10, v0
	s_and_saveexec_b32 s21, s0
	s_cbranch_execz .LBB135_12
; %bb.26:                               ;   in Loop: Header=BB135_13 Depth=1
	s_wait_dscnt 0x0
	v_add_nc_u32_e32 v4, v1, v0
	v_lshl_add_u64 v[0:1], v[2:3], 2, s[12:13]
	s_and_not1_b32 vcc_lo, exec_lo, s3
	s_cbranch_vccnz .LBB135_11
; %bb.27:                               ;   in Loop: Header=BB135_13 Depth=1
	global_load_b32 v3, v[0:1], off
	s_wait_loadcnt 0x0
	v_mad_u32 v4, v3, s17, v4
	s_branch .LBB135_11
.LBB135_28:
	s_endpgm
	.section	.rodata,"a",@progbits
	.p2align	6, 0x0
	.amdhsa_kernel _ZN9rocsparseL21csrmvn_general_kernelILj256ELj16EiiaaiiEEvbT2_NS_24const_host_device_scalarIT6_EEPKT1_S7_PKS1_PKT3_PKT4_S4_PT5_21rocsparse_index_base_b
		.amdhsa_group_segment_fixed_size 0
		.amdhsa_private_segment_fixed_size 0
		.amdhsa_kernarg_size 336
		.amdhsa_user_sgpr_count 2
		.amdhsa_user_sgpr_dispatch_ptr 0
		.amdhsa_user_sgpr_queue_ptr 0
		.amdhsa_user_sgpr_kernarg_segment_ptr 1
		.amdhsa_user_sgpr_dispatch_id 0
		.amdhsa_user_sgpr_kernarg_preload_length 0
		.amdhsa_user_sgpr_kernarg_preload_offset 0
		.amdhsa_user_sgpr_private_segment_size 0
		.amdhsa_wavefront_size32 1
		.amdhsa_uses_dynamic_stack 0
		.amdhsa_enable_private_segment 0
		.amdhsa_system_sgpr_workgroup_id_x 1
		.amdhsa_system_sgpr_workgroup_id_y 0
		.amdhsa_system_sgpr_workgroup_id_z 0
		.amdhsa_system_sgpr_workgroup_info 0
		.amdhsa_system_vgpr_workitem_id 0
		.amdhsa_next_free_vgpr 23
		.amdhsa_next_free_sgpr 26
		.amdhsa_named_barrier_count 0
		.amdhsa_reserve_vcc 1
		.amdhsa_float_round_mode_32 0
		.amdhsa_float_round_mode_16_64 0
		.amdhsa_float_denorm_mode_32 3
		.amdhsa_float_denorm_mode_16_64 3
		.amdhsa_fp16_overflow 0
		.amdhsa_memory_ordered 1
		.amdhsa_forward_progress 1
		.amdhsa_inst_pref_size 10
		.amdhsa_round_robin_scheduling 0
		.amdhsa_exception_fp_ieee_invalid_op 0
		.amdhsa_exception_fp_denorm_src 0
		.amdhsa_exception_fp_ieee_div_zero 0
		.amdhsa_exception_fp_ieee_overflow 0
		.amdhsa_exception_fp_ieee_underflow 0
		.amdhsa_exception_fp_ieee_inexact 0
		.amdhsa_exception_int_div_zero 0
	.end_amdhsa_kernel
	.section	.text._ZN9rocsparseL21csrmvn_general_kernelILj256ELj16EiiaaiiEEvbT2_NS_24const_host_device_scalarIT6_EEPKT1_S7_PKS1_PKT3_PKT4_S4_PT5_21rocsparse_index_base_b,"axG",@progbits,_ZN9rocsparseL21csrmvn_general_kernelILj256ELj16EiiaaiiEEvbT2_NS_24const_host_device_scalarIT6_EEPKT1_S7_PKS1_PKT3_PKT4_S4_PT5_21rocsparse_index_base_b,comdat
.Lfunc_end135:
	.size	_ZN9rocsparseL21csrmvn_general_kernelILj256ELj16EiiaaiiEEvbT2_NS_24const_host_device_scalarIT6_EEPKT1_S7_PKS1_PKT3_PKT4_S4_PT5_21rocsparse_index_base_b, .Lfunc_end135-_ZN9rocsparseL21csrmvn_general_kernelILj256ELj16EiiaaiiEEvbT2_NS_24const_host_device_scalarIT6_EEPKT1_S7_PKS1_PKT3_PKT4_S4_PT5_21rocsparse_index_base_b
                                        ; -- End function
	.set _ZN9rocsparseL21csrmvn_general_kernelILj256ELj16EiiaaiiEEvbT2_NS_24const_host_device_scalarIT6_EEPKT1_S7_PKS1_PKT3_PKT4_S4_PT5_21rocsparse_index_base_b.num_vgpr, 23
	.set _ZN9rocsparseL21csrmvn_general_kernelILj256ELj16EiiaaiiEEvbT2_NS_24const_host_device_scalarIT6_EEPKT1_S7_PKS1_PKT3_PKT4_S4_PT5_21rocsparse_index_base_b.num_agpr, 0
	.set _ZN9rocsparseL21csrmvn_general_kernelILj256ELj16EiiaaiiEEvbT2_NS_24const_host_device_scalarIT6_EEPKT1_S7_PKS1_PKT3_PKT4_S4_PT5_21rocsparse_index_base_b.numbered_sgpr, 26
	.set _ZN9rocsparseL21csrmvn_general_kernelILj256ELj16EiiaaiiEEvbT2_NS_24const_host_device_scalarIT6_EEPKT1_S7_PKS1_PKT3_PKT4_S4_PT5_21rocsparse_index_base_b.num_named_barrier, 0
	.set _ZN9rocsparseL21csrmvn_general_kernelILj256ELj16EiiaaiiEEvbT2_NS_24const_host_device_scalarIT6_EEPKT1_S7_PKS1_PKT3_PKT4_S4_PT5_21rocsparse_index_base_b.private_seg_size, 0
	.set _ZN9rocsparseL21csrmvn_general_kernelILj256ELj16EiiaaiiEEvbT2_NS_24const_host_device_scalarIT6_EEPKT1_S7_PKS1_PKT3_PKT4_S4_PT5_21rocsparse_index_base_b.uses_vcc, 1
	.set _ZN9rocsparseL21csrmvn_general_kernelILj256ELj16EiiaaiiEEvbT2_NS_24const_host_device_scalarIT6_EEPKT1_S7_PKS1_PKT3_PKT4_S4_PT5_21rocsparse_index_base_b.uses_flat_scratch, 0
	.set _ZN9rocsparseL21csrmvn_general_kernelILj256ELj16EiiaaiiEEvbT2_NS_24const_host_device_scalarIT6_EEPKT1_S7_PKS1_PKT3_PKT4_S4_PT5_21rocsparse_index_base_b.has_dyn_sized_stack, 0
	.set _ZN9rocsparseL21csrmvn_general_kernelILj256ELj16EiiaaiiEEvbT2_NS_24const_host_device_scalarIT6_EEPKT1_S7_PKS1_PKT3_PKT4_S4_PT5_21rocsparse_index_base_b.has_recursion, 0
	.set _ZN9rocsparseL21csrmvn_general_kernelILj256ELj16EiiaaiiEEvbT2_NS_24const_host_device_scalarIT6_EEPKT1_S7_PKS1_PKT3_PKT4_S4_PT5_21rocsparse_index_base_b.has_indirect_call, 0
	.section	.AMDGPU.csdata,"",@progbits
; Kernel info:
; codeLenInByte = 1216
; TotalNumSgprs: 28
; NumVgprs: 23
; ScratchSize: 0
; MemoryBound: 0
; FloatMode: 240
; IeeeMode: 1
; LDSByteSize: 0 bytes/workgroup (compile time only)
; SGPRBlocks: 0
; VGPRBlocks: 1
; NumSGPRsForWavesPerEU: 28
; NumVGPRsForWavesPerEU: 23
; NamedBarCnt: 0
; Occupancy: 16
; WaveLimiterHint : 1
; COMPUTE_PGM_RSRC2:SCRATCH_EN: 0
; COMPUTE_PGM_RSRC2:USER_SGPR: 2
; COMPUTE_PGM_RSRC2:TRAP_HANDLER: 0
; COMPUTE_PGM_RSRC2:TGID_X_EN: 1
; COMPUTE_PGM_RSRC2:TGID_Y_EN: 0
; COMPUTE_PGM_RSRC2:TGID_Z_EN: 0
; COMPUTE_PGM_RSRC2:TIDIG_COMP_CNT: 0
	.section	.text._ZN9rocsparseL21csrmvn_general_kernelILj256ELj32EiiaaiiEEvbT2_NS_24const_host_device_scalarIT6_EEPKT1_S7_PKS1_PKT3_PKT4_S4_PT5_21rocsparse_index_base_b,"axG",@progbits,_ZN9rocsparseL21csrmvn_general_kernelILj256ELj32EiiaaiiEEvbT2_NS_24const_host_device_scalarIT6_EEPKT1_S7_PKS1_PKT3_PKT4_S4_PT5_21rocsparse_index_base_b,comdat
	.globl	_ZN9rocsparseL21csrmvn_general_kernelILj256ELj32EiiaaiiEEvbT2_NS_24const_host_device_scalarIT6_EEPKT1_S7_PKS1_PKT3_PKT4_S4_PT5_21rocsparse_index_base_b ; -- Begin function _ZN9rocsparseL21csrmvn_general_kernelILj256ELj32EiiaaiiEEvbT2_NS_24const_host_device_scalarIT6_EEPKT1_S7_PKS1_PKT3_PKT4_S4_PT5_21rocsparse_index_base_b
	.p2align	8
	.type	_ZN9rocsparseL21csrmvn_general_kernelILj256ELj32EiiaaiiEEvbT2_NS_24const_host_device_scalarIT6_EEPKT1_S7_PKS1_PKT3_PKT4_S4_PT5_21rocsparse_index_base_b,@function
_ZN9rocsparseL21csrmvn_general_kernelILj256ELj32EiiaaiiEEvbT2_NS_24const_host_device_scalarIT6_EEPKT1_S7_PKS1_PKT3_PKT4_S4_PT5_21rocsparse_index_base_b: ; @_ZN9rocsparseL21csrmvn_general_kernelILj256ELj32EiiaaiiEEvbT2_NS_24const_host_device_scalarIT6_EEPKT1_S7_PKS1_PKT3_PKT4_S4_PT5_21rocsparse_index_base_b
; %bb.0:
	s_clause 0x1
	s_load_b64 s[2:3], s[0:1], 0x48
	s_load_b128 s[12:15], s[0:1], 0x8
	s_mov_b32 s6, -1
                                        ; implicit-def: $sgpr16
	s_wait_kmcnt 0x0
	s_bitcmp1_b32 s3, 0
	s_cselect_b32 s3, -1, 0
	s_delay_alu instid0(SALU_CYCLE_1) | instskip(NEXT) | instid1(SALU_CYCLE_1)
	s_xor_b32 s3, s3, -1
	s_and_b32 vcc_lo, exec_lo, s3
	s_cbranch_vccnz .LBB136_4
; %bb.1:
	s_load_b64 s[4:5], s[0:1], 0x38
	s_and_not1_b32 vcc_lo, exec_lo, s6
	s_cbranch_vccz .LBB136_5
.LBB136_2:
	s_and_b32 vcc_lo, exec_lo, s3
	s_cbranch_vccz .LBB136_6
.LBB136_3:
	s_wait_kmcnt 0x0
	s_load_b32 s17, s[4:5], 0x0
	s_cbranch_execz .LBB136_7
	s_branch .LBB136_8
.LBB136_4:
	s_load_b32 s16, s[12:13], 0x0
	s_load_b64 s[4:5], s[0:1], 0x38
	s_cbranch_execnz .LBB136_2
.LBB136_5:
	s_wait_kmcnt 0x0
	s_mov_b32 s16, s12
	s_and_b32 vcc_lo, exec_lo, s3
	s_cbranch_vccnz .LBB136_3
.LBB136_6:
                                        ; implicit-def: $sgpr17
.LBB136_7:
	s_wait_kmcnt 0x0
	s_mov_b32 s17, s4
.LBB136_8:
	s_wait_kmcnt 0x0
	s_cmp_lg_u32 s16, 0
	s_cselect_b32 s3, -1, 0
	s_cmp_lg_u32 s17, 1
	s_cselect_b32 s4, -1, 0
	s_delay_alu instid0(SALU_CYCLE_1) | instskip(NEXT) | instid1(SALU_CYCLE_1)
	s_or_b32 s3, s3, s4
	s_and_not1_b32 vcc_lo, exec_lo, s3
	s_cbranch_vccnz .LBB136_28
; %bb.9:
	s_bfe_u32 s3, ttmp6, 0x4000c
	s_load_b32 s18, s[0:1], 0x4
	s_add_co_i32 s3, s3, 1
	s_and_b32 s4, ttmp6, 15
	s_mul_i32 s3, ttmp9, s3
	s_getreg_b32 s5, hwreg(HW_REG_IB_STS2, 6, 4)
	s_add_co_i32 s4, s4, s3
	s_cmp_eq_u32 s5, 0
	s_cselect_b32 s3, ttmp9, s4
	s_delay_alu instid0(SALU_CYCLE_1) | instskip(SKIP_1) | instid1(VALU_DEP_1)
	v_lshl_or_b32 v1, s3, 8, v0
	s_mov_b32 s3, exec_lo
	v_lshrrev_b32_e32 v2, 5, v1
	s_wait_kmcnt 0x0
	s_delay_alu instid0(VALU_DEP_1)
	v_cmpx_gt_i32_e64 s18, v2
	s_cbranch_execz .LBB136_28
; %bb.10:
	v_mbcnt_lo_u32_b32 v1, -1, 0
	s_clause 0x2
	s_load_b32 s19, s[0:1], 0x50
	s_load_b64 s[12:13], s[0:1], 0x40
	s_load_b256 s[4:11], s[0:1], 0x18
	s_ashr_i32 s3, s2, 31
	s_delay_alu instid0(SALU_CYCLE_1) | instskip(SKIP_4) | instid1(VALU_DEP_3)
	s_sub_nc_u64 s[20:21], 0, s[2:3]
	v_xor_b32_e32 v4, 8, v1
	v_xor_b32_e32 v3, 16, v1
	v_xor_b32_e32 v8, 2, v1
	v_xor_b32_e32 v5, 4, v1
	v_cmp_gt_i32_e32 vcc_lo, 32, v3
	v_dual_cndmask_b32 v3, v1, v3, vcc_lo :: v_dual_bitop2_b32 v0, 31, v0 bitop3:0x40
	s_delay_alu instid0(VALU_DEP_1)
	v_subrev_nc_u32_e32 v6, s2, v0
	s_wait_xcnt 0x0
	v_cmp_eq_u32_e64 s0, 31, v0
	s_wait_kmcnt 0x0
	s_lshl_b32 s1, s19, 3
	v_xad_u32 v12, v0, -1, s2
	v_lshlrev_b32_e32 v7, 2, v3
	v_cmp_gt_i32_e32 vcc_lo, 32, v4
	s_cmp_lg_u32 s17, 0
	s_add_nc_u64 s[10:11], s[10:11], s[20:21]
	s_cselect_b32 s3, -1, 0
	s_mov_b32 s19, 0
	v_cndmask_b32_e32 v4, v1, v4, vcc_lo
	v_cmp_gt_i32_e32 vcc_lo, 32, v5
	v_xor_b32_e32 v9, 1, v1
	s_mov_b32 s20, s16
	v_cndmask_b32_e32 v5, v1, v5, vcc_lo
	v_cmp_gt_i32_e32 vcc_lo, 32, v8
	v_cndmask_b32_e32 v3, v1, v8, vcc_lo
	v_lshlrev_b32_e32 v8, 2, v4
	v_cmp_gt_i32_e32 vcc_lo, 32, v9
	s_delay_alu instid0(VALU_DEP_3) | instskip(SKIP_2) | instid1(VALU_DEP_3)
	v_dual_lshlrev_b32 v10, 2, v3 :: v_dual_bitop2_b32 v3, 32, v0 bitop3:0x54
	v_cndmask_b32_e32 v1, v1, v9, vcc_lo
	v_lshlrev_b32_e32 v9, 2, v5
	v_subrev_nc_u32_e32 v13, s2, v3
	s_delay_alu instid0(VALU_DEP_3)
	v_lshlrev_b32_e32 v11, 2, v1
	s_branch .LBB136_13
.LBB136_11:                             ;   in Loop: Header=BB136_13 Depth=1
	global_store_b32 v[0:1], v4, off
.LBB136_12:                             ;   in Loop: Header=BB136_13 Depth=1
	s_wait_xcnt 0x0
	s_or_b32 exec_lo, exec_lo, s21
	v_add_nc_u32_e32 v2, s1, v2
	s_delay_alu instid0(VALU_DEP_1) | instskip(SKIP_1) | instid1(SALU_CYCLE_1)
	v_cmp_le_i32_e32 vcc_lo, s18, v2
	s_or_b32 s19, vcc_lo, s19
	s_and_not1_b32 exec_lo, exec_lo, s19
	s_cbranch_execz .LBB136_28
.LBB136_13:                             ; =>This Loop Header: Depth=1
                                        ;     Child Loop BB136_17 Depth 2
                                        ;     Child Loop BB136_22 Depth 2
	s_clause 0x1
	global_load_b32 v0, v2, s[4:5] scale_offset
	global_load_b32 v4, v2, s[14:15] scale_offset
	s_mov_b32 s21, exec_lo
	s_wait_dscnt 0x0
	v_mov_b32_e32 v1, 0
	s_wait_loadcnt 0x1
	v_subrev_nc_u32_e32 v3, s2, v0
	s_wait_loadcnt 0x0
	v_add_nc_u32_e32 v0, v4, v6
	s_wait_xcnt 0x0
	s_delay_alu instid0(VALU_DEP_1)
	v_cmpx_lt_i32_e64 v0, v3
	s_cbranch_execz .LBB136_25
; %bb.14:                               ;   in Loop: Header=BB136_13 Depth=1
	v_add_max_i32_e64 v1, v13, v4, v3
	s_mov_b32 s23, exec_lo
	s_delay_alu instid0(VALU_DEP_1) | instskip(NEXT) | instid1(VALU_DEP_1)
	v_add_nc_u32_e32 v1, v12, v1
	v_dual_mov_b32 v1, 0 :: v_dual_sub_nc_u32 v4, v1, v4
	s_delay_alu instid0(VALU_DEP_1)
	v_cmp_gt_u32_e64 s22, 0x1a0, v4
	v_cmpx_lt_u32_e32 0x19f, v4
	s_cbranch_execz .LBB136_20
; %bb.15:                               ;   in Loop: Header=BB136_13 Depth=1
	v_and_b32_e32 v1, 0xffffffe0, v4
	s_mov_b32 s25, -1
	s_delay_alu instid0(VALU_DEP_1) | instskip(NEXT) | instid1(VALU_DEP_1)
	v_add_nc_u32_e32 v1, v0, v1
	v_cmp_ge_i32_e32 vcc_lo, v1, v0
	v_mov_b32_e32 v1, 0
	s_and_saveexec_b32 s24, vcc_lo
	s_cbranch_execz .LBB136_19
; %bb.16:                               ;   in Loop: Header=BB136_13 Depth=1
	v_dual_mov_b32 v16, 0 :: v_dual_lshrrev_b32 v1, 5, v4
	s_mov_b32 s25, 0
	s_delay_alu instid0(VALU_DEP_1) | instskip(NEXT) | instid1(VALU_DEP_1)
	v_dual_add_nc_u32 v14, 1, v1 :: v_dual_add_nc_u32 v1, 32, v0
	v_and_b32_e32 v15, 0xffffffe, v14
	s_delay_alu instid0(VALU_DEP_2) | instskip(NEXT) | instid1(VALU_DEP_2)
	v_mov_b64_e32 v[4:5], v[0:1]
	v_dual_mov_b32 v17, 0 :: v_dual_mov_b32 v18, v15
.LBB136_17:                             ;   Parent Loop BB136_13 Depth=1
                                        ; =>  This Inner Loop Header: Depth=2
	s_clause 0x1
	global_load_b32 v1, v5, s[6:7] scale_offset
	global_load_b32 v19, v4, s[6:7] scale_offset
	s_clause 0x1
	global_load_i8 v20, v5, s[8:9]
	global_load_i8 v21, v4, s[8:9]
	s_wait_xcnt 0x1
	v_dual_add_nc_u32 v18, -2, v18 :: v_dual_add_nc_u32 v5, 64, v5
	s_wait_xcnt 0x0
	v_add_nc_u32_e32 v4, 64, v4
	s_wait_loadcnt 0x3
	global_load_i8 v22, v1, s[10:11]
	s_wait_loadcnt 0x3
	global_load_i8 v23, v19, s[10:11]
	s_wait_loadcnt 0x3
	s_wait_xcnt 0x1
	v_mul_lo_u32 v1, s20, v20
	s_wait_loadcnt 0x2
	s_wait_xcnt 0x0
	v_mul_lo_u32 v19, s16, v21
	v_cmp_eq_u32_e32 vcc_lo, 0, v18
	s_or_b32 s25, vcc_lo, s25
	s_wait_loadcnt 0x1
	s_delay_alu instid0(VALU_DEP_3) | instskip(SKIP_1) | instid1(VALU_DEP_3)
	v_mad_u32 v17, v1, v22, v17
	s_wait_loadcnt 0x0
	v_mad_u32 v16, v19, v23, v16
	s_and_not1_b32 exec_lo, exec_lo, s25
	s_cbranch_execnz .LBB136_17
; %bb.18:                               ;   in Loop: Header=BB136_13 Depth=1
	s_or_b32 exec_lo, exec_lo, s25
	v_cmp_ne_u32_e32 vcc_lo, v14, v15
	v_lshl_add_u32 v0, v15, 5, v0
	s_delay_alu instid0(VALU_DEP_3)
	v_add_nc_u32_e32 v1, v16, v17
	s_or_not1_b32 s25, vcc_lo, exec_lo
.LBB136_19:                             ;   in Loop: Header=BB136_13 Depth=1
	s_or_b32 exec_lo, exec_lo, s24
	s_delay_alu instid0(SALU_CYCLE_1) | instskip(SKIP_1) | instid1(SALU_CYCLE_1)
	s_and_not1_b32 s22, s22, exec_lo
	s_and_b32 s24, s25, exec_lo
	s_or_b32 s22, s22, s24
.LBB136_20:                             ;   in Loop: Header=BB136_13 Depth=1
	s_or_b32 exec_lo, exec_lo, s23
	s_and_saveexec_b32 s23, s22
	s_cbranch_execz .LBB136_24
; %bb.21:                               ;   in Loop: Header=BB136_13 Depth=1
	s_mov_b32 s22, 0
.LBB136_22:                             ;   Parent Loop BB136_13 Depth=1
                                        ; =>  This Inner Loop Header: Depth=2
	s_clause 0x1
	global_load_b32 v4, v0, s[6:7] scale_offset
	global_load_i8 v5, v0, s[8:9]
	s_wait_xcnt 0x0
	v_add_nc_u32_e32 v0, 32, v0
	s_delay_alu instid0(VALU_DEP_1)
	v_cmp_ge_i32_e32 vcc_lo, v0, v3
	s_or_b32 s22, vcc_lo, s22
	s_wait_loadcnt 0x1
	global_load_i8 v4, v4, s[10:11]
	s_wait_loadcnt 0x1
	v_mul_lo_u32 v5, s16, v5
	s_wait_loadcnt 0x0
	s_delay_alu instid0(VALU_DEP_1)
	v_mad_u32 v1, v5, v4, v1
	s_wait_xcnt 0x0
	s_and_not1_b32 exec_lo, exec_lo, s22
	s_cbranch_execnz .LBB136_22
; %bb.23:                               ;   in Loop: Header=BB136_13 Depth=1
	s_or_b32 exec_lo, exec_lo, s22
.LBB136_24:                             ;   in Loop: Header=BB136_13 Depth=1
	s_delay_alu instid0(SALU_CYCLE_1)
	s_or_b32 exec_lo, exec_lo, s23
.LBB136_25:                             ;   in Loop: Header=BB136_13 Depth=1
	s_delay_alu instid0(SALU_CYCLE_1)
	s_or_b32 exec_lo, exec_lo, s21
	ds_bpermute_b32 v0, v7, v1
	s_wait_dscnt 0x0
	v_dual_ashrrev_i32 v3, 31, v2 :: v_dual_add_nc_u32 v0, v0, v1
	ds_bpermute_b32 v1, v8, v0
	s_wait_dscnt 0x0
	v_add_nc_u32_e32 v0, v1, v0
	ds_bpermute_b32 v1, v9, v0
	s_wait_dscnt 0x0
	v_add_nc_u32_e32 v0, v1, v0
	;; [unrolled: 3-line block ×3, first 2 shown]
	ds_bpermute_b32 v1, v11, v0
	s_and_saveexec_b32 s21, s0
	s_cbranch_execz .LBB136_12
; %bb.26:                               ;   in Loop: Header=BB136_13 Depth=1
	s_wait_dscnt 0x0
	v_add_nc_u32_e32 v4, v1, v0
	v_lshl_add_u64 v[0:1], v[2:3], 2, s[12:13]
	s_and_not1_b32 vcc_lo, exec_lo, s3
	s_cbranch_vccnz .LBB136_11
; %bb.27:                               ;   in Loop: Header=BB136_13 Depth=1
	global_load_b32 v3, v[0:1], off
	s_wait_loadcnt 0x0
	v_mad_u32 v4, v3, s17, v4
	s_branch .LBB136_11
.LBB136_28:
	s_endpgm
	.section	.rodata,"a",@progbits
	.p2align	6, 0x0
	.amdhsa_kernel _ZN9rocsparseL21csrmvn_general_kernelILj256ELj32EiiaaiiEEvbT2_NS_24const_host_device_scalarIT6_EEPKT1_S7_PKS1_PKT3_PKT4_S4_PT5_21rocsparse_index_base_b
		.amdhsa_group_segment_fixed_size 0
		.amdhsa_private_segment_fixed_size 0
		.amdhsa_kernarg_size 336
		.amdhsa_user_sgpr_count 2
		.amdhsa_user_sgpr_dispatch_ptr 0
		.amdhsa_user_sgpr_queue_ptr 0
		.amdhsa_user_sgpr_kernarg_segment_ptr 1
		.amdhsa_user_sgpr_dispatch_id 0
		.amdhsa_user_sgpr_kernarg_preload_length 0
		.amdhsa_user_sgpr_kernarg_preload_offset 0
		.amdhsa_user_sgpr_private_segment_size 0
		.amdhsa_wavefront_size32 1
		.amdhsa_uses_dynamic_stack 0
		.amdhsa_enable_private_segment 0
		.amdhsa_system_sgpr_workgroup_id_x 1
		.amdhsa_system_sgpr_workgroup_id_y 0
		.amdhsa_system_sgpr_workgroup_id_z 0
		.amdhsa_system_sgpr_workgroup_info 0
		.amdhsa_system_vgpr_workitem_id 0
		.amdhsa_next_free_vgpr 24
		.amdhsa_next_free_sgpr 26
		.amdhsa_named_barrier_count 0
		.amdhsa_reserve_vcc 1
		.amdhsa_float_round_mode_32 0
		.amdhsa_float_round_mode_16_64 0
		.amdhsa_float_denorm_mode_32 3
		.amdhsa_float_denorm_mode_16_64 3
		.amdhsa_fp16_overflow 0
		.amdhsa_memory_ordered 1
		.amdhsa_forward_progress 1
		.amdhsa_inst_pref_size 10
		.amdhsa_round_robin_scheduling 0
		.amdhsa_exception_fp_ieee_invalid_op 0
		.amdhsa_exception_fp_denorm_src 0
		.amdhsa_exception_fp_ieee_div_zero 0
		.amdhsa_exception_fp_ieee_overflow 0
		.amdhsa_exception_fp_ieee_underflow 0
		.amdhsa_exception_fp_ieee_inexact 0
		.amdhsa_exception_int_div_zero 0
	.end_amdhsa_kernel
	.section	.text._ZN9rocsparseL21csrmvn_general_kernelILj256ELj32EiiaaiiEEvbT2_NS_24const_host_device_scalarIT6_EEPKT1_S7_PKS1_PKT3_PKT4_S4_PT5_21rocsparse_index_base_b,"axG",@progbits,_ZN9rocsparseL21csrmvn_general_kernelILj256ELj32EiiaaiiEEvbT2_NS_24const_host_device_scalarIT6_EEPKT1_S7_PKS1_PKT3_PKT4_S4_PT5_21rocsparse_index_base_b,comdat
.Lfunc_end136:
	.size	_ZN9rocsparseL21csrmvn_general_kernelILj256ELj32EiiaaiiEEvbT2_NS_24const_host_device_scalarIT6_EEPKT1_S7_PKS1_PKT3_PKT4_S4_PT5_21rocsparse_index_base_b, .Lfunc_end136-_ZN9rocsparseL21csrmvn_general_kernelILj256ELj32EiiaaiiEEvbT2_NS_24const_host_device_scalarIT6_EEPKT1_S7_PKS1_PKT3_PKT4_S4_PT5_21rocsparse_index_base_b
                                        ; -- End function
	.set _ZN9rocsparseL21csrmvn_general_kernelILj256ELj32EiiaaiiEEvbT2_NS_24const_host_device_scalarIT6_EEPKT1_S7_PKS1_PKT3_PKT4_S4_PT5_21rocsparse_index_base_b.num_vgpr, 24
	.set _ZN9rocsparseL21csrmvn_general_kernelILj256ELj32EiiaaiiEEvbT2_NS_24const_host_device_scalarIT6_EEPKT1_S7_PKS1_PKT3_PKT4_S4_PT5_21rocsparse_index_base_b.num_agpr, 0
	.set _ZN9rocsparseL21csrmvn_general_kernelILj256ELj32EiiaaiiEEvbT2_NS_24const_host_device_scalarIT6_EEPKT1_S7_PKS1_PKT3_PKT4_S4_PT5_21rocsparse_index_base_b.numbered_sgpr, 26
	.set _ZN9rocsparseL21csrmvn_general_kernelILj256ELj32EiiaaiiEEvbT2_NS_24const_host_device_scalarIT6_EEPKT1_S7_PKS1_PKT3_PKT4_S4_PT5_21rocsparse_index_base_b.num_named_barrier, 0
	.set _ZN9rocsparseL21csrmvn_general_kernelILj256ELj32EiiaaiiEEvbT2_NS_24const_host_device_scalarIT6_EEPKT1_S7_PKS1_PKT3_PKT4_S4_PT5_21rocsparse_index_base_b.private_seg_size, 0
	.set _ZN9rocsparseL21csrmvn_general_kernelILj256ELj32EiiaaiiEEvbT2_NS_24const_host_device_scalarIT6_EEPKT1_S7_PKS1_PKT3_PKT4_S4_PT5_21rocsparse_index_base_b.uses_vcc, 1
	.set _ZN9rocsparseL21csrmvn_general_kernelILj256ELj32EiiaaiiEEvbT2_NS_24const_host_device_scalarIT6_EEPKT1_S7_PKS1_PKT3_PKT4_S4_PT5_21rocsparse_index_base_b.uses_flat_scratch, 0
	.set _ZN9rocsparseL21csrmvn_general_kernelILj256ELj32EiiaaiiEEvbT2_NS_24const_host_device_scalarIT6_EEPKT1_S7_PKS1_PKT3_PKT4_S4_PT5_21rocsparse_index_base_b.has_dyn_sized_stack, 0
	.set _ZN9rocsparseL21csrmvn_general_kernelILj256ELj32EiiaaiiEEvbT2_NS_24const_host_device_scalarIT6_EEPKT1_S7_PKS1_PKT3_PKT4_S4_PT5_21rocsparse_index_base_b.has_recursion, 0
	.set _ZN9rocsparseL21csrmvn_general_kernelILj256ELj32EiiaaiiEEvbT2_NS_24const_host_device_scalarIT6_EEPKT1_S7_PKS1_PKT3_PKT4_S4_PT5_21rocsparse_index_base_b.has_indirect_call, 0
	.section	.AMDGPU.csdata,"",@progbits
; Kernel info:
; codeLenInByte = 1260
; TotalNumSgprs: 28
; NumVgprs: 24
; ScratchSize: 0
; MemoryBound: 0
; FloatMode: 240
; IeeeMode: 1
; LDSByteSize: 0 bytes/workgroup (compile time only)
; SGPRBlocks: 0
; VGPRBlocks: 1
; NumSGPRsForWavesPerEU: 28
; NumVGPRsForWavesPerEU: 24
; NamedBarCnt: 0
; Occupancy: 16
; WaveLimiterHint : 1
; COMPUTE_PGM_RSRC2:SCRATCH_EN: 0
; COMPUTE_PGM_RSRC2:USER_SGPR: 2
; COMPUTE_PGM_RSRC2:TRAP_HANDLER: 0
; COMPUTE_PGM_RSRC2:TGID_X_EN: 1
; COMPUTE_PGM_RSRC2:TGID_Y_EN: 0
; COMPUTE_PGM_RSRC2:TGID_Z_EN: 0
; COMPUTE_PGM_RSRC2:TIDIG_COMP_CNT: 0
	.section	.text._ZN9rocsparseL21csrmvn_general_kernelILj256ELj64EiiaaiiEEvbT2_NS_24const_host_device_scalarIT6_EEPKT1_S7_PKS1_PKT3_PKT4_S4_PT5_21rocsparse_index_base_b,"axG",@progbits,_ZN9rocsparseL21csrmvn_general_kernelILj256ELj64EiiaaiiEEvbT2_NS_24const_host_device_scalarIT6_EEPKT1_S7_PKS1_PKT3_PKT4_S4_PT5_21rocsparse_index_base_b,comdat
	.globl	_ZN9rocsparseL21csrmvn_general_kernelILj256ELj64EiiaaiiEEvbT2_NS_24const_host_device_scalarIT6_EEPKT1_S7_PKS1_PKT3_PKT4_S4_PT5_21rocsparse_index_base_b ; -- Begin function _ZN9rocsparseL21csrmvn_general_kernelILj256ELj64EiiaaiiEEvbT2_NS_24const_host_device_scalarIT6_EEPKT1_S7_PKS1_PKT3_PKT4_S4_PT5_21rocsparse_index_base_b
	.p2align	8
	.type	_ZN9rocsparseL21csrmvn_general_kernelILj256ELj64EiiaaiiEEvbT2_NS_24const_host_device_scalarIT6_EEPKT1_S7_PKS1_PKT3_PKT4_S4_PT5_21rocsparse_index_base_b,@function
_ZN9rocsparseL21csrmvn_general_kernelILj256ELj64EiiaaiiEEvbT2_NS_24const_host_device_scalarIT6_EEPKT1_S7_PKS1_PKT3_PKT4_S4_PT5_21rocsparse_index_base_b: ; @_ZN9rocsparseL21csrmvn_general_kernelILj256ELj64EiiaaiiEEvbT2_NS_24const_host_device_scalarIT6_EEPKT1_S7_PKS1_PKT3_PKT4_S4_PT5_21rocsparse_index_base_b
; %bb.0:
	s_clause 0x1
	s_load_b64 s[2:3], s[0:1], 0x48
	s_load_b128 s[12:15], s[0:1], 0x8
	s_mov_b32 s6, -1
                                        ; implicit-def: $sgpr16
	s_wait_kmcnt 0x0
	s_bitcmp1_b32 s3, 0
	s_cselect_b32 s3, -1, 0
	s_delay_alu instid0(SALU_CYCLE_1) | instskip(NEXT) | instid1(SALU_CYCLE_1)
	s_xor_b32 s3, s3, -1
	s_and_b32 vcc_lo, exec_lo, s3
	s_cbranch_vccnz .LBB137_4
; %bb.1:
	s_load_b64 s[4:5], s[0:1], 0x38
	s_and_not1_b32 vcc_lo, exec_lo, s6
	s_cbranch_vccz .LBB137_5
.LBB137_2:
	s_and_b32 vcc_lo, exec_lo, s3
	s_cbranch_vccz .LBB137_6
.LBB137_3:
	s_wait_kmcnt 0x0
	s_load_b32 s17, s[4:5], 0x0
	s_cbranch_execz .LBB137_7
	s_branch .LBB137_8
.LBB137_4:
	s_load_b32 s16, s[12:13], 0x0
	s_load_b64 s[4:5], s[0:1], 0x38
	s_cbranch_execnz .LBB137_2
.LBB137_5:
	s_wait_kmcnt 0x0
	s_mov_b32 s16, s12
	s_and_b32 vcc_lo, exec_lo, s3
	s_cbranch_vccnz .LBB137_3
.LBB137_6:
                                        ; implicit-def: $sgpr17
.LBB137_7:
	s_wait_kmcnt 0x0
	s_mov_b32 s17, s4
.LBB137_8:
	s_wait_kmcnt 0x0
	s_cmp_lg_u32 s16, 0
	s_cselect_b32 s3, -1, 0
	s_cmp_lg_u32 s17, 1
	s_cselect_b32 s4, -1, 0
	s_delay_alu instid0(SALU_CYCLE_1) | instskip(NEXT) | instid1(SALU_CYCLE_1)
	s_or_b32 s3, s3, s4
	s_and_not1_b32 vcc_lo, exec_lo, s3
	s_cbranch_vccnz .LBB137_28
; %bb.9:
	s_bfe_u32 s3, ttmp6, 0x4000c
	s_load_b32 s18, s[0:1], 0x4
	s_add_co_i32 s3, s3, 1
	s_and_b32 s4, ttmp6, 15
	s_mul_i32 s3, ttmp9, s3
	s_getreg_b32 s5, hwreg(HW_REG_IB_STS2, 6, 4)
	s_add_co_i32 s4, s4, s3
	s_cmp_eq_u32 s5, 0
	s_cselect_b32 s3, ttmp9, s4
	s_delay_alu instid0(SALU_CYCLE_1) | instskip(SKIP_1) | instid1(VALU_DEP_1)
	v_lshl_or_b32 v1, s3, 8, v0
	s_mov_b32 s3, exec_lo
	v_lshrrev_b32_e32 v2, 6, v1
	s_wait_kmcnt 0x0
	s_delay_alu instid0(VALU_DEP_1)
	v_cmpx_gt_i32_e64 s18, v2
	s_cbranch_execz .LBB137_28
; %bb.10:
	v_mbcnt_lo_u32_b32 v1, -1, 0
	s_clause 0x2
	s_load_b32 s19, s[0:1], 0x50
	s_load_b64 s[12:13], s[0:1], 0x40
	s_load_b256 s[4:11], s[0:1], 0x18
	s_ashr_i32 s3, s2, 31
	s_delay_alu instid0(SALU_CYCLE_1) | instskip(SKIP_2) | instid1(VALU_DEP_1)
	s_sub_nc_u64 s[20:21], 0, s[2:3]
	v_xor_b32_e32 v4, 16, v1
	v_or_b32_e32 v3, 32, v1
	v_cmp_gt_i32_e32 vcc_lo, 32, v3
	v_dual_cndmask_b32 v3, v1, v3, vcc_lo :: v_dual_bitop2_b32 v0, 63, v0 bitop3:0x40
	s_delay_alu instid0(VALU_DEP_1)
	v_subrev_nc_u32_e32 v6, s2, v0
	s_wait_xcnt 0x0
	v_cmp_eq_u32_e64 s0, 63, v0
	v_xad_u32 v13, v0, -1, s2
	s_wait_kmcnt 0x0
	s_lshl_b32 s1, s19, 2
	v_lshlrev_b32_e32 v7, 2, v3
	v_cmp_gt_i32_e32 vcc_lo, 32, v4
	s_cmp_lg_u32 s17, 0
	s_add_nc_u64 s[10:11], s[10:11], s[20:21]
	s_cselect_b32 s3, -1, 0
	s_mov_b32 s19, 0
	v_dual_cndmask_b32 v4, v1, v4, vcc_lo :: v_dual_bitop2_b32 v5, 8, v1 bitop3:0x14
	s_mov_b32 s20, s16
	s_delay_alu instid0(VALU_DEP_1) | instskip(NEXT) | instid1(VALU_DEP_2)
	v_lshlrev_b32_e32 v8, 2, v4
	v_cmp_gt_i32_e32 vcc_lo, 32, v5
	v_cndmask_b32_e32 v3, v1, v5, vcc_lo
	v_xor_b32_e32 v4, 1, v1
	v_xor_b32_e32 v10, 2, v1
	;; [unrolled: 1-line block ×3, first 2 shown]
	s_delay_alu instid0(VALU_DEP_1) | instskip(SKIP_1) | instid1(VALU_DEP_4)
	v_cmp_gt_i32_e32 vcc_lo, 32, v9
	v_cndmask_b32_e32 v5, v1, v9, vcc_lo
	v_cmp_gt_i32_e32 vcc_lo, 32, v10
	v_cndmask_b32_e32 v11, v1, v10, vcc_lo
	s_delay_alu instid0(VALU_DEP_1) | instskip(SKIP_3) | instid1(VALU_DEP_1)
	v_dual_lshlrev_b32 v11, 2, v11 :: v_dual_lshlrev_b32 v10, 2, v5
	v_lshlrev_b32_e32 v9, 2, v3
	v_cmp_gt_i32_e32 vcc_lo, 32, v4
	v_cndmask_b32_e32 v1, v1, v4, vcc_lo
	v_dual_lshlrev_b32 v12, 2, v1 :: v_dual_bitop2_b32 v3, 64, v0 bitop3:0x54
	s_delay_alu instid0(VALU_DEP_1)
	v_subrev_nc_u32_e32 v14, s2, v3
	s_branch .LBB137_13
.LBB137_11:                             ;   in Loop: Header=BB137_13 Depth=1
	global_store_b32 v[0:1], v4, off
.LBB137_12:                             ;   in Loop: Header=BB137_13 Depth=1
	s_wait_xcnt 0x0
	s_or_b32 exec_lo, exec_lo, s21
	v_add_nc_u32_e32 v2, s1, v2
	s_delay_alu instid0(VALU_DEP_1) | instskip(SKIP_1) | instid1(SALU_CYCLE_1)
	v_cmp_le_i32_e32 vcc_lo, s18, v2
	s_or_b32 s19, vcc_lo, s19
	s_and_not1_b32 exec_lo, exec_lo, s19
	s_cbranch_execz .LBB137_28
.LBB137_13:                             ; =>This Loop Header: Depth=1
                                        ;     Child Loop BB137_17 Depth 2
                                        ;     Child Loop BB137_22 Depth 2
	s_clause 0x1
	global_load_b32 v0, v2, s[4:5] scale_offset
	global_load_b32 v4, v2, s[14:15] scale_offset
	s_mov_b32 s21, exec_lo
	s_wait_dscnt 0x0
	v_mov_b32_e32 v1, 0
	s_wait_loadcnt 0x1
	v_subrev_nc_u32_e32 v3, s2, v0
	s_wait_loadcnt 0x0
	v_add_nc_u32_e32 v0, v4, v6
	s_wait_xcnt 0x0
	s_delay_alu instid0(VALU_DEP_1)
	v_cmpx_lt_i32_e64 v0, v3
	s_cbranch_execz .LBB137_25
; %bb.14:                               ;   in Loop: Header=BB137_13 Depth=1
	v_add_max_i32_e64 v1, v14, v4, v3
	s_mov_b32 s23, exec_lo
	s_delay_alu instid0(VALU_DEP_1) | instskip(NEXT) | instid1(VALU_DEP_1)
	v_add_nc_u32_e32 v1, v13, v1
	v_dual_mov_b32 v1, 0 :: v_dual_sub_nc_u32 v4, v1, v4
	s_delay_alu instid0(VALU_DEP_1)
	v_cmp_gt_u32_e64 s22, 0x340, v4
	v_cmpx_lt_u32_e32 0x33f, v4
	s_cbranch_execz .LBB137_20
; %bb.15:                               ;   in Loop: Header=BB137_13 Depth=1
	v_and_b32_e32 v1, 0xffffffc0, v4
	s_mov_b32 s25, -1
	s_delay_alu instid0(VALU_DEP_1) | instskip(NEXT) | instid1(VALU_DEP_1)
	v_add_nc_u32_e32 v1, v0, v1
	v_cmp_ge_i32_e32 vcc_lo, v1, v0
	v_mov_b32_e32 v1, 0
	s_and_saveexec_b32 s24, vcc_lo
	s_cbranch_execz .LBB137_19
; %bb.16:                               ;   in Loop: Header=BB137_13 Depth=1
	v_dual_lshrrev_b32 v1, 6, v4 :: v_dual_mov_b32 v17, 0
	s_mov_b32 s25, 0
	s_delay_alu instid0(VALU_DEP_1) | instskip(NEXT) | instid1(VALU_DEP_1)
	v_dual_add_nc_u32 v15, 1, v1 :: v_dual_add_nc_u32 v1, 64, v0
	v_and_b32_e32 v16, 0x7fffffe, v15
	s_delay_alu instid0(VALU_DEP_2) | instskip(NEXT) | instid1(VALU_DEP_2)
	v_mov_b64_e32 v[4:5], v[0:1]
	v_dual_mov_b32 v18, 0 :: v_dual_mov_b32 v19, v16
.LBB137_17:                             ;   Parent Loop BB137_13 Depth=1
                                        ; =>  This Inner Loop Header: Depth=2
	s_clause 0x1
	global_load_b32 v1, v5, s[6:7] scale_offset
	global_load_b32 v20, v4, s[6:7] scale_offset
	s_clause 0x1
	global_load_i8 v21, v5, s[8:9]
	global_load_i8 v22, v4, s[8:9]
	v_add_nc_u32_e32 v19, -2, v19
	s_wait_xcnt 0x1
	v_add_nc_u32_e32 v5, 0x80, v5
	s_wait_xcnt 0x0
	v_add_nc_u32_e32 v4, 0x80, v4
	s_wait_loadcnt 0x3
	global_load_i8 v23, v1, s[10:11]
	s_wait_loadcnt 0x3
	global_load_i8 v24, v20, s[10:11]
	s_wait_loadcnt 0x3
	s_wait_xcnt 0x1
	v_mul_lo_u32 v1, s20, v21
	s_wait_loadcnt 0x2
	s_wait_xcnt 0x0
	v_mul_lo_u32 v20, s16, v22
	v_cmp_eq_u32_e32 vcc_lo, 0, v19
	s_or_b32 s25, vcc_lo, s25
	s_wait_loadcnt 0x1
	s_delay_alu instid0(VALU_DEP_3) | instskip(SKIP_1) | instid1(VALU_DEP_3)
	v_mad_u32 v18, v1, v23, v18
	s_wait_loadcnt 0x0
	v_mad_u32 v17, v20, v24, v17
	s_and_not1_b32 exec_lo, exec_lo, s25
	s_cbranch_execnz .LBB137_17
; %bb.18:                               ;   in Loop: Header=BB137_13 Depth=1
	s_or_b32 exec_lo, exec_lo, s25
	v_cmp_ne_u32_e32 vcc_lo, v15, v16
	v_lshl_add_u32 v0, v16, 6, v0
	s_delay_alu instid0(VALU_DEP_3)
	v_add_nc_u32_e32 v1, v17, v18
	s_or_not1_b32 s25, vcc_lo, exec_lo
.LBB137_19:                             ;   in Loop: Header=BB137_13 Depth=1
	s_or_b32 exec_lo, exec_lo, s24
	s_delay_alu instid0(SALU_CYCLE_1) | instskip(SKIP_1) | instid1(SALU_CYCLE_1)
	s_and_not1_b32 s22, s22, exec_lo
	s_and_b32 s24, s25, exec_lo
	s_or_b32 s22, s22, s24
.LBB137_20:                             ;   in Loop: Header=BB137_13 Depth=1
	s_or_b32 exec_lo, exec_lo, s23
	s_and_saveexec_b32 s23, s22
	s_cbranch_execz .LBB137_24
; %bb.21:                               ;   in Loop: Header=BB137_13 Depth=1
	s_mov_b32 s22, 0
.LBB137_22:                             ;   Parent Loop BB137_13 Depth=1
                                        ; =>  This Inner Loop Header: Depth=2
	s_clause 0x1
	global_load_b32 v4, v0, s[6:7] scale_offset
	global_load_i8 v5, v0, s[8:9]
	s_wait_xcnt 0x0
	v_add_nc_u32_e32 v0, 64, v0
	s_delay_alu instid0(VALU_DEP_1)
	v_cmp_ge_i32_e32 vcc_lo, v0, v3
	s_or_b32 s22, vcc_lo, s22
	s_wait_loadcnt 0x1
	global_load_i8 v4, v4, s[10:11]
	s_wait_loadcnt 0x1
	v_mul_lo_u32 v5, s16, v5
	s_wait_loadcnt 0x0
	s_delay_alu instid0(VALU_DEP_1)
	v_mad_u32 v1, v5, v4, v1
	s_wait_xcnt 0x0
	s_and_not1_b32 exec_lo, exec_lo, s22
	s_cbranch_execnz .LBB137_22
; %bb.23:                               ;   in Loop: Header=BB137_13 Depth=1
	s_or_b32 exec_lo, exec_lo, s22
.LBB137_24:                             ;   in Loop: Header=BB137_13 Depth=1
	s_delay_alu instid0(SALU_CYCLE_1)
	s_or_b32 exec_lo, exec_lo, s23
.LBB137_25:                             ;   in Loop: Header=BB137_13 Depth=1
	s_delay_alu instid0(SALU_CYCLE_1)
	s_or_b32 exec_lo, exec_lo, s21
	ds_bpermute_b32 v0, v7, v1
	s_wait_dscnt 0x0
	v_dual_ashrrev_i32 v3, 31, v2 :: v_dual_add_nc_u32 v0, v0, v1
	ds_bpermute_b32 v1, v8, v0
	s_wait_dscnt 0x0
	v_add_nc_u32_e32 v0, v1, v0
	ds_bpermute_b32 v1, v9, v0
	s_wait_dscnt 0x0
	v_add_nc_u32_e32 v0, v1, v0
	;; [unrolled: 3-line block ×4, first 2 shown]
	ds_bpermute_b32 v1, v12, v0
	s_and_saveexec_b32 s21, s0
	s_cbranch_execz .LBB137_12
; %bb.26:                               ;   in Loop: Header=BB137_13 Depth=1
	s_wait_dscnt 0x0
	v_add_nc_u32_e32 v4, v1, v0
	v_lshl_add_u64 v[0:1], v[2:3], 2, s[12:13]
	s_and_not1_b32 vcc_lo, exec_lo, s3
	s_cbranch_vccnz .LBB137_11
; %bb.27:                               ;   in Loop: Header=BB137_13 Depth=1
	global_load_b32 v3, v[0:1], off
	s_wait_loadcnt 0x0
	v_mad_u32 v4, v3, s17, v4
	s_branch .LBB137_11
.LBB137_28:
	s_endpgm
	.section	.rodata,"a",@progbits
	.p2align	6, 0x0
	.amdhsa_kernel _ZN9rocsparseL21csrmvn_general_kernelILj256ELj64EiiaaiiEEvbT2_NS_24const_host_device_scalarIT6_EEPKT1_S7_PKS1_PKT3_PKT4_S4_PT5_21rocsparse_index_base_b
		.amdhsa_group_segment_fixed_size 0
		.amdhsa_private_segment_fixed_size 0
		.amdhsa_kernarg_size 336
		.amdhsa_user_sgpr_count 2
		.amdhsa_user_sgpr_dispatch_ptr 0
		.amdhsa_user_sgpr_queue_ptr 0
		.amdhsa_user_sgpr_kernarg_segment_ptr 1
		.amdhsa_user_sgpr_dispatch_id 0
		.amdhsa_user_sgpr_kernarg_preload_length 0
		.amdhsa_user_sgpr_kernarg_preload_offset 0
		.amdhsa_user_sgpr_private_segment_size 0
		.amdhsa_wavefront_size32 1
		.amdhsa_uses_dynamic_stack 0
		.amdhsa_enable_private_segment 0
		.amdhsa_system_sgpr_workgroup_id_x 1
		.amdhsa_system_sgpr_workgroup_id_y 0
		.amdhsa_system_sgpr_workgroup_id_z 0
		.amdhsa_system_sgpr_workgroup_info 0
		.amdhsa_system_vgpr_workitem_id 0
		.amdhsa_next_free_vgpr 25
		.amdhsa_next_free_sgpr 26
		.amdhsa_named_barrier_count 0
		.amdhsa_reserve_vcc 1
		.amdhsa_float_round_mode_32 0
		.amdhsa_float_round_mode_16_64 0
		.amdhsa_float_denorm_mode_32 3
		.amdhsa_float_denorm_mode_16_64 3
		.amdhsa_fp16_overflow 0
		.amdhsa_memory_ordered 1
		.amdhsa_forward_progress 1
		.amdhsa_inst_pref_size 11
		.amdhsa_round_robin_scheduling 0
		.amdhsa_exception_fp_ieee_invalid_op 0
		.amdhsa_exception_fp_denorm_src 0
		.amdhsa_exception_fp_ieee_div_zero 0
		.amdhsa_exception_fp_ieee_overflow 0
		.amdhsa_exception_fp_ieee_underflow 0
		.amdhsa_exception_fp_ieee_inexact 0
		.amdhsa_exception_int_div_zero 0
	.end_amdhsa_kernel
	.section	.text._ZN9rocsparseL21csrmvn_general_kernelILj256ELj64EiiaaiiEEvbT2_NS_24const_host_device_scalarIT6_EEPKT1_S7_PKS1_PKT3_PKT4_S4_PT5_21rocsparse_index_base_b,"axG",@progbits,_ZN9rocsparseL21csrmvn_general_kernelILj256ELj64EiiaaiiEEvbT2_NS_24const_host_device_scalarIT6_EEPKT1_S7_PKS1_PKT3_PKT4_S4_PT5_21rocsparse_index_base_b,comdat
.Lfunc_end137:
	.size	_ZN9rocsparseL21csrmvn_general_kernelILj256ELj64EiiaaiiEEvbT2_NS_24const_host_device_scalarIT6_EEPKT1_S7_PKS1_PKT3_PKT4_S4_PT5_21rocsparse_index_base_b, .Lfunc_end137-_ZN9rocsparseL21csrmvn_general_kernelILj256ELj64EiiaaiiEEvbT2_NS_24const_host_device_scalarIT6_EEPKT1_S7_PKS1_PKT3_PKT4_S4_PT5_21rocsparse_index_base_b
                                        ; -- End function
	.set _ZN9rocsparseL21csrmvn_general_kernelILj256ELj64EiiaaiiEEvbT2_NS_24const_host_device_scalarIT6_EEPKT1_S7_PKS1_PKT3_PKT4_S4_PT5_21rocsparse_index_base_b.num_vgpr, 25
	.set _ZN9rocsparseL21csrmvn_general_kernelILj256ELj64EiiaaiiEEvbT2_NS_24const_host_device_scalarIT6_EEPKT1_S7_PKS1_PKT3_PKT4_S4_PT5_21rocsparse_index_base_b.num_agpr, 0
	.set _ZN9rocsparseL21csrmvn_general_kernelILj256ELj64EiiaaiiEEvbT2_NS_24const_host_device_scalarIT6_EEPKT1_S7_PKS1_PKT3_PKT4_S4_PT5_21rocsparse_index_base_b.numbered_sgpr, 26
	.set _ZN9rocsparseL21csrmvn_general_kernelILj256ELj64EiiaaiiEEvbT2_NS_24const_host_device_scalarIT6_EEPKT1_S7_PKS1_PKT3_PKT4_S4_PT5_21rocsparse_index_base_b.num_named_barrier, 0
	.set _ZN9rocsparseL21csrmvn_general_kernelILj256ELj64EiiaaiiEEvbT2_NS_24const_host_device_scalarIT6_EEPKT1_S7_PKS1_PKT3_PKT4_S4_PT5_21rocsparse_index_base_b.private_seg_size, 0
	.set _ZN9rocsparseL21csrmvn_general_kernelILj256ELj64EiiaaiiEEvbT2_NS_24const_host_device_scalarIT6_EEPKT1_S7_PKS1_PKT3_PKT4_S4_PT5_21rocsparse_index_base_b.uses_vcc, 1
	.set _ZN9rocsparseL21csrmvn_general_kernelILj256ELj64EiiaaiiEEvbT2_NS_24const_host_device_scalarIT6_EEPKT1_S7_PKS1_PKT3_PKT4_S4_PT5_21rocsparse_index_base_b.uses_flat_scratch, 0
	.set _ZN9rocsparseL21csrmvn_general_kernelILj256ELj64EiiaaiiEEvbT2_NS_24const_host_device_scalarIT6_EEPKT1_S7_PKS1_PKT3_PKT4_S4_PT5_21rocsparse_index_base_b.has_dyn_sized_stack, 0
	.set _ZN9rocsparseL21csrmvn_general_kernelILj256ELj64EiiaaiiEEvbT2_NS_24const_host_device_scalarIT6_EEPKT1_S7_PKS1_PKT3_PKT4_S4_PT5_21rocsparse_index_base_b.has_recursion, 0
	.set _ZN9rocsparseL21csrmvn_general_kernelILj256ELj64EiiaaiiEEvbT2_NS_24const_host_device_scalarIT6_EEPKT1_S7_PKS1_PKT3_PKT4_S4_PT5_21rocsparse_index_base_b.has_indirect_call, 0
	.section	.AMDGPU.csdata,"",@progbits
; Kernel info:
; codeLenInByte = 1316
; TotalNumSgprs: 28
; NumVgprs: 25
; ScratchSize: 0
; MemoryBound: 0
; FloatMode: 240
; IeeeMode: 1
; LDSByteSize: 0 bytes/workgroup (compile time only)
; SGPRBlocks: 0
; VGPRBlocks: 1
; NumSGPRsForWavesPerEU: 28
; NumVGPRsForWavesPerEU: 25
; NamedBarCnt: 0
; Occupancy: 16
; WaveLimiterHint : 1
; COMPUTE_PGM_RSRC2:SCRATCH_EN: 0
; COMPUTE_PGM_RSRC2:USER_SGPR: 2
; COMPUTE_PGM_RSRC2:TRAP_HANDLER: 0
; COMPUTE_PGM_RSRC2:TGID_X_EN: 1
; COMPUTE_PGM_RSRC2:TGID_Y_EN: 0
; COMPUTE_PGM_RSRC2:TGID_Z_EN: 0
; COMPUTE_PGM_RSRC2:TIDIG_COMP_CNT: 0
	.section	.text._ZN9rocsparseL21csrmvt_general_kernelILj256ELj4EiiaaiiEEvbbT2_NS_24const_host_device_scalarIT6_EEPKT1_S7_PKS1_PKT3_PKT4_PT5_21rocsparse_index_base_b,"axG",@progbits,_ZN9rocsparseL21csrmvt_general_kernelILj256ELj4EiiaaiiEEvbbT2_NS_24const_host_device_scalarIT6_EEPKT1_S7_PKS1_PKT3_PKT4_PT5_21rocsparse_index_base_b,comdat
	.globl	_ZN9rocsparseL21csrmvt_general_kernelILj256ELj4EiiaaiiEEvbbT2_NS_24const_host_device_scalarIT6_EEPKT1_S7_PKS1_PKT3_PKT4_PT5_21rocsparse_index_base_b ; -- Begin function _ZN9rocsparseL21csrmvt_general_kernelILj256ELj4EiiaaiiEEvbbT2_NS_24const_host_device_scalarIT6_EEPKT1_S7_PKS1_PKT3_PKT4_PT5_21rocsparse_index_base_b
	.p2align	8
	.type	_ZN9rocsparseL21csrmvt_general_kernelILj256ELj4EiiaaiiEEvbbT2_NS_24const_host_device_scalarIT6_EEPKT1_S7_PKS1_PKT3_PKT4_PT5_21rocsparse_index_base_b,@function
_ZN9rocsparseL21csrmvt_general_kernelILj256ELj4EiiaaiiEEvbbT2_NS_24const_host_device_scalarIT6_EEPKT1_S7_PKS1_PKT3_PKT4_PT5_21rocsparse_index_base_b: ; @_ZN9rocsparseL21csrmvt_general_kernelILj256ELj4EiiaaiiEEvbbT2_NS_24const_host_device_scalarIT6_EEPKT1_S7_PKS1_PKT3_PKT4_PT5_21rocsparse_index_base_b
; %bb.0:
	s_clause 0x1
	s_load_b64 s[2:3], s[0:1], 0x40
	s_load_b128 s[12:15], s[0:1], 0x8
	s_mov_b32 s4, 0
	s_wait_kmcnt 0x0
	s_bitcmp0_b32 s3, 0
	s_cbranch_scc0 .LBB138_2
; %bb.1:
	s_load_b32 s3, s[12:13], 0x0
	s_and_not1_b32 vcc_lo, exec_lo, s4
	s_cbranch_vccz .LBB138_3
	s_branch .LBB138_4
.LBB138_2:
                                        ; implicit-def: $sgpr3
.LBB138_3:
	s_wait_kmcnt 0x0
	s_mov_b32 s3, s12
.LBB138_4:
	s_wait_kmcnt 0x0
	s_cmp_eq_u32 s3, 0
	s_cbranch_scc1 .LBB138_22
; %bb.5:
	s_clause 0x3
	s_load_b64 s[12:13], s[0:1], 0x0
	s_load_b32 s18, s[0:1], 0x48
	s_load_b64 s[16:17], s[0:1], 0x38
	s_load_b256 s[4:11], s[0:1], 0x18
	s_wait_xcnt 0x0
	s_bfe_u32 s0, ttmp6, 0x4000c
	s_and_b32 s19, ttmp6, 15
	s_add_co_i32 s0, s0, 1
	s_getreg_b32 s20, hwreg(HW_REG_IB_STS2, 6, 4)
	s_mul_i32 s0, ttmp9, s0
	v_and_b32_e32 v3, 3, v0
	s_add_co_i32 s19, s19, s0
	s_wait_kmcnt 0x0
	s_and_b32 s12, s12, 1
	s_lshl_b32 s1, s18, 6
	s_cmp_eq_u32 s20, 0
	s_cselect_b32 s0, ttmp9, s19
	s_cmp_eq_u32 s12, 0
	v_lshl_or_b32 v1, s0, 8, v0
	s_mov_b32 s12, -1
	s_delay_alu instid0(VALU_DEP_1) | instskip(NEXT) | instid1(VALU_DEP_1)
	v_lshrrev_b32_e32 v2, 2, v1
	v_cmp_gt_i32_e64 s0, s13, v2
	s_cbranch_scc0 .LBB138_13
; %bb.6:
	s_and_saveexec_b32 s12, s0
	s_cbranch_execz .LBB138_12
; %bb.7:
	v_subrev_nc_u32_e32 v4, s2, v3
	v_mov_b32_e32 v0, v2
	s_mov_b32 s18, 0
	s_branch .LBB138_9
.LBB138_8:                              ;   in Loop: Header=BB138_9 Depth=1
	s_or_b32 exec_lo, exec_lo, s19
	v_add_nc_u32_e32 v0, s1, v0
	s_delay_alu instid0(VALU_DEP_1) | instskip(SKIP_1) | instid1(SALU_CYCLE_1)
	v_cmp_le_i32_e32 vcc_lo, s13, v0
	s_or_b32 s18, vcc_lo, s18
	s_and_not1_b32 exec_lo, exec_lo, s18
	s_cbranch_execz .LBB138_12
.LBB138_9:                              ; =>This Loop Header: Depth=1
                                        ;     Child Loop BB138_11 Depth 2
	s_clause 0x1
	global_load_b32 v1, v0, s[4:5] scale_offset
	global_load_b32 v6, v0, s[14:15] scale_offset
	s_mov_b32 s19, exec_lo
	s_wait_loadcnt 0x1
	v_subrev_nc_u32_e32 v5, s2, v1
	s_wait_loadcnt 0x0
	v_add_nc_u32_e32 v6, v6, v4
	s_wait_xcnt 0x0
	s_delay_alu instid0(VALU_DEP_1)
	v_cmpx_lt_i32_e64 v6, v5
	s_cbranch_execz .LBB138_8
; %bb.10:                               ;   in Loop: Header=BB138_9 Depth=1
	v_ashrrev_i32_e32 v1, 31, v0
	s_mov_b32 s20, 0
	s_delay_alu instid0(VALU_DEP_1)
	v_add_nc_u64_e32 v[8:9], s[10:11], v[0:1]
	global_load_i8 v1, v[8:9], off
	s_wait_loadcnt 0x0
	v_mul_lo_u32 v1, s3, v1
.LBB138_11:                             ;   Parent Loop BB138_9 Depth=1
                                        ; =>  This Inner Loop Header: Depth=2
	s_clause 0x1
	global_load_i8 v7, v6, s[8:9]
	global_load_b32 v8, v6, s[6:7] scale_offset
	s_wait_xcnt 0x0
	v_add_nc_u32_e32 v6, 4, v6
	s_delay_alu instid0(VALU_DEP_1)
	v_cmp_ge_i32_e32 vcc_lo, v6, v5
	s_or_b32 s20, vcc_lo, s20
	s_wait_loadcnt 0x1
	v_mul_lo_u32 v7, v1, v7
	s_wait_loadcnt 0x0
	v_subrev_nc_u32_e32 v8, s2, v8
	global_atomic_add_u32 v8, v7, s[16:17] scale_offset scope:SCOPE_DEV
	s_wait_xcnt 0x0
	s_and_not1_b32 exec_lo, exec_lo, s20
	s_cbranch_execnz .LBB138_11
	s_branch .LBB138_8
.LBB138_12:
	s_or_b32 exec_lo, exec_lo, s12
	s_mov_b32 s12, 0
.LBB138_13:
	s_delay_alu instid0(SALU_CYCLE_1)
	s_and_not1_b32 vcc_lo, exec_lo, s12
	s_cbranch_vccnz .LBB138_22
; %bb.14:
	s_and_saveexec_b32 s12, s0
	s_cbranch_execz .LBB138_22
; %bb.15:
	v_subrev_nc_u32_e32 v4, s2, v3
	s_mov_b32 s0, 0
	s_branch .LBB138_17
.LBB138_16:                             ;   in Loop: Header=BB138_17 Depth=1
	s_or_b32 exec_lo, exec_lo, s12
	v_add_nc_u32_e32 v2, s1, v2
	s_delay_alu instid0(VALU_DEP_1) | instskip(SKIP_1) | instid1(SALU_CYCLE_1)
	v_cmp_le_i32_e32 vcc_lo, s13, v2
	s_or_b32 s0, vcc_lo, s0
	s_and_not1_b32 exec_lo, exec_lo, s0
	s_cbranch_execz .LBB138_22
.LBB138_17:                             ; =>This Loop Header: Depth=1
                                        ;     Child Loop BB138_20 Depth 2
	s_clause 0x1
	global_load_b32 v0, v2, s[4:5] scale_offset
	global_load_b32 v1, v2, s[14:15] scale_offset
	s_mov_b32 s12, exec_lo
	s_wait_loadcnt 0x1
	v_subrev_nc_u32_e32 v5, s2, v0
	s_wait_loadcnt 0x0
	v_add_nc_u32_e32 v0, v1, v4
	s_wait_xcnt 0x0
	s_delay_alu instid0(VALU_DEP_1)
	v_cmpx_lt_i32_e64 v0, v5
	s_cbranch_execz .LBB138_16
; %bb.18:                               ;   in Loop: Header=BB138_17 Depth=1
	v_ashrrev_i32_e32 v3, 31, v2
	s_mov_b32 s18, 0
	s_delay_alu instid0(VALU_DEP_1)
	v_add_nc_u64_e32 v[6:7], s[10:11], v[2:3]
	global_load_i8 v1, v[6:7], off
	s_wait_loadcnt 0x0
	v_mul_lo_u32 v3, s3, v1
	s_branch .LBB138_20
.LBB138_19:                             ;   in Loop: Header=BB138_20 Depth=2
	s_wait_xcnt 0x0
	s_or_b32 exec_lo, exec_lo, s19
	v_add_nc_u32_e32 v0, 4, v0
	s_delay_alu instid0(VALU_DEP_1) | instskip(SKIP_1) | instid1(SALU_CYCLE_1)
	v_cmp_ge_i32_e32 vcc_lo, v0, v5
	s_or_b32 s18, vcc_lo, s18
	s_and_not1_b32 exec_lo, exec_lo, s18
	s_cbranch_execz .LBB138_16
.LBB138_20:                             ;   Parent Loop BB138_17 Depth=1
                                        ; =>  This Inner Loop Header: Depth=2
	global_load_b32 v1, v0, s[6:7] scale_offset
	s_mov_b32 s19, exec_lo
	s_wait_loadcnt 0x0
	s_wait_xcnt 0x1
	v_subrev_nc_u32_e32 v6, s2, v1
	v_ashrrev_i32_e32 v1, 31, v0
	s_wait_xcnt 0x0
	s_delay_alu instid0(VALU_DEP_2)
	v_cmpx_ne_u32_e64 v6, v2
	s_cbranch_execz .LBB138_19
; %bb.21:                               ;   in Loop: Header=BB138_20 Depth=2
	s_delay_alu instid0(VALU_DEP_2)
	v_add_nc_u64_e32 v[8:9], s[8:9], v[0:1]
	global_load_i8 v1, v[8:9], off
	s_wait_loadcnt 0x0
	v_mul_lo_u32 v1, v3, v1
	s_wait_xcnt 0x0
	global_atomic_add_u32 v6, v1, s[16:17] scale_offset scope:SCOPE_DEV
	s_branch .LBB138_19
.LBB138_22:
	s_endpgm
	.section	.rodata,"a",@progbits
	.p2align	6, 0x0
	.amdhsa_kernel _ZN9rocsparseL21csrmvt_general_kernelILj256ELj4EiiaaiiEEvbbT2_NS_24const_host_device_scalarIT6_EEPKT1_S7_PKS1_PKT3_PKT4_PT5_21rocsparse_index_base_b
		.amdhsa_group_segment_fixed_size 0
		.amdhsa_private_segment_fixed_size 0
		.amdhsa_kernarg_size 328
		.amdhsa_user_sgpr_count 2
		.amdhsa_user_sgpr_dispatch_ptr 0
		.amdhsa_user_sgpr_queue_ptr 0
		.amdhsa_user_sgpr_kernarg_segment_ptr 1
		.amdhsa_user_sgpr_dispatch_id 0
		.amdhsa_user_sgpr_kernarg_preload_length 0
		.amdhsa_user_sgpr_kernarg_preload_offset 0
		.amdhsa_user_sgpr_private_segment_size 0
		.amdhsa_wavefront_size32 1
		.amdhsa_uses_dynamic_stack 0
		.amdhsa_enable_private_segment 0
		.amdhsa_system_sgpr_workgroup_id_x 1
		.amdhsa_system_sgpr_workgroup_id_y 0
		.amdhsa_system_sgpr_workgroup_id_z 0
		.amdhsa_system_sgpr_workgroup_info 0
		.amdhsa_system_vgpr_workitem_id 0
		.amdhsa_next_free_vgpr 10
		.amdhsa_next_free_sgpr 21
		.amdhsa_named_barrier_count 0
		.amdhsa_reserve_vcc 1
		.amdhsa_float_round_mode_32 0
		.amdhsa_float_round_mode_16_64 0
		.amdhsa_float_denorm_mode_32 3
		.amdhsa_float_denorm_mode_16_64 3
		.amdhsa_fp16_overflow 0
		.amdhsa_memory_ordered 1
		.amdhsa_forward_progress 1
		.amdhsa_inst_pref_size 7
		.amdhsa_round_robin_scheduling 0
		.amdhsa_exception_fp_ieee_invalid_op 0
		.amdhsa_exception_fp_denorm_src 0
		.amdhsa_exception_fp_ieee_div_zero 0
		.amdhsa_exception_fp_ieee_overflow 0
		.amdhsa_exception_fp_ieee_underflow 0
		.amdhsa_exception_fp_ieee_inexact 0
		.amdhsa_exception_int_div_zero 0
	.end_amdhsa_kernel
	.section	.text._ZN9rocsparseL21csrmvt_general_kernelILj256ELj4EiiaaiiEEvbbT2_NS_24const_host_device_scalarIT6_EEPKT1_S7_PKS1_PKT3_PKT4_PT5_21rocsparse_index_base_b,"axG",@progbits,_ZN9rocsparseL21csrmvt_general_kernelILj256ELj4EiiaaiiEEvbbT2_NS_24const_host_device_scalarIT6_EEPKT1_S7_PKS1_PKT3_PKT4_PT5_21rocsparse_index_base_b,comdat
.Lfunc_end138:
	.size	_ZN9rocsparseL21csrmvt_general_kernelILj256ELj4EiiaaiiEEvbbT2_NS_24const_host_device_scalarIT6_EEPKT1_S7_PKS1_PKT3_PKT4_PT5_21rocsparse_index_base_b, .Lfunc_end138-_ZN9rocsparseL21csrmvt_general_kernelILj256ELj4EiiaaiiEEvbbT2_NS_24const_host_device_scalarIT6_EEPKT1_S7_PKS1_PKT3_PKT4_PT5_21rocsparse_index_base_b
                                        ; -- End function
	.set _ZN9rocsparseL21csrmvt_general_kernelILj256ELj4EiiaaiiEEvbbT2_NS_24const_host_device_scalarIT6_EEPKT1_S7_PKS1_PKT3_PKT4_PT5_21rocsparse_index_base_b.num_vgpr, 10
	.set _ZN9rocsparseL21csrmvt_general_kernelILj256ELj4EiiaaiiEEvbbT2_NS_24const_host_device_scalarIT6_EEPKT1_S7_PKS1_PKT3_PKT4_PT5_21rocsparse_index_base_b.num_agpr, 0
	.set _ZN9rocsparseL21csrmvt_general_kernelILj256ELj4EiiaaiiEEvbbT2_NS_24const_host_device_scalarIT6_EEPKT1_S7_PKS1_PKT3_PKT4_PT5_21rocsparse_index_base_b.numbered_sgpr, 21
	.set _ZN9rocsparseL21csrmvt_general_kernelILj256ELj4EiiaaiiEEvbbT2_NS_24const_host_device_scalarIT6_EEPKT1_S7_PKS1_PKT3_PKT4_PT5_21rocsparse_index_base_b.num_named_barrier, 0
	.set _ZN9rocsparseL21csrmvt_general_kernelILj256ELj4EiiaaiiEEvbbT2_NS_24const_host_device_scalarIT6_EEPKT1_S7_PKS1_PKT3_PKT4_PT5_21rocsparse_index_base_b.private_seg_size, 0
	.set _ZN9rocsparseL21csrmvt_general_kernelILj256ELj4EiiaaiiEEvbbT2_NS_24const_host_device_scalarIT6_EEPKT1_S7_PKS1_PKT3_PKT4_PT5_21rocsparse_index_base_b.uses_vcc, 1
	.set _ZN9rocsparseL21csrmvt_general_kernelILj256ELj4EiiaaiiEEvbbT2_NS_24const_host_device_scalarIT6_EEPKT1_S7_PKS1_PKT3_PKT4_PT5_21rocsparse_index_base_b.uses_flat_scratch, 0
	.set _ZN9rocsparseL21csrmvt_general_kernelILj256ELj4EiiaaiiEEvbbT2_NS_24const_host_device_scalarIT6_EEPKT1_S7_PKS1_PKT3_PKT4_PT5_21rocsparse_index_base_b.has_dyn_sized_stack, 0
	.set _ZN9rocsparseL21csrmvt_general_kernelILj256ELj4EiiaaiiEEvbbT2_NS_24const_host_device_scalarIT6_EEPKT1_S7_PKS1_PKT3_PKT4_PT5_21rocsparse_index_base_b.has_recursion, 0
	.set _ZN9rocsparseL21csrmvt_general_kernelILj256ELj4EiiaaiiEEvbbT2_NS_24const_host_device_scalarIT6_EEPKT1_S7_PKS1_PKT3_PKT4_PT5_21rocsparse_index_base_b.has_indirect_call, 0
	.section	.AMDGPU.csdata,"",@progbits
; Kernel info:
; codeLenInByte = 780
; TotalNumSgprs: 23
; NumVgprs: 10
; ScratchSize: 0
; MemoryBound: 0
; FloatMode: 240
; IeeeMode: 1
; LDSByteSize: 0 bytes/workgroup (compile time only)
; SGPRBlocks: 0
; VGPRBlocks: 0
; NumSGPRsForWavesPerEU: 23
; NumVGPRsForWavesPerEU: 10
; NamedBarCnt: 0
; Occupancy: 16
; WaveLimiterHint : 1
; COMPUTE_PGM_RSRC2:SCRATCH_EN: 0
; COMPUTE_PGM_RSRC2:USER_SGPR: 2
; COMPUTE_PGM_RSRC2:TRAP_HANDLER: 0
; COMPUTE_PGM_RSRC2:TGID_X_EN: 1
; COMPUTE_PGM_RSRC2:TGID_Y_EN: 0
; COMPUTE_PGM_RSRC2:TGID_Z_EN: 0
; COMPUTE_PGM_RSRC2:TIDIG_COMP_CNT: 0
	.section	.text._ZN9rocsparseL21csrmvt_general_kernelILj256ELj8EiiaaiiEEvbbT2_NS_24const_host_device_scalarIT6_EEPKT1_S7_PKS1_PKT3_PKT4_PT5_21rocsparse_index_base_b,"axG",@progbits,_ZN9rocsparseL21csrmvt_general_kernelILj256ELj8EiiaaiiEEvbbT2_NS_24const_host_device_scalarIT6_EEPKT1_S7_PKS1_PKT3_PKT4_PT5_21rocsparse_index_base_b,comdat
	.globl	_ZN9rocsparseL21csrmvt_general_kernelILj256ELj8EiiaaiiEEvbbT2_NS_24const_host_device_scalarIT6_EEPKT1_S7_PKS1_PKT3_PKT4_PT5_21rocsparse_index_base_b ; -- Begin function _ZN9rocsparseL21csrmvt_general_kernelILj256ELj8EiiaaiiEEvbbT2_NS_24const_host_device_scalarIT6_EEPKT1_S7_PKS1_PKT3_PKT4_PT5_21rocsparse_index_base_b
	.p2align	8
	.type	_ZN9rocsparseL21csrmvt_general_kernelILj256ELj8EiiaaiiEEvbbT2_NS_24const_host_device_scalarIT6_EEPKT1_S7_PKS1_PKT3_PKT4_PT5_21rocsparse_index_base_b,@function
_ZN9rocsparseL21csrmvt_general_kernelILj256ELj8EiiaaiiEEvbbT2_NS_24const_host_device_scalarIT6_EEPKT1_S7_PKS1_PKT3_PKT4_PT5_21rocsparse_index_base_b: ; @_ZN9rocsparseL21csrmvt_general_kernelILj256ELj8EiiaaiiEEvbbT2_NS_24const_host_device_scalarIT6_EEPKT1_S7_PKS1_PKT3_PKT4_PT5_21rocsparse_index_base_b
; %bb.0:
	s_clause 0x1
	s_load_b64 s[2:3], s[0:1], 0x40
	s_load_b128 s[12:15], s[0:1], 0x8
	s_mov_b32 s4, 0
	s_wait_kmcnt 0x0
	s_bitcmp0_b32 s3, 0
	s_cbranch_scc0 .LBB139_2
; %bb.1:
	s_load_b32 s3, s[12:13], 0x0
	s_and_not1_b32 vcc_lo, exec_lo, s4
	s_cbranch_vccz .LBB139_3
	s_branch .LBB139_4
.LBB139_2:
                                        ; implicit-def: $sgpr3
.LBB139_3:
	s_wait_kmcnt 0x0
	s_mov_b32 s3, s12
.LBB139_4:
	s_wait_kmcnt 0x0
	s_cmp_eq_u32 s3, 0
	s_cbranch_scc1 .LBB139_22
; %bb.5:
	s_clause 0x3
	s_load_b64 s[12:13], s[0:1], 0x0
	s_load_b32 s18, s[0:1], 0x48
	s_load_b64 s[16:17], s[0:1], 0x38
	s_load_b256 s[4:11], s[0:1], 0x18
	s_wait_xcnt 0x0
	s_bfe_u32 s0, ttmp6, 0x4000c
	s_and_b32 s19, ttmp6, 15
	s_add_co_i32 s0, s0, 1
	s_getreg_b32 s20, hwreg(HW_REG_IB_STS2, 6, 4)
	s_mul_i32 s0, ttmp9, s0
	v_and_b32_e32 v3, 7, v0
	s_add_co_i32 s19, s19, s0
	s_wait_kmcnt 0x0
	s_and_b32 s12, s12, 1
	s_lshl_b32 s1, s18, 5
	s_cmp_eq_u32 s20, 0
	s_cselect_b32 s0, ttmp9, s19
	s_cmp_eq_u32 s12, 0
	v_lshl_or_b32 v1, s0, 8, v0
	s_mov_b32 s12, -1
	s_delay_alu instid0(VALU_DEP_1) | instskip(NEXT) | instid1(VALU_DEP_1)
	v_lshrrev_b32_e32 v2, 3, v1
	v_cmp_gt_i32_e64 s0, s13, v2
	s_cbranch_scc0 .LBB139_13
; %bb.6:
	s_and_saveexec_b32 s12, s0
	s_cbranch_execz .LBB139_12
; %bb.7:
	v_subrev_nc_u32_e32 v4, s2, v3
	v_mov_b32_e32 v0, v2
	s_mov_b32 s18, 0
	s_branch .LBB139_9
.LBB139_8:                              ;   in Loop: Header=BB139_9 Depth=1
	s_or_b32 exec_lo, exec_lo, s19
	v_add_nc_u32_e32 v0, s1, v0
	s_delay_alu instid0(VALU_DEP_1) | instskip(SKIP_1) | instid1(SALU_CYCLE_1)
	v_cmp_le_i32_e32 vcc_lo, s13, v0
	s_or_b32 s18, vcc_lo, s18
	s_and_not1_b32 exec_lo, exec_lo, s18
	s_cbranch_execz .LBB139_12
.LBB139_9:                              ; =>This Loop Header: Depth=1
                                        ;     Child Loop BB139_11 Depth 2
	s_clause 0x1
	global_load_b32 v1, v0, s[4:5] scale_offset
	global_load_b32 v6, v0, s[14:15] scale_offset
	s_mov_b32 s19, exec_lo
	s_wait_loadcnt 0x1
	v_subrev_nc_u32_e32 v5, s2, v1
	s_wait_loadcnt 0x0
	v_add_nc_u32_e32 v6, v6, v4
	s_wait_xcnt 0x0
	s_delay_alu instid0(VALU_DEP_1)
	v_cmpx_lt_i32_e64 v6, v5
	s_cbranch_execz .LBB139_8
; %bb.10:                               ;   in Loop: Header=BB139_9 Depth=1
	v_ashrrev_i32_e32 v1, 31, v0
	s_mov_b32 s20, 0
	s_delay_alu instid0(VALU_DEP_1)
	v_add_nc_u64_e32 v[8:9], s[10:11], v[0:1]
	global_load_i8 v1, v[8:9], off
	s_wait_loadcnt 0x0
	v_mul_lo_u32 v1, s3, v1
.LBB139_11:                             ;   Parent Loop BB139_9 Depth=1
                                        ; =>  This Inner Loop Header: Depth=2
	s_clause 0x1
	global_load_i8 v7, v6, s[8:9]
	global_load_b32 v8, v6, s[6:7] scale_offset
	s_wait_xcnt 0x0
	v_add_nc_u32_e32 v6, 8, v6
	s_delay_alu instid0(VALU_DEP_1)
	v_cmp_ge_i32_e32 vcc_lo, v6, v5
	s_or_b32 s20, vcc_lo, s20
	s_wait_loadcnt 0x1
	v_mul_lo_u32 v7, v1, v7
	s_wait_loadcnt 0x0
	v_subrev_nc_u32_e32 v8, s2, v8
	global_atomic_add_u32 v8, v7, s[16:17] scale_offset scope:SCOPE_DEV
	s_wait_xcnt 0x0
	s_and_not1_b32 exec_lo, exec_lo, s20
	s_cbranch_execnz .LBB139_11
	s_branch .LBB139_8
.LBB139_12:
	s_or_b32 exec_lo, exec_lo, s12
	s_mov_b32 s12, 0
.LBB139_13:
	s_delay_alu instid0(SALU_CYCLE_1)
	s_and_not1_b32 vcc_lo, exec_lo, s12
	s_cbranch_vccnz .LBB139_22
; %bb.14:
	s_and_saveexec_b32 s12, s0
	s_cbranch_execz .LBB139_22
; %bb.15:
	v_subrev_nc_u32_e32 v4, s2, v3
	s_mov_b32 s0, 0
	s_branch .LBB139_17
.LBB139_16:                             ;   in Loop: Header=BB139_17 Depth=1
	s_or_b32 exec_lo, exec_lo, s12
	v_add_nc_u32_e32 v2, s1, v2
	s_delay_alu instid0(VALU_DEP_1) | instskip(SKIP_1) | instid1(SALU_CYCLE_1)
	v_cmp_le_i32_e32 vcc_lo, s13, v2
	s_or_b32 s0, vcc_lo, s0
	s_and_not1_b32 exec_lo, exec_lo, s0
	s_cbranch_execz .LBB139_22
.LBB139_17:                             ; =>This Loop Header: Depth=1
                                        ;     Child Loop BB139_20 Depth 2
	s_clause 0x1
	global_load_b32 v0, v2, s[4:5] scale_offset
	global_load_b32 v1, v2, s[14:15] scale_offset
	s_mov_b32 s12, exec_lo
	s_wait_loadcnt 0x1
	v_subrev_nc_u32_e32 v5, s2, v0
	s_wait_loadcnt 0x0
	v_add_nc_u32_e32 v0, v1, v4
	s_wait_xcnt 0x0
	s_delay_alu instid0(VALU_DEP_1)
	v_cmpx_lt_i32_e64 v0, v5
	s_cbranch_execz .LBB139_16
; %bb.18:                               ;   in Loop: Header=BB139_17 Depth=1
	v_ashrrev_i32_e32 v3, 31, v2
	s_mov_b32 s18, 0
	s_delay_alu instid0(VALU_DEP_1)
	v_add_nc_u64_e32 v[6:7], s[10:11], v[2:3]
	global_load_i8 v1, v[6:7], off
	s_wait_loadcnt 0x0
	v_mul_lo_u32 v3, s3, v1
	s_branch .LBB139_20
.LBB139_19:                             ;   in Loop: Header=BB139_20 Depth=2
	s_wait_xcnt 0x0
	s_or_b32 exec_lo, exec_lo, s19
	v_add_nc_u32_e32 v0, 8, v0
	s_delay_alu instid0(VALU_DEP_1) | instskip(SKIP_1) | instid1(SALU_CYCLE_1)
	v_cmp_ge_i32_e32 vcc_lo, v0, v5
	s_or_b32 s18, vcc_lo, s18
	s_and_not1_b32 exec_lo, exec_lo, s18
	s_cbranch_execz .LBB139_16
.LBB139_20:                             ;   Parent Loop BB139_17 Depth=1
                                        ; =>  This Inner Loop Header: Depth=2
	global_load_b32 v1, v0, s[6:7] scale_offset
	s_mov_b32 s19, exec_lo
	s_wait_loadcnt 0x0
	s_wait_xcnt 0x1
	v_subrev_nc_u32_e32 v6, s2, v1
	v_ashrrev_i32_e32 v1, 31, v0
	s_wait_xcnt 0x0
	s_delay_alu instid0(VALU_DEP_2)
	v_cmpx_ne_u32_e64 v6, v2
	s_cbranch_execz .LBB139_19
; %bb.21:                               ;   in Loop: Header=BB139_20 Depth=2
	s_delay_alu instid0(VALU_DEP_2)
	v_add_nc_u64_e32 v[8:9], s[8:9], v[0:1]
	global_load_i8 v1, v[8:9], off
	s_wait_loadcnt 0x0
	v_mul_lo_u32 v1, v3, v1
	s_wait_xcnt 0x0
	global_atomic_add_u32 v6, v1, s[16:17] scale_offset scope:SCOPE_DEV
	s_branch .LBB139_19
.LBB139_22:
	s_endpgm
	.section	.rodata,"a",@progbits
	.p2align	6, 0x0
	.amdhsa_kernel _ZN9rocsparseL21csrmvt_general_kernelILj256ELj8EiiaaiiEEvbbT2_NS_24const_host_device_scalarIT6_EEPKT1_S7_PKS1_PKT3_PKT4_PT5_21rocsparse_index_base_b
		.amdhsa_group_segment_fixed_size 0
		.amdhsa_private_segment_fixed_size 0
		.amdhsa_kernarg_size 328
		.amdhsa_user_sgpr_count 2
		.amdhsa_user_sgpr_dispatch_ptr 0
		.amdhsa_user_sgpr_queue_ptr 0
		.amdhsa_user_sgpr_kernarg_segment_ptr 1
		.amdhsa_user_sgpr_dispatch_id 0
		.amdhsa_user_sgpr_kernarg_preload_length 0
		.amdhsa_user_sgpr_kernarg_preload_offset 0
		.amdhsa_user_sgpr_private_segment_size 0
		.amdhsa_wavefront_size32 1
		.amdhsa_uses_dynamic_stack 0
		.amdhsa_enable_private_segment 0
		.amdhsa_system_sgpr_workgroup_id_x 1
		.amdhsa_system_sgpr_workgroup_id_y 0
		.amdhsa_system_sgpr_workgroup_id_z 0
		.amdhsa_system_sgpr_workgroup_info 0
		.amdhsa_system_vgpr_workitem_id 0
		.amdhsa_next_free_vgpr 10
		.amdhsa_next_free_sgpr 21
		.amdhsa_named_barrier_count 0
		.amdhsa_reserve_vcc 1
		.amdhsa_float_round_mode_32 0
		.amdhsa_float_round_mode_16_64 0
		.amdhsa_float_denorm_mode_32 3
		.amdhsa_float_denorm_mode_16_64 3
		.amdhsa_fp16_overflow 0
		.amdhsa_memory_ordered 1
		.amdhsa_forward_progress 1
		.amdhsa_inst_pref_size 7
		.amdhsa_round_robin_scheduling 0
		.amdhsa_exception_fp_ieee_invalid_op 0
		.amdhsa_exception_fp_denorm_src 0
		.amdhsa_exception_fp_ieee_div_zero 0
		.amdhsa_exception_fp_ieee_overflow 0
		.amdhsa_exception_fp_ieee_underflow 0
		.amdhsa_exception_fp_ieee_inexact 0
		.amdhsa_exception_int_div_zero 0
	.end_amdhsa_kernel
	.section	.text._ZN9rocsparseL21csrmvt_general_kernelILj256ELj8EiiaaiiEEvbbT2_NS_24const_host_device_scalarIT6_EEPKT1_S7_PKS1_PKT3_PKT4_PT5_21rocsparse_index_base_b,"axG",@progbits,_ZN9rocsparseL21csrmvt_general_kernelILj256ELj8EiiaaiiEEvbbT2_NS_24const_host_device_scalarIT6_EEPKT1_S7_PKS1_PKT3_PKT4_PT5_21rocsparse_index_base_b,comdat
.Lfunc_end139:
	.size	_ZN9rocsparseL21csrmvt_general_kernelILj256ELj8EiiaaiiEEvbbT2_NS_24const_host_device_scalarIT6_EEPKT1_S7_PKS1_PKT3_PKT4_PT5_21rocsparse_index_base_b, .Lfunc_end139-_ZN9rocsparseL21csrmvt_general_kernelILj256ELj8EiiaaiiEEvbbT2_NS_24const_host_device_scalarIT6_EEPKT1_S7_PKS1_PKT3_PKT4_PT5_21rocsparse_index_base_b
                                        ; -- End function
	.set _ZN9rocsparseL21csrmvt_general_kernelILj256ELj8EiiaaiiEEvbbT2_NS_24const_host_device_scalarIT6_EEPKT1_S7_PKS1_PKT3_PKT4_PT5_21rocsparse_index_base_b.num_vgpr, 10
	.set _ZN9rocsparseL21csrmvt_general_kernelILj256ELj8EiiaaiiEEvbbT2_NS_24const_host_device_scalarIT6_EEPKT1_S7_PKS1_PKT3_PKT4_PT5_21rocsparse_index_base_b.num_agpr, 0
	.set _ZN9rocsparseL21csrmvt_general_kernelILj256ELj8EiiaaiiEEvbbT2_NS_24const_host_device_scalarIT6_EEPKT1_S7_PKS1_PKT3_PKT4_PT5_21rocsparse_index_base_b.numbered_sgpr, 21
	.set _ZN9rocsparseL21csrmvt_general_kernelILj256ELj8EiiaaiiEEvbbT2_NS_24const_host_device_scalarIT6_EEPKT1_S7_PKS1_PKT3_PKT4_PT5_21rocsparse_index_base_b.num_named_barrier, 0
	.set _ZN9rocsparseL21csrmvt_general_kernelILj256ELj8EiiaaiiEEvbbT2_NS_24const_host_device_scalarIT6_EEPKT1_S7_PKS1_PKT3_PKT4_PT5_21rocsparse_index_base_b.private_seg_size, 0
	.set _ZN9rocsparseL21csrmvt_general_kernelILj256ELj8EiiaaiiEEvbbT2_NS_24const_host_device_scalarIT6_EEPKT1_S7_PKS1_PKT3_PKT4_PT5_21rocsparse_index_base_b.uses_vcc, 1
	.set _ZN9rocsparseL21csrmvt_general_kernelILj256ELj8EiiaaiiEEvbbT2_NS_24const_host_device_scalarIT6_EEPKT1_S7_PKS1_PKT3_PKT4_PT5_21rocsparse_index_base_b.uses_flat_scratch, 0
	.set _ZN9rocsparseL21csrmvt_general_kernelILj256ELj8EiiaaiiEEvbbT2_NS_24const_host_device_scalarIT6_EEPKT1_S7_PKS1_PKT3_PKT4_PT5_21rocsparse_index_base_b.has_dyn_sized_stack, 0
	.set _ZN9rocsparseL21csrmvt_general_kernelILj256ELj8EiiaaiiEEvbbT2_NS_24const_host_device_scalarIT6_EEPKT1_S7_PKS1_PKT3_PKT4_PT5_21rocsparse_index_base_b.has_recursion, 0
	.set _ZN9rocsparseL21csrmvt_general_kernelILj256ELj8EiiaaiiEEvbbT2_NS_24const_host_device_scalarIT6_EEPKT1_S7_PKS1_PKT3_PKT4_PT5_21rocsparse_index_base_b.has_indirect_call, 0
	.section	.AMDGPU.csdata,"",@progbits
; Kernel info:
; codeLenInByte = 780
; TotalNumSgprs: 23
; NumVgprs: 10
; ScratchSize: 0
; MemoryBound: 0
; FloatMode: 240
; IeeeMode: 1
; LDSByteSize: 0 bytes/workgroup (compile time only)
; SGPRBlocks: 0
; VGPRBlocks: 0
; NumSGPRsForWavesPerEU: 23
; NumVGPRsForWavesPerEU: 10
; NamedBarCnt: 0
; Occupancy: 16
; WaveLimiterHint : 1
; COMPUTE_PGM_RSRC2:SCRATCH_EN: 0
; COMPUTE_PGM_RSRC2:USER_SGPR: 2
; COMPUTE_PGM_RSRC2:TRAP_HANDLER: 0
; COMPUTE_PGM_RSRC2:TGID_X_EN: 1
; COMPUTE_PGM_RSRC2:TGID_Y_EN: 0
; COMPUTE_PGM_RSRC2:TGID_Z_EN: 0
; COMPUTE_PGM_RSRC2:TIDIG_COMP_CNT: 0
	.section	.text._ZN9rocsparseL21csrmvt_general_kernelILj256ELj16EiiaaiiEEvbbT2_NS_24const_host_device_scalarIT6_EEPKT1_S7_PKS1_PKT3_PKT4_PT5_21rocsparse_index_base_b,"axG",@progbits,_ZN9rocsparseL21csrmvt_general_kernelILj256ELj16EiiaaiiEEvbbT2_NS_24const_host_device_scalarIT6_EEPKT1_S7_PKS1_PKT3_PKT4_PT5_21rocsparse_index_base_b,comdat
	.globl	_ZN9rocsparseL21csrmvt_general_kernelILj256ELj16EiiaaiiEEvbbT2_NS_24const_host_device_scalarIT6_EEPKT1_S7_PKS1_PKT3_PKT4_PT5_21rocsparse_index_base_b ; -- Begin function _ZN9rocsparseL21csrmvt_general_kernelILj256ELj16EiiaaiiEEvbbT2_NS_24const_host_device_scalarIT6_EEPKT1_S7_PKS1_PKT3_PKT4_PT5_21rocsparse_index_base_b
	.p2align	8
	.type	_ZN9rocsparseL21csrmvt_general_kernelILj256ELj16EiiaaiiEEvbbT2_NS_24const_host_device_scalarIT6_EEPKT1_S7_PKS1_PKT3_PKT4_PT5_21rocsparse_index_base_b,@function
_ZN9rocsparseL21csrmvt_general_kernelILj256ELj16EiiaaiiEEvbbT2_NS_24const_host_device_scalarIT6_EEPKT1_S7_PKS1_PKT3_PKT4_PT5_21rocsparse_index_base_b: ; @_ZN9rocsparseL21csrmvt_general_kernelILj256ELj16EiiaaiiEEvbbT2_NS_24const_host_device_scalarIT6_EEPKT1_S7_PKS1_PKT3_PKT4_PT5_21rocsparse_index_base_b
; %bb.0:
	s_clause 0x1
	s_load_b64 s[2:3], s[0:1], 0x40
	s_load_b128 s[12:15], s[0:1], 0x8
	s_mov_b32 s4, 0
	s_wait_kmcnt 0x0
	s_bitcmp0_b32 s3, 0
	s_cbranch_scc0 .LBB140_2
; %bb.1:
	s_load_b32 s3, s[12:13], 0x0
	s_and_not1_b32 vcc_lo, exec_lo, s4
	s_cbranch_vccz .LBB140_3
	s_branch .LBB140_4
.LBB140_2:
                                        ; implicit-def: $sgpr3
.LBB140_3:
	s_wait_kmcnt 0x0
	s_mov_b32 s3, s12
.LBB140_4:
	s_wait_kmcnt 0x0
	s_cmp_eq_u32 s3, 0
	s_cbranch_scc1 .LBB140_22
; %bb.5:
	s_clause 0x3
	s_load_b64 s[12:13], s[0:1], 0x0
	s_load_b32 s18, s[0:1], 0x48
	s_load_b64 s[16:17], s[0:1], 0x38
	s_load_b256 s[4:11], s[0:1], 0x18
	s_wait_xcnt 0x0
	s_bfe_u32 s0, ttmp6, 0x4000c
	s_and_b32 s19, ttmp6, 15
	s_add_co_i32 s0, s0, 1
	s_getreg_b32 s20, hwreg(HW_REG_IB_STS2, 6, 4)
	s_mul_i32 s0, ttmp9, s0
	v_and_b32_e32 v3, 15, v0
	s_add_co_i32 s19, s19, s0
	s_wait_kmcnt 0x0
	s_and_b32 s12, s12, 1
	s_lshl_b32 s1, s18, 4
	s_cmp_eq_u32 s20, 0
	s_cselect_b32 s0, ttmp9, s19
	s_cmp_eq_u32 s12, 0
	v_lshl_or_b32 v1, s0, 8, v0
	s_mov_b32 s12, -1
	s_delay_alu instid0(VALU_DEP_1) | instskip(NEXT) | instid1(VALU_DEP_1)
	v_lshrrev_b32_e32 v2, 4, v1
	v_cmp_gt_i32_e64 s0, s13, v2
	s_cbranch_scc0 .LBB140_13
; %bb.6:
	s_and_saveexec_b32 s12, s0
	s_cbranch_execz .LBB140_12
; %bb.7:
	v_subrev_nc_u32_e32 v4, s2, v3
	v_mov_b32_e32 v0, v2
	s_mov_b32 s18, 0
	s_branch .LBB140_9
.LBB140_8:                              ;   in Loop: Header=BB140_9 Depth=1
	s_or_b32 exec_lo, exec_lo, s19
	v_add_nc_u32_e32 v0, s1, v0
	s_delay_alu instid0(VALU_DEP_1) | instskip(SKIP_1) | instid1(SALU_CYCLE_1)
	v_cmp_le_i32_e32 vcc_lo, s13, v0
	s_or_b32 s18, vcc_lo, s18
	s_and_not1_b32 exec_lo, exec_lo, s18
	s_cbranch_execz .LBB140_12
.LBB140_9:                              ; =>This Loop Header: Depth=1
                                        ;     Child Loop BB140_11 Depth 2
	s_clause 0x1
	global_load_b32 v1, v0, s[4:5] scale_offset
	global_load_b32 v6, v0, s[14:15] scale_offset
	s_mov_b32 s19, exec_lo
	s_wait_loadcnt 0x1
	v_subrev_nc_u32_e32 v5, s2, v1
	s_wait_loadcnt 0x0
	v_add_nc_u32_e32 v6, v6, v4
	s_wait_xcnt 0x0
	s_delay_alu instid0(VALU_DEP_1)
	v_cmpx_lt_i32_e64 v6, v5
	s_cbranch_execz .LBB140_8
; %bb.10:                               ;   in Loop: Header=BB140_9 Depth=1
	v_ashrrev_i32_e32 v1, 31, v0
	s_mov_b32 s20, 0
	s_delay_alu instid0(VALU_DEP_1)
	v_add_nc_u64_e32 v[8:9], s[10:11], v[0:1]
	global_load_i8 v1, v[8:9], off
	s_wait_loadcnt 0x0
	v_mul_lo_u32 v1, s3, v1
.LBB140_11:                             ;   Parent Loop BB140_9 Depth=1
                                        ; =>  This Inner Loop Header: Depth=2
	s_clause 0x1
	global_load_i8 v7, v6, s[8:9]
	global_load_b32 v8, v6, s[6:7] scale_offset
	s_wait_xcnt 0x0
	v_add_nc_u32_e32 v6, 16, v6
	s_delay_alu instid0(VALU_DEP_1)
	v_cmp_ge_i32_e32 vcc_lo, v6, v5
	s_or_b32 s20, vcc_lo, s20
	s_wait_loadcnt 0x1
	v_mul_lo_u32 v7, v1, v7
	s_wait_loadcnt 0x0
	v_subrev_nc_u32_e32 v8, s2, v8
	global_atomic_add_u32 v8, v7, s[16:17] scale_offset scope:SCOPE_DEV
	s_wait_xcnt 0x0
	s_and_not1_b32 exec_lo, exec_lo, s20
	s_cbranch_execnz .LBB140_11
	s_branch .LBB140_8
.LBB140_12:
	s_or_b32 exec_lo, exec_lo, s12
	s_mov_b32 s12, 0
.LBB140_13:
	s_delay_alu instid0(SALU_CYCLE_1)
	s_and_not1_b32 vcc_lo, exec_lo, s12
	s_cbranch_vccnz .LBB140_22
; %bb.14:
	s_and_saveexec_b32 s12, s0
	s_cbranch_execz .LBB140_22
; %bb.15:
	v_subrev_nc_u32_e32 v4, s2, v3
	s_mov_b32 s0, 0
	s_branch .LBB140_17
.LBB140_16:                             ;   in Loop: Header=BB140_17 Depth=1
	s_or_b32 exec_lo, exec_lo, s12
	v_add_nc_u32_e32 v2, s1, v2
	s_delay_alu instid0(VALU_DEP_1) | instskip(SKIP_1) | instid1(SALU_CYCLE_1)
	v_cmp_le_i32_e32 vcc_lo, s13, v2
	s_or_b32 s0, vcc_lo, s0
	s_and_not1_b32 exec_lo, exec_lo, s0
	s_cbranch_execz .LBB140_22
.LBB140_17:                             ; =>This Loop Header: Depth=1
                                        ;     Child Loop BB140_20 Depth 2
	s_clause 0x1
	global_load_b32 v0, v2, s[4:5] scale_offset
	global_load_b32 v1, v2, s[14:15] scale_offset
	s_mov_b32 s12, exec_lo
	s_wait_loadcnt 0x1
	v_subrev_nc_u32_e32 v5, s2, v0
	s_wait_loadcnt 0x0
	v_add_nc_u32_e32 v0, v1, v4
	s_wait_xcnt 0x0
	s_delay_alu instid0(VALU_DEP_1)
	v_cmpx_lt_i32_e64 v0, v5
	s_cbranch_execz .LBB140_16
; %bb.18:                               ;   in Loop: Header=BB140_17 Depth=1
	v_ashrrev_i32_e32 v3, 31, v2
	s_mov_b32 s18, 0
	s_delay_alu instid0(VALU_DEP_1)
	v_add_nc_u64_e32 v[6:7], s[10:11], v[2:3]
	global_load_i8 v1, v[6:7], off
	s_wait_loadcnt 0x0
	v_mul_lo_u32 v3, s3, v1
	s_branch .LBB140_20
.LBB140_19:                             ;   in Loop: Header=BB140_20 Depth=2
	s_wait_xcnt 0x0
	s_or_b32 exec_lo, exec_lo, s19
	v_add_nc_u32_e32 v0, 16, v0
	s_delay_alu instid0(VALU_DEP_1) | instskip(SKIP_1) | instid1(SALU_CYCLE_1)
	v_cmp_ge_i32_e32 vcc_lo, v0, v5
	s_or_b32 s18, vcc_lo, s18
	s_and_not1_b32 exec_lo, exec_lo, s18
	s_cbranch_execz .LBB140_16
.LBB140_20:                             ;   Parent Loop BB140_17 Depth=1
                                        ; =>  This Inner Loop Header: Depth=2
	global_load_b32 v1, v0, s[6:7] scale_offset
	s_mov_b32 s19, exec_lo
	s_wait_loadcnt 0x0
	s_wait_xcnt 0x1
	v_subrev_nc_u32_e32 v6, s2, v1
	v_ashrrev_i32_e32 v1, 31, v0
	s_wait_xcnt 0x0
	s_delay_alu instid0(VALU_DEP_2)
	v_cmpx_ne_u32_e64 v6, v2
	s_cbranch_execz .LBB140_19
; %bb.21:                               ;   in Loop: Header=BB140_20 Depth=2
	s_delay_alu instid0(VALU_DEP_2)
	v_add_nc_u64_e32 v[8:9], s[8:9], v[0:1]
	global_load_i8 v1, v[8:9], off
	s_wait_loadcnt 0x0
	v_mul_lo_u32 v1, v3, v1
	s_wait_xcnt 0x0
	global_atomic_add_u32 v6, v1, s[16:17] scale_offset scope:SCOPE_DEV
	s_branch .LBB140_19
.LBB140_22:
	s_endpgm
	.section	.rodata,"a",@progbits
	.p2align	6, 0x0
	.amdhsa_kernel _ZN9rocsparseL21csrmvt_general_kernelILj256ELj16EiiaaiiEEvbbT2_NS_24const_host_device_scalarIT6_EEPKT1_S7_PKS1_PKT3_PKT4_PT5_21rocsparse_index_base_b
		.amdhsa_group_segment_fixed_size 0
		.amdhsa_private_segment_fixed_size 0
		.amdhsa_kernarg_size 328
		.amdhsa_user_sgpr_count 2
		.amdhsa_user_sgpr_dispatch_ptr 0
		.amdhsa_user_sgpr_queue_ptr 0
		.amdhsa_user_sgpr_kernarg_segment_ptr 1
		.amdhsa_user_sgpr_dispatch_id 0
		.amdhsa_user_sgpr_kernarg_preload_length 0
		.amdhsa_user_sgpr_kernarg_preload_offset 0
		.amdhsa_user_sgpr_private_segment_size 0
		.amdhsa_wavefront_size32 1
		.amdhsa_uses_dynamic_stack 0
		.amdhsa_enable_private_segment 0
		.amdhsa_system_sgpr_workgroup_id_x 1
		.amdhsa_system_sgpr_workgroup_id_y 0
		.amdhsa_system_sgpr_workgroup_id_z 0
		.amdhsa_system_sgpr_workgroup_info 0
		.amdhsa_system_vgpr_workitem_id 0
		.amdhsa_next_free_vgpr 10
		.amdhsa_next_free_sgpr 21
		.amdhsa_named_barrier_count 0
		.amdhsa_reserve_vcc 1
		.amdhsa_float_round_mode_32 0
		.amdhsa_float_round_mode_16_64 0
		.amdhsa_float_denorm_mode_32 3
		.amdhsa_float_denorm_mode_16_64 3
		.amdhsa_fp16_overflow 0
		.amdhsa_memory_ordered 1
		.amdhsa_forward_progress 1
		.amdhsa_inst_pref_size 7
		.amdhsa_round_robin_scheduling 0
		.amdhsa_exception_fp_ieee_invalid_op 0
		.amdhsa_exception_fp_denorm_src 0
		.amdhsa_exception_fp_ieee_div_zero 0
		.amdhsa_exception_fp_ieee_overflow 0
		.amdhsa_exception_fp_ieee_underflow 0
		.amdhsa_exception_fp_ieee_inexact 0
		.amdhsa_exception_int_div_zero 0
	.end_amdhsa_kernel
	.section	.text._ZN9rocsparseL21csrmvt_general_kernelILj256ELj16EiiaaiiEEvbbT2_NS_24const_host_device_scalarIT6_EEPKT1_S7_PKS1_PKT3_PKT4_PT5_21rocsparse_index_base_b,"axG",@progbits,_ZN9rocsparseL21csrmvt_general_kernelILj256ELj16EiiaaiiEEvbbT2_NS_24const_host_device_scalarIT6_EEPKT1_S7_PKS1_PKT3_PKT4_PT5_21rocsparse_index_base_b,comdat
.Lfunc_end140:
	.size	_ZN9rocsparseL21csrmvt_general_kernelILj256ELj16EiiaaiiEEvbbT2_NS_24const_host_device_scalarIT6_EEPKT1_S7_PKS1_PKT3_PKT4_PT5_21rocsparse_index_base_b, .Lfunc_end140-_ZN9rocsparseL21csrmvt_general_kernelILj256ELj16EiiaaiiEEvbbT2_NS_24const_host_device_scalarIT6_EEPKT1_S7_PKS1_PKT3_PKT4_PT5_21rocsparse_index_base_b
                                        ; -- End function
	.set _ZN9rocsparseL21csrmvt_general_kernelILj256ELj16EiiaaiiEEvbbT2_NS_24const_host_device_scalarIT6_EEPKT1_S7_PKS1_PKT3_PKT4_PT5_21rocsparse_index_base_b.num_vgpr, 10
	.set _ZN9rocsparseL21csrmvt_general_kernelILj256ELj16EiiaaiiEEvbbT2_NS_24const_host_device_scalarIT6_EEPKT1_S7_PKS1_PKT3_PKT4_PT5_21rocsparse_index_base_b.num_agpr, 0
	.set _ZN9rocsparseL21csrmvt_general_kernelILj256ELj16EiiaaiiEEvbbT2_NS_24const_host_device_scalarIT6_EEPKT1_S7_PKS1_PKT3_PKT4_PT5_21rocsparse_index_base_b.numbered_sgpr, 21
	.set _ZN9rocsparseL21csrmvt_general_kernelILj256ELj16EiiaaiiEEvbbT2_NS_24const_host_device_scalarIT6_EEPKT1_S7_PKS1_PKT3_PKT4_PT5_21rocsparse_index_base_b.num_named_barrier, 0
	.set _ZN9rocsparseL21csrmvt_general_kernelILj256ELj16EiiaaiiEEvbbT2_NS_24const_host_device_scalarIT6_EEPKT1_S7_PKS1_PKT3_PKT4_PT5_21rocsparse_index_base_b.private_seg_size, 0
	.set _ZN9rocsparseL21csrmvt_general_kernelILj256ELj16EiiaaiiEEvbbT2_NS_24const_host_device_scalarIT6_EEPKT1_S7_PKS1_PKT3_PKT4_PT5_21rocsparse_index_base_b.uses_vcc, 1
	.set _ZN9rocsparseL21csrmvt_general_kernelILj256ELj16EiiaaiiEEvbbT2_NS_24const_host_device_scalarIT6_EEPKT1_S7_PKS1_PKT3_PKT4_PT5_21rocsparse_index_base_b.uses_flat_scratch, 0
	.set _ZN9rocsparseL21csrmvt_general_kernelILj256ELj16EiiaaiiEEvbbT2_NS_24const_host_device_scalarIT6_EEPKT1_S7_PKS1_PKT3_PKT4_PT5_21rocsparse_index_base_b.has_dyn_sized_stack, 0
	.set _ZN9rocsparseL21csrmvt_general_kernelILj256ELj16EiiaaiiEEvbbT2_NS_24const_host_device_scalarIT6_EEPKT1_S7_PKS1_PKT3_PKT4_PT5_21rocsparse_index_base_b.has_recursion, 0
	.set _ZN9rocsparseL21csrmvt_general_kernelILj256ELj16EiiaaiiEEvbbT2_NS_24const_host_device_scalarIT6_EEPKT1_S7_PKS1_PKT3_PKT4_PT5_21rocsparse_index_base_b.has_indirect_call, 0
	.section	.AMDGPU.csdata,"",@progbits
; Kernel info:
; codeLenInByte = 780
; TotalNumSgprs: 23
; NumVgprs: 10
; ScratchSize: 0
; MemoryBound: 0
; FloatMode: 240
; IeeeMode: 1
; LDSByteSize: 0 bytes/workgroup (compile time only)
; SGPRBlocks: 0
; VGPRBlocks: 0
; NumSGPRsForWavesPerEU: 23
; NumVGPRsForWavesPerEU: 10
; NamedBarCnt: 0
; Occupancy: 16
; WaveLimiterHint : 1
; COMPUTE_PGM_RSRC2:SCRATCH_EN: 0
; COMPUTE_PGM_RSRC2:USER_SGPR: 2
; COMPUTE_PGM_RSRC2:TRAP_HANDLER: 0
; COMPUTE_PGM_RSRC2:TGID_X_EN: 1
; COMPUTE_PGM_RSRC2:TGID_Y_EN: 0
; COMPUTE_PGM_RSRC2:TGID_Z_EN: 0
; COMPUTE_PGM_RSRC2:TIDIG_COMP_CNT: 0
	.section	.text._ZN9rocsparseL21csrmvt_general_kernelILj256ELj32EiiaaiiEEvbbT2_NS_24const_host_device_scalarIT6_EEPKT1_S7_PKS1_PKT3_PKT4_PT5_21rocsparse_index_base_b,"axG",@progbits,_ZN9rocsparseL21csrmvt_general_kernelILj256ELj32EiiaaiiEEvbbT2_NS_24const_host_device_scalarIT6_EEPKT1_S7_PKS1_PKT3_PKT4_PT5_21rocsparse_index_base_b,comdat
	.globl	_ZN9rocsparseL21csrmvt_general_kernelILj256ELj32EiiaaiiEEvbbT2_NS_24const_host_device_scalarIT6_EEPKT1_S7_PKS1_PKT3_PKT4_PT5_21rocsparse_index_base_b ; -- Begin function _ZN9rocsparseL21csrmvt_general_kernelILj256ELj32EiiaaiiEEvbbT2_NS_24const_host_device_scalarIT6_EEPKT1_S7_PKS1_PKT3_PKT4_PT5_21rocsparse_index_base_b
	.p2align	8
	.type	_ZN9rocsparseL21csrmvt_general_kernelILj256ELj32EiiaaiiEEvbbT2_NS_24const_host_device_scalarIT6_EEPKT1_S7_PKS1_PKT3_PKT4_PT5_21rocsparse_index_base_b,@function
_ZN9rocsparseL21csrmvt_general_kernelILj256ELj32EiiaaiiEEvbbT2_NS_24const_host_device_scalarIT6_EEPKT1_S7_PKS1_PKT3_PKT4_PT5_21rocsparse_index_base_b: ; @_ZN9rocsparseL21csrmvt_general_kernelILj256ELj32EiiaaiiEEvbbT2_NS_24const_host_device_scalarIT6_EEPKT1_S7_PKS1_PKT3_PKT4_PT5_21rocsparse_index_base_b
; %bb.0:
	s_clause 0x1
	s_load_b64 s[2:3], s[0:1], 0x40
	s_load_b128 s[12:15], s[0:1], 0x8
	s_mov_b32 s4, 0
	s_wait_kmcnt 0x0
	s_bitcmp0_b32 s3, 0
	s_cbranch_scc0 .LBB141_2
; %bb.1:
	s_load_b32 s3, s[12:13], 0x0
	s_and_not1_b32 vcc_lo, exec_lo, s4
	s_cbranch_vccz .LBB141_3
	s_branch .LBB141_4
.LBB141_2:
                                        ; implicit-def: $sgpr3
.LBB141_3:
	s_wait_kmcnt 0x0
	s_mov_b32 s3, s12
.LBB141_4:
	s_wait_kmcnt 0x0
	s_cmp_eq_u32 s3, 0
	s_cbranch_scc1 .LBB141_22
; %bb.5:
	s_clause 0x3
	s_load_b64 s[12:13], s[0:1], 0x0
	s_load_b32 s18, s[0:1], 0x48
	s_load_b64 s[16:17], s[0:1], 0x38
	s_load_b256 s[4:11], s[0:1], 0x18
	s_wait_xcnt 0x0
	s_bfe_u32 s0, ttmp6, 0x4000c
	s_and_b32 s19, ttmp6, 15
	s_add_co_i32 s0, s0, 1
	s_getreg_b32 s20, hwreg(HW_REG_IB_STS2, 6, 4)
	s_mul_i32 s0, ttmp9, s0
	v_and_b32_e32 v3, 31, v0
	s_add_co_i32 s19, s19, s0
	s_wait_kmcnt 0x0
	s_and_b32 s12, s12, 1
	s_lshl_b32 s1, s18, 3
	s_cmp_eq_u32 s20, 0
	s_cselect_b32 s0, ttmp9, s19
	s_cmp_eq_u32 s12, 0
	v_lshl_or_b32 v1, s0, 8, v0
	s_mov_b32 s12, -1
	s_delay_alu instid0(VALU_DEP_1) | instskip(NEXT) | instid1(VALU_DEP_1)
	v_lshrrev_b32_e32 v2, 5, v1
	v_cmp_gt_i32_e64 s0, s13, v2
	s_cbranch_scc0 .LBB141_13
; %bb.6:
	s_and_saveexec_b32 s12, s0
	s_cbranch_execz .LBB141_12
; %bb.7:
	v_subrev_nc_u32_e32 v4, s2, v3
	v_mov_b32_e32 v0, v2
	s_mov_b32 s18, 0
	s_branch .LBB141_9
.LBB141_8:                              ;   in Loop: Header=BB141_9 Depth=1
	s_or_b32 exec_lo, exec_lo, s19
	v_add_nc_u32_e32 v0, s1, v0
	s_delay_alu instid0(VALU_DEP_1) | instskip(SKIP_1) | instid1(SALU_CYCLE_1)
	v_cmp_le_i32_e32 vcc_lo, s13, v0
	s_or_b32 s18, vcc_lo, s18
	s_and_not1_b32 exec_lo, exec_lo, s18
	s_cbranch_execz .LBB141_12
.LBB141_9:                              ; =>This Loop Header: Depth=1
                                        ;     Child Loop BB141_11 Depth 2
	s_clause 0x1
	global_load_b32 v1, v0, s[4:5] scale_offset
	global_load_b32 v6, v0, s[14:15] scale_offset
	s_mov_b32 s19, exec_lo
	s_wait_loadcnt 0x1
	v_subrev_nc_u32_e32 v5, s2, v1
	s_wait_loadcnt 0x0
	v_add_nc_u32_e32 v6, v6, v4
	s_wait_xcnt 0x0
	s_delay_alu instid0(VALU_DEP_1)
	v_cmpx_lt_i32_e64 v6, v5
	s_cbranch_execz .LBB141_8
; %bb.10:                               ;   in Loop: Header=BB141_9 Depth=1
	v_ashrrev_i32_e32 v1, 31, v0
	s_mov_b32 s20, 0
	s_delay_alu instid0(VALU_DEP_1)
	v_add_nc_u64_e32 v[8:9], s[10:11], v[0:1]
	global_load_i8 v1, v[8:9], off
	s_wait_loadcnt 0x0
	v_mul_lo_u32 v1, s3, v1
.LBB141_11:                             ;   Parent Loop BB141_9 Depth=1
                                        ; =>  This Inner Loop Header: Depth=2
	s_clause 0x1
	global_load_i8 v7, v6, s[8:9]
	global_load_b32 v8, v6, s[6:7] scale_offset
	s_wait_xcnt 0x0
	v_add_nc_u32_e32 v6, 32, v6
	s_delay_alu instid0(VALU_DEP_1)
	v_cmp_ge_i32_e32 vcc_lo, v6, v5
	s_or_b32 s20, vcc_lo, s20
	s_wait_loadcnt 0x1
	v_mul_lo_u32 v7, v1, v7
	s_wait_loadcnt 0x0
	v_subrev_nc_u32_e32 v8, s2, v8
	global_atomic_add_u32 v8, v7, s[16:17] scale_offset scope:SCOPE_DEV
	s_wait_xcnt 0x0
	s_and_not1_b32 exec_lo, exec_lo, s20
	s_cbranch_execnz .LBB141_11
	s_branch .LBB141_8
.LBB141_12:
	s_or_b32 exec_lo, exec_lo, s12
	s_mov_b32 s12, 0
.LBB141_13:
	s_delay_alu instid0(SALU_CYCLE_1)
	s_and_not1_b32 vcc_lo, exec_lo, s12
	s_cbranch_vccnz .LBB141_22
; %bb.14:
	s_and_saveexec_b32 s12, s0
	s_cbranch_execz .LBB141_22
; %bb.15:
	v_subrev_nc_u32_e32 v4, s2, v3
	s_mov_b32 s0, 0
	s_branch .LBB141_17
.LBB141_16:                             ;   in Loop: Header=BB141_17 Depth=1
	s_or_b32 exec_lo, exec_lo, s12
	v_add_nc_u32_e32 v2, s1, v2
	s_delay_alu instid0(VALU_DEP_1) | instskip(SKIP_1) | instid1(SALU_CYCLE_1)
	v_cmp_le_i32_e32 vcc_lo, s13, v2
	s_or_b32 s0, vcc_lo, s0
	s_and_not1_b32 exec_lo, exec_lo, s0
	s_cbranch_execz .LBB141_22
.LBB141_17:                             ; =>This Loop Header: Depth=1
                                        ;     Child Loop BB141_20 Depth 2
	s_clause 0x1
	global_load_b32 v0, v2, s[4:5] scale_offset
	global_load_b32 v1, v2, s[14:15] scale_offset
	s_mov_b32 s12, exec_lo
	s_wait_loadcnt 0x1
	v_subrev_nc_u32_e32 v5, s2, v0
	s_wait_loadcnt 0x0
	v_add_nc_u32_e32 v0, v1, v4
	s_wait_xcnt 0x0
	s_delay_alu instid0(VALU_DEP_1)
	v_cmpx_lt_i32_e64 v0, v5
	s_cbranch_execz .LBB141_16
; %bb.18:                               ;   in Loop: Header=BB141_17 Depth=1
	v_ashrrev_i32_e32 v3, 31, v2
	s_mov_b32 s18, 0
	s_delay_alu instid0(VALU_DEP_1)
	v_add_nc_u64_e32 v[6:7], s[10:11], v[2:3]
	global_load_i8 v1, v[6:7], off
	s_wait_loadcnt 0x0
	v_mul_lo_u32 v3, s3, v1
	s_branch .LBB141_20
.LBB141_19:                             ;   in Loop: Header=BB141_20 Depth=2
	s_wait_xcnt 0x0
	s_or_b32 exec_lo, exec_lo, s19
	v_add_nc_u32_e32 v0, 32, v0
	s_delay_alu instid0(VALU_DEP_1) | instskip(SKIP_1) | instid1(SALU_CYCLE_1)
	v_cmp_ge_i32_e32 vcc_lo, v0, v5
	s_or_b32 s18, vcc_lo, s18
	s_and_not1_b32 exec_lo, exec_lo, s18
	s_cbranch_execz .LBB141_16
.LBB141_20:                             ;   Parent Loop BB141_17 Depth=1
                                        ; =>  This Inner Loop Header: Depth=2
	global_load_b32 v1, v0, s[6:7] scale_offset
	s_mov_b32 s19, exec_lo
	s_wait_loadcnt 0x0
	s_wait_xcnt 0x1
	v_subrev_nc_u32_e32 v6, s2, v1
	v_ashrrev_i32_e32 v1, 31, v0
	s_wait_xcnt 0x0
	s_delay_alu instid0(VALU_DEP_2)
	v_cmpx_ne_u32_e64 v6, v2
	s_cbranch_execz .LBB141_19
; %bb.21:                               ;   in Loop: Header=BB141_20 Depth=2
	s_delay_alu instid0(VALU_DEP_2)
	v_add_nc_u64_e32 v[8:9], s[8:9], v[0:1]
	global_load_i8 v1, v[8:9], off
	s_wait_loadcnt 0x0
	v_mul_lo_u32 v1, v3, v1
	s_wait_xcnt 0x0
	global_atomic_add_u32 v6, v1, s[16:17] scale_offset scope:SCOPE_DEV
	s_branch .LBB141_19
.LBB141_22:
	s_endpgm
	.section	.rodata,"a",@progbits
	.p2align	6, 0x0
	.amdhsa_kernel _ZN9rocsparseL21csrmvt_general_kernelILj256ELj32EiiaaiiEEvbbT2_NS_24const_host_device_scalarIT6_EEPKT1_S7_PKS1_PKT3_PKT4_PT5_21rocsparse_index_base_b
		.amdhsa_group_segment_fixed_size 0
		.amdhsa_private_segment_fixed_size 0
		.amdhsa_kernarg_size 328
		.amdhsa_user_sgpr_count 2
		.amdhsa_user_sgpr_dispatch_ptr 0
		.amdhsa_user_sgpr_queue_ptr 0
		.amdhsa_user_sgpr_kernarg_segment_ptr 1
		.amdhsa_user_sgpr_dispatch_id 0
		.amdhsa_user_sgpr_kernarg_preload_length 0
		.amdhsa_user_sgpr_kernarg_preload_offset 0
		.amdhsa_user_sgpr_private_segment_size 0
		.amdhsa_wavefront_size32 1
		.amdhsa_uses_dynamic_stack 0
		.amdhsa_enable_private_segment 0
		.amdhsa_system_sgpr_workgroup_id_x 1
		.amdhsa_system_sgpr_workgroup_id_y 0
		.amdhsa_system_sgpr_workgroup_id_z 0
		.amdhsa_system_sgpr_workgroup_info 0
		.amdhsa_system_vgpr_workitem_id 0
		.amdhsa_next_free_vgpr 10
		.amdhsa_next_free_sgpr 21
		.amdhsa_named_barrier_count 0
		.amdhsa_reserve_vcc 1
		.amdhsa_float_round_mode_32 0
		.amdhsa_float_round_mode_16_64 0
		.amdhsa_float_denorm_mode_32 3
		.amdhsa_float_denorm_mode_16_64 3
		.amdhsa_fp16_overflow 0
		.amdhsa_memory_ordered 1
		.amdhsa_forward_progress 1
		.amdhsa_inst_pref_size 7
		.amdhsa_round_robin_scheduling 0
		.amdhsa_exception_fp_ieee_invalid_op 0
		.amdhsa_exception_fp_denorm_src 0
		.amdhsa_exception_fp_ieee_div_zero 0
		.amdhsa_exception_fp_ieee_overflow 0
		.amdhsa_exception_fp_ieee_underflow 0
		.amdhsa_exception_fp_ieee_inexact 0
		.amdhsa_exception_int_div_zero 0
	.end_amdhsa_kernel
	.section	.text._ZN9rocsparseL21csrmvt_general_kernelILj256ELj32EiiaaiiEEvbbT2_NS_24const_host_device_scalarIT6_EEPKT1_S7_PKS1_PKT3_PKT4_PT5_21rocsparse_index_base_b,"axG",@progbits,_ZN9rocsparseL21csrmvt_general_kernelILj256ELj32EiiaaiiEEvbbT2_NS_24const_host_device_scalarIT6_EEPKT1_S7_PKS1_PKT3_PKT4_PT5_21rocsparse_index_base_b,comdat
.Lfunc_end141:
	.size	_ZN9rocsparseL21csrmvt_general_kernelILj256ELj32EiiaaiiEEvbbT2_NS_24const_host_device_scalarIT6_EEPKT1_S7_PKS1_PKT3_PKT4_PT5_21rocsparse_index_base_b, .Lfunc_end141-_ZN9rocsparseL21csrmvt_general_kernelILj256ELj32EiiaaiiEEvbbT2_NS_24const_host_device_scalarIT6_EEPKT1_S7_PKS1_PKT3_PKT4_PT5_21rocsparse_index_base_b
                                        ; -- End function
	.set _ZN9rocsparseL21csrmvt_general_kernelILj256ELj32EiiaaiiEEvbbT2_NS_24const_host_device_scalarIT6_EEPKT1_S7_PKS1_PKT3_PKT4_PT5_21rocsparse_index_base_b.num_vgpr, 10
	.set _ZN9rocsparseL21csrmvt_general_kernelILj256ELj32EiiaaiiEEvbbT2_NS_24const_host_device_scalarIT6_EEPKT1_S7_PKS1_PKT3_PKT4_PT5_21rocsparse_index_base_b.num_agpr, 0
	.set _ZN9rocsparseL21csrmvt_general_kernelILj256ELj32EiiaaiiEEvbbT2_NS_24const_host_device_scalarIT6_EEPKT1_S7_PKS1_PKT3_PKT4_PT5_21rocsparse_index_base_b.numbered_sgpr, 21
	.set _ZN9rocsparseL21csrmvt_general_kernelILj256ELj32EiiaaiiEEvbbT2_NS_24const_host_device_scalarIT6_EEPKT1_S7_PKS1_PKT3_PKT4_PT5_21rocsparse_index_base_b.num_named_barrier, 0
	.set _ZN9rocsparseL21csrmvt_general_kernelILj256ELj32EiiaaiiEEvbbT2_NS_24const_host_device_scalarIT6_EEPKT1_S7_PKS1_PKT3_PKT4_PT5_21rocsparse_index_base_b.private_seg_size, 0
	.set _ZN9rocsparseL21csrmvt_general_kernelILj256ELj32EiiaaiiEEvbbT2_NS_24const_host_device_scalarIT6_EEPKT1_S7_PKS1_PKT3_PKT4_PT5_21rocsparse_index_base_b.uses_vcc, 1
	.set _ZN9rocsparseL21csrmvt_general_kernelILj256ELj32EiiaaiiEEvbbT2_NS_24const_host_device_scalarIT6_EEPKT1_S7_PKS1_PKT3_PKT4_PT5_21rocsparse_index_base_b.uses_flat_scratch, 0
	.set _ZN9rocsparseL21csrmvt_general_kernelILj256ELj32EiiaaiiEEvbbT2_NS_24const_host_device_scalarIT6_EEPKT1_S7_PKS1_PKT3_PKT4_PT5_21rocsparse_index_base_b.has_dyn_sized_stack, 0
	.set _ZN9rocsparseL21csrmvt_general_kernelILj256ELj32EiiaaiiEEvbbT2_NS_24const_host_device_scalarIT6_EEPKT1_S7_PKS1_PKT3_PKT4_PT5_21rocsparse_index_base_b.has_recursion, 0
	.set _ZN9rocsparseL21csrmvt_general_kernelILj256ELj32EiiaaiiEEvbbT2_NS_24const_host_device_scalarIT6_EEPKT1_S7_PKS1_PKT3_PKT4_PT5_21rocsparse_index_base_b.has_indirect_call, 0
	.section	.AMDGPU.csdata,"",@progbits
; Kernel info:
; codeLenInByte = 780
; TotalNumSgprs: 23
; NumVgprs: 10
; ScratchSize: 0
; MemoryBound: 0
; FloatMode: 240
; IeeeMode: 1
; LDSByteSize: 0 bytes/workgroup (compile time only)
; SGPRBlocks: 0
; VGPRBlocks: 0
; NumSGPRsForWavesPerEU: 23
; NumVGPRsForWavesPerEU: 10
; NamedBarCnt: 0
; Occupancy: 16
; WaveLimiterHint : 1
; COMPUTE_PGM_RSRC2:SCRATCH_EN: 0
; COMPUTE_PGM_RSRC2:USER_SGPR: 2
; COMPUTE_PGM_RSRC2:TRAP_HANDLER: 0
; COMPUTE_PGM_RSRC2:TGID_X_EN: 1
; COMPUTE_PGM_RSRC2:TGID_Y_EN: 0
; COMPUTE_PGM_RSRC2:TGID_Z_EN: 0
; COMPUTE_PGM_RSRC2:TIDIG_COMP_CNT: 0
	.section	.text._ZN9rocsparseL21csrmvt_general_kernelILj256ELj64EiiaaiiEEvbbT2_NS_24const_host_device_scalarIT6_EEPKT1_S7_PKS1_PKT3_PKT4_PT5_21rocsparse_index_base_b,"axG",@progbits,_ZN9rocsparseL21csrmvt_general_kernelILj256ELj64EiiaaiiEEvbbT2_NS_24const_host_device_scalarIT6_EEPKT1_S7_PKS1_PKT3_PKT4_PT5_21rocsparse_index_base_b,comdat
	.globl	_ZN9rocsparseL21csrmvt_general_kernelILj256ELj64EiiaaiiEEvbbT2_NS_24const_host_device_scalarIT6_EEPKT1_S7_PKS1_PKT3_PKT4_PT5_21rocsparse_index_base_b ; -- Begin function _ZN9rocsparseL21csrmvt_general_kernelILj256ELj64EiiaaiiEEvbbT2_NS_24const_host_device_scalarIT6_EEPKT1_S7_PKS1_PKT3_PKT4_PT5_21rocsparse_index_base_b
	.p2align	8
	.type	_ZN9rocsparseL21csrmvt_general_kernelILj256ELj64EiiaaiiEEvbbT2_NS_24const_host_device_scalarIT6_EEPKT1_S7_PKS1_PKT3_PKT4_PT5_21rocsparse_index_base_b,@function
_ZN9rocsparseL21csrmvt_general_kernelILj256ELj64EiiaaiiEEvbbT2_NS_24const_host_device_scalarIT6_EEPKT1_S7_PKS1_PKT3_PKT4_PT5_21rocsparse_index_base_b: ; @_ZN9rocsparseL21csrmvt_general_kernelILj256ELj64EiiaaiiEEvbbT2_NS_24const_host_device_scalarIT6_EEPKT1_S7_PKS1_PKT3_PKT4_PT5_21rocsparse_index_base_b
; %bb.0:
	s_clause 0x1
	s_load_b64 s[2:3], s[0:1], 0x40
	s_load_b128 s[12:15], s[0:1], 0x8
	s_mov_b32 s4, 0
	s_wait_kmcnt 0x0
	s_bitcmp0_b32 s3, 0
	s_cbranch_scc0 .LBB142_2
; %bb.1:
	s_load_b32 s3, s[12:13], 0x0
	s_and_not1_b32 vcc_lo, exec_lo, s4
	s_cbranch_vccz .LBB142_3
	s_branch .LBB142_4
.LBB142_2:
                                        ; implicit-def: $sgpr3
.LBB142_3:
	s_wait_kmcnt 0x0
	s_mov_b32 s3, s12
.LBB142_4:
	s_wait_kmcnt 0x0
	s_cmp_eq_u32 s3, 0
	s_cbranch_scc1 .LBB142_22
; %bb.5:
	s_clause 0x3
	s_load_b64 s[12:13], s[0:1], 0x0
	s_load_b32 s18, s[0:1], 0x48
	s_load_b64 s[16:17], s[0:1], 0x38
	s_load_b256 s[4:11], s[0:1], 0x18
	s_wait_xcnt 0x0
	s_bfe_u32 s0, ttmp6, 0x4000c
	s_and_b32 s19, ttmp6, 15
	s_add_co_i32 s0, s0, 1
	s_getreg_b32 s20, hwreg(HW_REG_IB_STS2, 6, 4)
	s_mul_i32 s0, ttmp9, s0
	v_and_b32_e32 v3, 63, v0
	s_add_co_i32 s19, s19, s0
	s_wait_kmcnt 0x0
	s_and_b32 s12, s12, 1
	s_lshl_b32 s1, s18, 2
	s_cmp_eq_u32 s20, 0
	s_cselect_b32 s0, ttmp9, s19
	s_cmp_eq_u32 s12, 0
	v_lshl_or_b32 v1, s0, 8, v0
	s_mov_b32 s12, -1
	s_delay_alu instid0(VALU_DEP_1) | instskip(NEXT) | instid1(VALU_DEP_1)
	v_lshrrev_b32_e32 v2, 6, v1
	v_cmp_gt_i32_e64 s0, s13, v2
	s_cbranch_scc0 .LBB142_13
; %bb.6:
	s_and_saveexec_b32 s12, s0
	s_cbranch_execz .LBB142_12
; %bb.7:
	v_subrev_nc_u32_e32 v4, s2, v3
	v_mov_b32_e32 v0, v2
	s_mov_b32 s18, 0
	s_branch .LBB142_9
.LBB142_8:                              ;   in Loop: Header=BB142_9 Depth=1
	s_or_b32 exec_lo, exec_lo, s19
	v_add_nc_u32_e32 v0, s1, v0
	s_delay_alu instid0(VALU_DEP_1) | instskip(SKIP_1) | instid1(SALU_CYCLE_1)
	v_cmp_le_i32_e32 vcc_lo, s13, v0
	s_or_b32 s18, vcc_lo, s18
	s_and_not1_b32 exec_lo, exec_lo, s18
	s_cbranch_execz .LBB142_12
.LBB142_9:                              ; =>This Loop Header: Depth=1
                                        ;     Child Loop BB142_11 Depth 2
	s_clause 0x1
	global_load_b32 v1, v0, s[4:5] scale_offset
	global_load_b32 v6, v0, s[14:15] scale_offset
	s_mov_b32 s19, exec_lo
	s_wait_loadcnt 0x1
	v_subrev_nc_u32_e32 v5, s2, v1
	s_wait_loadcnt 0x0
	v_add_nc_u32_e32 v6, v6, v4
	s_wait_xcnt 0x0
	s_delay_alu instid0(VALU_DEP_1)
	v_cmpx_lt_i32_e64 v6, v5
	s_cbranch_execz .LBB142_8
; %bb.10:                               ;   in Loop: Header=BB142_9 Depth=1
	v_ashrrev_i32_e32 v1, 31, v0
	s_mov_b32 s20, 0
	s_delay_alu instid0(VALU_DEP_1)
	v_add_nc_u64_e32 v[8:9], s[10:11], v[0:1]
	global_load_i8 v1, v[8:9], off
	s_wait_loadcnt 0x0
	v_mul_lo_u32 v1, s3, v1
.LBB142_11:                             ;   Parent Loop BB142_9 Depth=1
                                        ; =>  This Inner Loop Header: Depth=2
	s_clause 0x1
	global_load_i8 v7, v6, s[8:9]
	global_load_b32 v8, v6, s[6:7] scale_offset
	s_wait_xcnt 0x0
	v_add_nc_u32_e32 v6, 64, v6
	s_delay_alu instid0(VALU_DEP_1)
	v_cmp_ge_i32_e32 vcc_lo, v6, v5
	s_or_b32 s20, vcc_lo, s20
	s_wait_loadcnt 0x1
	v_mul_lo_u32 v7, v1, v7
	s_wait_loadcnt 0x0
	v_subrev_nc_u32_e32 v8, s2, v8
	global_atomic_add_u32 v8, v7, s[16:17] scale_offset scope:SCOPE_DEV
	s_wait_xcnt 0x0
	s_and_not1_b32 exec_lo, exec_lo, s20
	s_cbranch_execnz .LBB142_11
	s_branch .LBB142_8
.LBB142_12:
	s_or_b32 exec_lo, exec_lo, s12
	s_mov_b32 s12, 0
.LBB142_13:
	s_delay_alu instid0(SALU_CYCLE_1)
	s_and_not1_b32 vcc_lo, exec_lo, s12
	s_cbranch_vccnz .LBB142_22
; %bb.14:
	s_and_saveexec_b32 s12, s0
	s_cbranch_execz .LBB142_22
; %bb.15:
	v_subrev_nc_u32_e32 v4, s2, v3
	s_mov_b32 s0, 0
	s_branch .LBB142_17
.LBB142_16:                             ;   in Loop: Header=BB142_17 Depth=1
	s_or_b32 exec_lo, exec_lo, s12
	v_add_nc_u32_e32 v2, s1, v2
	s_delay_alu instid0(VALU_DEP_1) | instskip(SKIP_1) | instid1(SALU_CYCLE_1)
	v_cmp_le_i32_e32 vcc_lo, s13, v2
	s_or_b32 s0, vcc_lo, s0
	s_and_not1_b32 exec_lo, exec_lo, s0
	s_cbranch_execz .LBB142_22
.LBB142_17:                             ; =>This Loop Header: Depth=1
                                        ;     Child Loop BB142_20 Depth 2
	s_clause 0x1
	global_load_b32 v0, v2, s[4:5] scale_offset
	global_load_b32 v1, v2, s[14:15] scale_offset
	s_mov_b32 s12, exec_lo
	s_wait_loadcnt 0x1
	v_subrev_nc_u32_e32 v5, s2, v0
	s_wait_loadcnt 0x0
	v_add_nc_u32_e32 v0, v1, v4
	s_wait_xcnt 0x0
	s_delay_alu instid0(VALU_DEP_1)
	v_cmpx_lt_i32_e64 v0, v5
	s_cbranch_execz .LBB142_16
; %bb.18:                               ;   in Loop: Header=BB142_17 Depth=1
	v_ashrrev_i32_e32 v3, 31, v2
	s_mov_b32 s18, 0
	s_delay_alu instid0(VALU_DEP_1)
	v_add_nc_u64_e32 v[6:7], s[10:11], v[2:3]
	global_load_i8 v1, v[6:7], off
	s_wait_loadcnt 0x0
	v_mul_lo_u32 v3, s3, v1
	s_branch .LBB142_20
.LBB142_19:                             ;   in Loop: Header=BB142_20 Depth=2
	s_wait_xcnt 0x0
	s_or_b32 exec_lo, exec_lo, s19
	v_add_nc_u32_e32 v0, 64, v0
	s_delay_alu instid0(VALU_DEP_1) | instskip(SKIP_1) | instid1(SALU_CYCLE_1)
	v_cmp_ge_i32_e32 vcc_lo, v0, v5
	s_or_b32 s18, vcc_lo, s18
	s_and_not1_b32 exec_lo, exec_lo, s18
	s_cbranch_execz .LBB142_16
.LBB142_20:                             ;   Parent Loop BB142_17 Depth=1
                                        ; =>  This Inner Loop Header: Depth=2
	global_load_b32 v1, v0, s[6:7] scale_offset
	s_mov_b32 s19, exec_lo
	s_wait_loadcnt 0x0
	s_wait_xcnt 0x1
	v_subrev_nc_u32_e32 v6, s2, v1
	v_ashrrev_i32_e32 v1, 31, v0
	s_wait_xcnt 0x0
	s_delay_alu instid0(VALU_DEP_2)
	v_cmpx_ne_u32_e64 v6, v2
	s_cbranch_execz .LBB142_19
; %bb.21:                               ;   in Loop: Header=BB142_20 Depth=2
	s_delay_alu instid0(VALU_DEP_2)
	v_add_nc_u64_e32 v[8:9], s[8:9], v[0:1]
	global_load_i8 v1, v[8:9], off
	s_wait_loadcnt 0x0
	v_mul_lo_u32 v1, v3, v1
	s_wait_xcnt 0x0
	global_atomic_add_u32 v6, v1, s[16:17] scale_offset scope:SCOPE_DEV
	s_branch .LBB142_19
.LBB142_22:
	s_endpgm
	.section	.rodata,"a",@progbits
	.p2align	6, 0x0
	.amdhsa_kernel _ZN9rocsparseL21csrmvt_general_kernelILj256ELj64EiiaaiiEEvbbT2_NS_24const_host_device_scalarIT6_EEPKT1_S7_PKS1_PKT3_PKT4_PT5_21rocsparse_index_base_b
		.amdhsa_group_segment_fixed_size 0
		.amdhsa_private_segment_fixed_size 0
		.amdhsa_kernarg_size 328
		.amdhsa_user_sgpr_count 2
		.amdhsa_user_sgpr_dispatch_ptr 0
		.amdhsa_user_sgpr_queue_ptr 0
		.amdhsa_user_sgpr_kernarg_segment_ptr 1
		.amdhsa_user_sgpr_dispatch_id 0
		.amdhsa_user_sgpr_kernarg_preload_length 0
		.amdhsa_user_sgpr_kernarg_preload_offset 0
		.amdhsa_user_sgpr_private_segment_size 0
		.amdhsa_wavefront_size32 1
		.amdhsa_uses_dynamic_stack 0
		.amdhsa_enable_private_segment 0
		.amdhsa_system_sgpr_workgroup_id_x 1
		.amdhsa_system_sgpr_workgroup_id_y 0
		.amdhsa_system_sgpr_workgroup_id_z 0
		.amdhsa_system_sgpr_workgroup_info 0
		.amdhsa_system_vgpr_workitem_id 0
		.amdhsa_next_free_vgpr 10
		.amdhsa_next_free_sgpr 21
		.amdhsa_named_barrier_count 0
		.amdhsa_reserve_vcc 1
		.amdhsa_float_round_mode_32 0
		.amdhsa_float_round_mode_16_64 0
		.amdhsa_float_denorm_mode_32 3
		.amdhsa_float_denorm_mode_16_64 3
		.amdhsa_fp16_overflow 0
		.amdhsa_memory_ordered 1
		.amdhsa_forward_progress 1
		.amdhsa_inst_pref_size 7
		.amdhsa_round_robin_scheduling 0
		.amdhsa_exception_fp_ieee_invalid_op 0
		.amdhsa_exception_fp_denorm_src 0
		.amdhsa_exception_fp_ieee_div_zero 0
		.amdhsa_exception_fp_ieee_overflow 0
		.amdhsa_exception_fp_ieee_underflow 0
		.amdhsa_exception_fp_ieee_inexact 0
		.amdhsa_exception_int_div_zero 0
	.end_amdhsa_kernel
	.section	.text._ZN9rocsparseL21csrmvt_general_kernelILj256ELj64EiiaaiiEEvbbT2_NS_24const_host_device_scalarIT6_EEPKT1_S7_PKS1_PKT3_PKT4_PT5_21rocsparse_index_base_b,"axG",@progbits,_ZN9rocsparseL21csrmvt_general_kernelILj256ELj64EiiaaiiEEvbbT2_NS_24const_host_device_scalarIT6_EEPKT1_S7_PKS1_PKT3_PKT4_PT5_21rocsparse_index_base_b,comdat
.Lfunc_end142:
	.size	_ZN9rocsparseL21csrmvt_general_kernelILj256ELj64EiiaaiiEEvbbT2_NS_24const_host_device_scalarIT6_EEPKT1_S7_PKS1_PKT3_PKT4_PT5_21rocsparse_index_base_b, .Lfunc_end142-_ZN9rocsparseL21csrmvt_general_kernelILj256ELj64EiiaaiiEEvbbT2_NS_24const_host_device_scalarIT6_EEPKT1_S7_PKS1_PKT3_PKT4_PT5_21rocsparse_index_base_b
                                        ; -- End function
	.set _ZN9rocsparseL21csrmvt_general_kernelILj256ELj64EiiaaiiEEvbbT2_NS_24const_host_device_scalarIT6_EEPKT1_S7_PKS1_PKT3_PKT4_PT5_21rocsparse_index_base_b.num_vgpr, 10
	.set _ZN9rocsparseL21csrmvt_general_kernelILj256ELj64EiiaaiiEEvbbT2_NS_24const_host_device_scalarIT6_EEPKT1_S7_PKS1_PKT3_PKT4_PT5_21rocsparse_index_base_b.num_agpr, 0
	.set _ZN9rocsparseL21csrmvt_general_kernelILj256ELj64EiiaaiiEEvbbT2_NS_24const_host_device_scalarIT6_EEPKT1_S7_PKS1_PKT3_PKT4_PT5_21rocsparse_index_base_b.numbered_sgpr, 21
	.set _ZN9rocsparseL21csrmvt_general_kernelILj256ELj64EiiaaiiEEvbbT2_NS_24const_host_device_scalarIT6_EEPKT1_S7_PKS1_PKT3_PKT4_PT5_21rocsparse_index_base_b.num_named_barrier, 0
	.set _ZN9rocsparseL21csrmvt_general_kernelILj256ELj64EiiaaiiEEvbbT2_NS_24const_host_device_scalarIT6_EEPKT1_S7_PKS1_PKT3_PKT4_PT5_21rocsparse_index_base_b.private_seg_size, 0
	.set _ZN9rocsparseL21csrmvt_general_kernelILj256ELj64EiiaaiiEEvbbT2_NS_24const_host_device_scalarIT6_EEPKT1_S7_PKS1_PKT3_PKT4_PT5_21rocsparse_index_base_b.uses_vcc, 1
	.set _ZN9rocsparseL21csrmvt_general_kernelILj256ELj64EiiaaiiEEvbbT2_NS_24const_host_device_scalarIT6_EEPKT1_S7_PKS1_PKT3_PKT4_PT5_21rocsparse_index_base_b.uses_flat_scratch, 0
	.set _ZN9rocsparseL21csrmvt_general_kernelILj256ELj64EiiaaiiEEvbbT2_NS_24const_host_device_scalarIT6_EEPKT1_S7_PKS1_PKT3_PKT4_PT5_21rocsparse_index_base_b.has_dyn_sized_stack, 0
	.set _ZN9rocsparseL21csrmvt_general_kernelILj256ELj64EiiaaiiEEvbbT2_NS_24const_host_device_scalarIT6_EEPKT1_S7_PKS1_PKT3_PKT4_PT5_21rocsparse_index_base_b.has_recursion, 0
	.set _ZN9rocsparseL21csrmvt_general_kernelILj256ELj64EiiaaiiEEvbbT2_NS_24const_host_device_scalarIT6_EEPKT1_S7_PKS1_PKT3_PKT4_PT5_21rocsparse_index_base_b.has_indirect_call, 0
	.section	.AMDGPU.csdata,"",@progbits
; Kernel info:
; codeLenInByte = 780
; TotalNumSgprs: 23
; NumVgprs: 10
; ScratchSize: 0
; MemoryBound: 0
; FloatMode: 240
; IeeeMode: 1
; LDSByteSize: 0 bytes/workgroup (compile time only)
; SGPRBlocks: 0
; VGPRBlocks: 0
; NumSGPRsForWavesPerEU: 23
; NumVGPRsForWavesPerEU: 10
; NamedBarCnt: 0
; Occupancy: 16
; WaveLimiterHint : 1
; COMPUTE_PGM_RSRC2:SCRATCH_EN: 0
; COMPUTE_PGM_RSRC2:USER_SGPR: 2
; COMPUTE_PGM_RSRC2:TRAP_HANDLER: 0
; COMPUTE_PGM_RSRC2:TGID_X_EN: 1
; COMPUTE_PGM_RSRC2:TGID_Y_EN: 0
; COMPUTE_PGM_RSRC2:TGID_Z_EN: 0
; COMPUTE_PGM_RSRC2:TIDIG_COMP_CNT: 0
	.section	.text._ZN9rocsparseL21csrmvn_general_kernelILj256ELj2EliaaiiEEvbT2_NS_24const_host_device_scalarIT6_EEPKT1_S7_PKS1_PKT3_PKT4_S4_PT5_21rocsparse_index_base_b,"axG",@progbits,_ZN9rocsparseL21csrmvn_general_kernelILj256ELj2EliaaiiEEvbT2_NS_24const_host_device_scalarIT6_EEPKT1_S7_PKS1_PKT3_PKT4_S4_PT5_21rocsparse_index_base_b,comdat
	.globl	_ZN9rocsparseL21csrmvn_general_kernelILj256ELj2EliaaiiEEvbT2_NS_24const_host_device_scalarIT6_EEPKT1_S7_PKS1_PKT3_PKT4_S4_PT5_21rocsparse_index_base_b ; -- Begin function _ZN9rocsparseL21csrmvn_general_kernelILj256ELj2EliaaiiEEvbT2_NS_24const_host_device_scalarIT6_EEPKT1_S7_PKS1_PKT3_PKT4_S4_PT5_21rocsparse_index_base_b
	.p2align	8
	.type	_ZN9rocsparseL21csrmvn_general_kernelILj256ELj2EliaaiiEEvbT2_NS_24const_host_device_scalarIT6_EEPKT1_S7_PKS1_PKT3_PKT4_S4_PT5_21rocsparse_index_base_b,@function
_ZN9rocsparseL21csrmvn_general_kernelILj256ELj2EliaaiiEEvbT2_NS_24const_host_device_scalarIT6_EEPKT1_S7_PKS1_PKT3_PKT4_S4_PT5_21rocsparse_index_base_b: ; @_ZN9rocsparseL21csrmvn_general_kernelILj256ELj2EliaaiiEEvbT2_NS_24const_host_device_scalarIT6_EEPKT1_S7_PKS1_PKT3_PKT4_S4_PT5_21rocsparse_index_base_b
; %bb.0:
	s_clause 0x1
	s_load_b64 s[2:3], s[0:1], 0x48
	s_load_b128 s[12:15], s[0:1], 0x8
	s_mov_b32 s6, -1
                                        ; implicit-def: $sgpr18
	s_wait_kmcnt 0x0
	s_bitcmp1_b32 s3, 0
	s_cselect_b32 s3, -1, 0
	s_delay_alu instid0(SALU_CYCLE_1) | instskip(NEXT) | instid1(SALU_CYCLE_1)
	s_xor_b32 s3, s3, -1
	s_and_b32 vcc_lo, exec_lo, s3
	s_cbranch_vccnz .LBB143_4
; %bb.1:
	s_load_b64 s[4:5], s[0:1], 0x38
	s_and_not1_b32 vcc_lo, exec_lo, s6
	s_cbranch_vccz .LBB143_5
.LBB143_2:
	s_and_b32 vcc_lo, exec_lo, s3
	s_cbranch_vccz .LBB143_6
.LBB143_3:
	s_wait_kmcnt 0x0
	s_load_b32 s19, s[4:5], 0x0
	s_cbranch_execz .LBB143_7
	s_branch .LBB143_8
.LBB143_4:
	s_load_b32 s18, s[12:13], 0x0
	s_load_b64 s[4:5], s[0:1], 0x38
	s_cbranch_execnz .LBB143_2
.LBB143_5:
	s_wait_kmcnt 0x0
	s_mov_b32 s18, s12
	s_and_b32 vcc_lo, exec_lo, s3
	s_cbranch_vccnz .LBB143_3
.LBB143_6:
                                        ; implicit-def: $sgpr19
.LBB143_7:
	s_wait_kmcnt 0x0
	s_mov_b32 s19, s4
.LBB143_8:
	s_wait_kmcnt 0x0
	s_cmp_lg_u32 s18, 0
	s_cselect_b32 s3, -1, 0
	s_cmp_lg_u32 s19, 1
	s_cselect_b32 s4, -1, 0
	s_delay_alu instid0(SALU_CYCLE_1) | instskip(NEXT) | instid1(SALU_CYCLE_1)
	s_or_b32 s3, s3, s4
	s_and_not1_b32 vcc_lo, exec_lo, s3
	s_cbranch_vccnz .LBB143_26
; %bb.9:
	s_bfe_u32 s3, ttmp6, 0x4000c
	s_load_b32 s20, s[0:1], 0x4
	s_add_co_i32 s3, s3, 1
	s_and_b32 s4, ttmp6, 15
	s_mul_i32 s3, ttmp9, s3
	s_getreg_b32 s5, hwreg(HW_REG_IB_STS2, 6, 4)
	s_add_co_i32 s4, s4, s3
	s_cmp_eq_u32 s5, 0
	s_cselect_b32 s3, ttmp9, s4
	s_delay_alu instid0(SALU_CYCLE_1) | instskip(SKIP_1) | instid1(VALU_DEP_1)
	v_lshl_or_b32 v1, s3, 8, v0
	s_mov_b32 s3, exec_lo
	v_lshrrev_b32_e32 v2, 1, v1
	s_wait_kmcnt 0x0
	s_delay_alu instid0(VALU_DEP_1)
	v_cmpx_gt_i32_e64 s20, v2
	s_cbranch_execz .LBB143_26
; %bb.10:
	s_clause 0x2
	s_load_b32 s21, s[0:1], 0x50
	s_load_b256 s[4:11], s[0:1], 0x18
	s_load_b64 s[12:13], s[0:1], 0x40
	v_mbcnt_lo_u32_b32 v3, -1, 0
	v_dual_mov_b32 v7, 0 :: v_dual_bitop2_b32 v6, 1, v0 bitop3:0x40
	s_mov_b32 s3, 0
	s_delay_alu instid0(VALU_DEP_2)
	v_dual_mov_b32 v5, -1 :: v_dual_bitop2_b32 v10, 1, v3 bitop3:0x14
	s_wait_xcnt 0x0
	s_ashr_i32 s1, s2, 31
	v_sub_nc_u64_e64 v[0:1], v[6:7], s[2:3]
	s_mov_b32 s0, s2
	v_not_b32_e32 v4, v6
	v_cmp_gt_i32_e32 vcc_lo, 32, v10
	s_sub_nc_u64 s[16:17], 0, s[0:1]
	v_cmp_eq_u32_e64 s0, 1, v6
	s_mov_b32 s22, s18
	v_add_nc_u64_e32 v[4:5], s[2:3], v[4:5]
	v_cndmask_b32_e32 v3, v3, v10, vcc_lo
	v_or_b32_e32 v6, 2, v6
	s_wait_kmcnt 0x0
	s_lshl_b32 s1, s21, 7
	v_add_nc_u64_e32 v[8:9], s[8:9], v[0:1]
	s_cmp_lg_u32 s19, 0
	v_lshlrev_b32_e32 v24, 2, v3
	v_sub_nc_u64_e64 v[6:7], v[6:7], s[2:3]
	s_add_nc_u64 s[10:11], s[10:11], s[16:17]
	s_cselect_b32 s21, -1, 0
	s_add_nc_u64 s[16:17], s[6:7], 8
	v_add_nc_u64_e32 v[8:9], 2, v[8:9]
	s_mov_b32 s23, s3
	s_branch .LBB143_13
.LBB143_11:                             ;   in Loop: Header=BB143_13 Depth=1
	global_store_b32 v[10:11], v12, off
.LBB143_12:                             ;   in Loop: Header=BB143_13 Depth=1
	s_wait_xcnt 0x0
	s_or_b32 exec_lo, exec_lo, s24
	v_add_nc_u32_e32 v2, s1, v2
	s_delay_alu instid0(VALU_DEP_1) | instskip(SKIP_1) | instid1(SALU_CYCLE_1)
	v_cmp_le_i32_e32 vcc_lo, s20, v2
	s_or_b32 s23, vcc_lo, s23
	s_and_not1_b32 exec_lo, exec_lo, s23
	s_cbranch_execz .LBB143_26
.LBB143_13:                             ; =>This Loop Header: Depth=1
                                        ;     Child Loop BB143_16 Depth 2
                                        ;     Child Loop BB143_20 Depth 2
	s_wait_dscnt 0x0
	s_clause 0x1
	global_load_b64 v[10:11], v2, s[4:5] scale_offset
	global_load_b64 v[18:19], v2, s[14:15] scale_offset
	v_mov_b32_e32 v16, 0
	s_mov_b32 s24, exec_lo
	s_wait_loadcnt 0x1
	v_sub_nc_u64_e64 v[10:11], v[10:11], s[2:3]
	s_wait_loadcnt 0x0
	v_add_nc_u64_e32 v[12:13], v[18:19], v[0:1]
	s_wait_xcnt 0x0
	s_delay_alu instid0(VALU_DEP_1)
	v_cmpx_lt_i64_e64 v[12:13], v[10:11]
	s_cbranch_execz .LBB143_23
; %bb.14:                               ;   in Loop: Header=BB143_13 Depth=1
	v_add_nc_u64_e32 v[14:15], v[6:7], v[18:19]
	v_mov_b32_e32 v16, 0
	s_mov_b32 s26, -1
	s_mov_b32 s25, exec_lo
	s_delay_alu instid0(VALU_DEP_2) | instskip(NEXT) | instid1(VALU_DEP_1)
	v_max_i64 v[14:15], v[14:15], v[10:11]
	v_add_nc_u64_e32 v[14:15], v[4:5], v[14:15]
	s_delay_alu instid0(VALU_DEP_1) | instskip(NEXT) | instid1(VALU_DEP_1)
	v_sub_nc_u64_e32 v[14:15], v[14:15], v[18:19]
	v_cmpx_lt_u64_e32 1, v[14:15]
	s_cbranch_execz .LBB143_18
; %bb.15:                               ;   in Loop: Header=BB143_13 Depth=1
	v_lshrrev_b64 v[14:15], 1, v[14:15]
	v_add_nc_u64_e32 v[18:19], v[8:9], v[18:19]
	v_lshl_add_u64 v[20:21], v[12:13], 2, s[16:17]
	v_dual_mov_b32 v3, 0 :: v_dual_mov_b32 v25, 0
	s_mov_b32 s26, 0
	s_delay_alu instid0(VALU_DEP_4) | instskip(NEXT) | instid1(VALU_DEP_1)
	v_add_nc_u64_e32 v[14:15], 1, v[14:15]
	v_dual_mov_b32 v17, v15 :: v_dual_bitop2_b32 v16, -2, v14 bitop3:0x40
	s_delay_alu instid0(VALU_DEP_1)
	v_mov_b64_e32 v[22:23], v[16:17]
.LBB143_16:                             ;   Parent Loop BB143_13 Depth=1
                                        ; =>  This Inner Loop Header: Depth=2
	s_clause 0x1
	global_load_b32 v26, v[20:21], off
	global_load_b32 v27, v[20:21], off offset:-8
	s_clause 0x1
	global_load_i8 v28, v[18:19], off
	global_load_i8 v29, v[18:19], off offset:-2
	v_add_nc_u64_e32 v[22:23], -2, v[22:23]
	s_wait_xcnt 0x0
	v_add_nc_u64_e32 v[18:19], 4, v[18:19]
	v_add_nc_u64_e32 v[20:21], 16, v[20:21]
	s_wait_loadcnt 0x3
	global_load_i8 v30, v26, s[10:11]
	s_wait_loadcnt 0x3
	global_load_i8 v31, v27, s[10:11]
	s_wait_loadcnt 0x3
	s_wait_xcnt 0x1
	v_mul_lo_u32 v26, s22, v28
	s_wait_loadcnt 0x2
	s_wait_xcnt 0x0
	v_mul_lo_u32 v27, s18, v29
	v_cmp_eq_u64_e32 vcc_lo, 0, v[22:23]
	s_or_b32 s26, vcc_lo, s26
	s_wait_loadcnt 0x1
	s_delay_alu instid0(VALU_DEP_3) | instskip(SKIP_1) | instid1(VALU_DEP_3)
	v_mad_u32 v25, v26, v30, v25
	s_wait_loadcnt 0x0
	v_mad_u32 v3, v27, v31, v3
	s_and_not1_b32 exec_lo, exec_lo, s26
	s_cbranch_execnz .LBB143_16
; %bb.17:                               ;   in Loop: Header=BB143_13 Depth=1
	s_or_b32 exec_lo, exec_lo, s26
	v_cmp_ne_u64_e32 vcc_lo, v[14:15], v[16:17]
	v_lshl_add_u64 v[12:13], v[16:17], 1, v[12:13]
	s_delay_alu instid0(VALU_DEP_3)
	v_add_nc_u32_e32 v16, v3, v25
	s_or_not1_b32 s26, vcc_lo, exec_lo
.LBB143_18:                             ;   in Loop: Header=BB143_13 Depth=1
	s_or_b32 exec_lo, exec_lo, s25
	s_and_saveexec_b32 s25, s26
	s_cbranch_execz .LBB143_22
; %bb.19:                               ;   in Loop: Header=BB143_13 Depth=1
	v_lshl_add_u64 v[14:15], v[12:13], 2, s[6:7]
	s_mov_b32 s26, 0
.LBB143_20:                             ;   Parent Loop BB143_13 Depth=1
                                        ; =>  This Inner Loop Header: Depth=2
	global_load_b32 v3, v[14:15], off
	v_add_nc_u64_e32 v[18:19], s[8:9], v[12:13]
	v_add_nc_u64_e32 v[12:13], 2, v[12:13]
	s_wait_xcnt 0x0
	v_add_nc_u64_e32 v[14:15], 8, v[14:15]
	global_load_i8 v17, v[18:19], off
	s_wait_loadcnt 0x1
	global_load_i8 v20, v3, s[10:11]
	v_cmp_ge_i64_e32 vcc_lo, v[12:13], v[10:11]
	s_or_b32 s26, vcc_lo, s26
	s_wait_loadcnt 0x1
	s_wait_xcnt 0x0
	v_mul_lo_u32 v3, s18, v17
	s_wait_loadcnt 0x0
	s_delay_alu instid0(VALU_DEP_1)
	v_mad_u32 v16, v3, v20, v16
	s_and_not1_b32 exec_lo, exec_lo, s26
	s_cbranch_execnz .LBB143_20
; %bb.21:                               ;   in Loop: Header=BB143_13 Depth=1
	s_or_b32 exec_lo, exec_lo, s26
.LBB143_22:                             ;   in Loop: Header=BB143_13 Depth=1
	s_delay_alu instid0(SALU_CYCLE_1)
	s_or_b32 exec_lo, exec_lo, s25
.LBB143_23:                             ;   in Loop: Header=BB143_13 Depth=1
	s_delay_alu instid0(SALU_CYCLE_1)
	s_or_b32 exec_lo, exec_lo, s24
	ds_bpermute_b32 v10, v24, v16
	v_ashrrev_i32_e32 v3, 31, v2
	s_and_saveexec_b32 s24, s0
	s_cbranch_execz .LBB143_12
; %bb.24:                               ;   in Loop: Header=BB143_13 Depth=1
	s_wait_dscnt 0x0
	v_add_nc_u32_e32 v12, v10, v16
	v_lshl_add_u64 v[10:11], v[2:3], 2, s[12:13]
	s_and_not1_b32 vcc_lo, exec_lo, s21
	s_cbranch_vccnz .LBB143_11
; %bb.25:                               ;   in Loop: Header=BB143_13 Depth=1
	global_load_b32 v3, v[10:11], off
	s_wait_loadcnt 0x0
	v_mad_u32 v12, v3, s19, v12
	s_branch .LBB143_11
.LBB143_26:
	s_endpgm
	.section	.rodata,"a",@progbits
	.p2align	6, 0x0
	.amdhsa_kernel _ZN9rocsparseL21csrmvn_general_kernelILj256ELj2EliaaiiEEvbT2_NS_24const_host_device_scalarIT6_EEPKT1_S7_PKS1_PKT3_PKT4_S4_PT5_21rocsparse_index_base_b
		.amdhsa_group_segment_fixed_size 0
		.amdhsa_private_segment_fixed_size 0
		.amdhsa_kernarg_size 336
		.amdhsa_user_sgpr_count 2
		.amdhsa_user_sgpr_dispatch_ptr 0
		.amdhsa_user_sgpr_queue_ptr 0
		.amdhsa_user_sgpr_kernarg_segment_ptr 1
		.amdhsa_user_sgpr_dispatch_id 0
		.amdhsa_user_sgpr_kernarg_preload_length 0
		.amdhsa_user_sgpr_kernarg_preload_offset 0
		.amdhsa_user_sgpr_private_segment_size 0
		.amdhsa_wavefront_size32 1
		.amdhsa_uses_dynamic_stack 0
		.amdhsa_enable_private_segment 0
		.amdhsa_system_sgpr_workgroup_id_x 1
		.amdhsa_system_sgpr_workgroup_id_y 0
		.amdhsa_system_sgpr_workgroup_id_z 0
		.amdhsa_system_sgpr_workgroup_info 0
		.amdhsa_system_vgpr_workitem_id 0
		.amdhsa_next_free_vgpr 32
		.amdhsa_next_free_sgpr 27
		.amdhsa_named_barrier_count 0
		.amdhsa_reserve_vcc 1
		.amdhsa_float_round_mode_32 0
		.amdhsa_float_round_mode_16_64 0
		.amdhsa_float_denorm_mode_32 3
		.amdhsa_float_denorm_mode_16_64 3
		.amdhsa_fp16_overflow 0
		.amdhsa_memory_ordered 1
		.amdhsa_forward_progress 1
		.amdhsa_inst_pref_size 9
		.amdhsa_round_robin_scheduling 0
		.amdhsa_exception_fp_ieee_invalid_op 0
		.amdhsa_exception_fp_denorm_src 0
		.amdhsa_exception_fp_ieee_div_zero 0
		.amdhsa_exception_fp_ieee_overflow 0
		.amdhsa_exception_fp_ieee_underflow 0
		.amdhsa_exception_fp_ieee_inexact 0
		.amdhsa_exception_int_div_zero 0
	.end_amdhsa_kernel
	.section	.text._ZN9rocsparseL21csrmvn_general_kernelILj256ELj2EliaaiiEEvbT2_NS_24const_host_device_scalarIT6_EEPKT1_S7_PKS1_PKT3_PKT4_S4_PT5_21rocsparse_index_base_b,"axG",@progbits,_ZN9rocsparseL21csrmvn_general_kernelILj256ELj2EliaaiiEEvbT2_NS_24const_host_device_scalarIT6_EEPKT1_S7_PKS1_PKT3_PKT4_S4_PT5_21rocsparse_index_base_b,comdat
.Lfunc_end143:
	.size	_ZN9rocsparseL21csrmvn_general_kernelILj256ELj2EliaaiiEEvbT2_NS_24const_host_device_scalarIT6_EEPKT1_S7_PKS1_PKT3_PKT4_S4_PT5_21rocsparse_index_base_b, .Lfunc_end143-_ZN9rocsparseL21csrmvn_general_kernelILj256ELj2EliaaiiEEvbT2_NS_24const_host_device_scalarIT6_EEPKT1_S7_PKS1_PKT3_PKT4_S4_PT5_21rocsparse_index_base_b
                                        ; -- End function
	.set _ZN9rocsparseL21csrmvn_general_kernelILj256ELj2EliaaiiEEvbT2_NS_24const_host_device_scalarIT6_EEPKT1_S7_PKS1_PKT3_PKT4_S4_PT5_21rocsparse_index_base_b.num_vgpr, 32
	.set _ZN9rocsparseL21csrmvn_general_kernelILj256ELj2EliaaiiEEvbT2_NS_24const_host_device_scalarIT6_EEPKT1_S7_PKS1_PKT3_PKT4_S4_PT5_21rocsparse_index_base_b.num_agpr, 0
	.set _ZN9rocsparseL21csrmvn_general_kernelILj256ELj2EliaaiiEEvbT2_NS_24const_host_device_scalarIT6_EEPKT1_S7_PKS1_PKT3_PKT4_S4_PT5_21rocsparse_index_base_b.numbered_sgpr, 27
	.set _ZN9rocsparseL21csrmvn_general_kernelILj256ELj2EliaaiiEEvbT2_NS_24const_host_device_scalarIT6_EEPKT1_S7_PKS1_PKT3_PKT4_S4_PT5_21rocsparse_index_base_b.num_named_barrier, 0
	.set _ZN9rocsparseL21csrmvn_general_kernelILj256ELj2EliaaiiEEvbT2_NS_24const_host_device_scalarIT6_EEPKT1_S7_PKS1_PKT3_PKT4_S4_PT5_21rocsparse_index_base_b.private_seg_size, 0
	.set _ZN9rocsparseL21csrmvn_general_kernelILj256ELj2EliaaiiEEvbT2_NS_24const_host_device_scalarIT6_EEPKT1_S7_PKS1_PKT3_PKT4_S4_PT5_21rocsparse_index_base_b.uses_vcc, 1
	.set _ZN9rocsparseL21csrmvn_general_kernelILj256ELj2EliaaiiEEvbT2_NS_24const_host_device_scalarIT6_EEPKT1_S7_PKS1_PKT3_PKT4_S4_PT5_21rocsparse_index_base_b.uses_flat_scratch, 0
	.set _ZN9rocsparseL21csrmvn_general_kernelILj256ELj2EliaaiiEEvbT2_NS_24const_host_device_scalarIT6_EEPKT1_S7_PKS1_PKT3_PKT4_S4_PT5_21rocsparse_index_base_b.has_dyn_sized_stack, 0
	.set _ZN9rocsparseL21csrmvn_general_kernelILj256ELj2EliaaiiEEvbT2_NS_24const_host_device_scalarIT6_EEPKT1_S7_PKS1_PKT3_PKT4_S4_PT5_21rocsparse_index_base_b.has_recursion, 0
	.set _ZN9rocsparseL21csrmvn_general_kernelILj256ELj2EliaaiiEEvbT2_NS_24const_host_device_scalarIT6_EEPKT1_S7_PKS1_PKT3_PKT4_S4_PT5_21rocsparse_index_base_b.has_indirect_call, 0
	.section	.AMDGPU.csdata,"",@progbits
; Kernel info:
; codeLenInByte = 1104
; TotalNumSgprs: 29
; NumVgprs: 32
; ScratchSize: 0
; MemoryBound: 0
; FloatMode: 240
; IeeeMode: 1
; LDSByteSize: 0 bytes/workgroup (compile time only)
; SGPRBlocks: 0
; VGPRBlocks: 1
; NumSGPRsForWavesPerEU: 29
; NumVGPRsForWavesPerEU: 32
; NamedBarCnt: 0
; Occupancy: 16
; WaveLimiterHint : 1
; COMPUTE_PGM_RSRC2:SCRATCH_EN: 0
; COMPUTE_PGM_RSRC2:USER_SGPR: 2
; COMPUTE_PGM_RSRC2:TRAP_HANDLER: 0
; COMPUTE_PGM_RSRC2:TGID_X_EN: 1
; COMPUTE_PGM_RSRC2:TGID_Y_EN: 0
; COMPUTE_PGM_RSRC2:TGID_Z_EN: 0
; COMPUTE_PGM_RSRC2:TIDIG_COMP_CNT: 0
	.section	.text._ZN9rocsparseL21csrmvn_general_kernelILj256ELj4EliaaiiEEvbT2_NS_24const_host_device_scalarIT6_EEPKT1_S7_PKS1_PKT3_PKT4_S4_PT5_21rocsparse_index_base_b,"axG",@progbits,_ZN9rocsparseL21csrmvn_general_kernelILj256ELj4EliaaiiEEvbT2_NS_24const_host_device_scalarIT6_EEPKT1_S7_PKS1_PKT3_PKT4_S4_PT5_21rocsparse_index_base_b,comdat
	.globl	_ZN9rocsparseL21csrmvn_general_kernelILj256ELj4EliaaiiEEvbT2_NS_24const_host_device_scalarIT6_EEPKT1_S7_PKS1_PKT3_PKT4_S4_PT5_21rocsparse_index_base_b ; -- Begin function _ZN9rocsparseL21csrmvn_general_kernelILj256ELj4EliaaiiEEvbT2_NS_24const_host_device_scalarIT6_EEPKT1_S7_PKS1_PKT3_PKT4_S4_PT5_21rocsparse_index_base_b
	.p2align	8
	.type	_ZN9rocsparseL21csrmvn_general_kernelILj256ELj4EliaaiiEEvbT2_NS_24const_host_device_scalarIT6_EEPKT1_S7_PKS1_PKT3_PKT4_S4_PT5_21rocsparse_index_base_b,@function
_ZN9rocsparseL21csrmvn_general_kernelILj256ELj4EliaaiiEEvbT2_NS_24const_host_device_scalarIT6_EEPKT1_S7_PKS1_PKT3_PKT4_S4_PT5_21rocsparse_index_base_b: ; @_ZN9rocsparseL21csrmvn_general_kernelILj256ELj4EliaaiiEEvbT2_NS_24const_host_device_scalarIT6_EEPKT1_S7_PKS1_PKT3_PKT4_S4_PT5_21rocsparse_index_base_b
; %bb.0:
	s_clause 0x1
	s_load_b64 s[2:3], s[0:1], 0x48
	s_load_b128 s[12:15], s[0:1], 0x8
	s_mov_b32 s6, -1
                                        ; implicit-def: $sgpr18
	s_wait_kmcnt 0x0
	s_bitcmp1_b32 s3, 0
	s_cselect_b32 s3, -1, 0
	s_delay_alu instid0(SALU_CYCLE_1) | instskip(NEXT) | instid1(SALU_CYCLE_1)
	s_xor_b32 s3, s3, -1
	s_and_b32 vcc_lo, exec_lo, s3
	s_cbranch_vccnz .LBB144_4
; %bb.1:
	s_load_b64 s[4:5], s[0:1], 0x38
	s_and_not1_b32 vcc_lo, exec_lo, s6
	s_cbranch_vccz .LBB144_5
.LBB144_2:
	s_and_b32 vcc_lo, exec_lo, s3
	s_cbranch_vccz .LBB144_6
.LBB144_3:
	s_wait_kmcnt 0x0
	s_load_b32 s19, s[4:5], 0x0
	s_cbranch_execz .LBB144_7
	s_branch .LBB144_8
.LBB144_4:
	s_load_b32 s18, s[12:13], 0x0
	s_load_b64 s[4:5], s[0:1], 0x38
	s_cbranch_execnz .LBB144_2
.LBB144_5:
	s_wait_kmcnt 0x0
	s_mov_b32 s18, s12
	s_and_b32 vcc_lo, exec_lo, s3
	s_cbranch_vccnz .LBB144_3
.LBB144_6:
                                        ; implicit-def: $sgpr19
.LBB144_7:
	s_wait_kmcnt 0x0
	s_mov_b32 s19, s4
.LBB144_8:
	s_wait_kmcnt 0x0
	s_cmp_lg_u32 s18, 0
	s_cselect_b32 s3, -1, 0
	s_cmp_lg_u32 s19, 1
	s_cselect_b32 s4, -1, 0
	s_delay_alu instid0(SALU_CYCLE_1) | instskip(NEXT) | instid1(SALU_CYCLE_1)
	s_or_b32 s3, s3, s4
	s_and_not1_b32 vcc_lo, exec_lo, s3
	s_cbranch_vccnz .LBB144_26
; %bb.9:
	s_bfe_u32 s3, ttmp6, 0x4000c
	s_load_b32 s20, s[0:1], 0x4
	s_add_co_i32 s3, s3, 1
	s_and_b32 s4, ttmp6, 15
	s_mul_i32 s3, ttmp9, s3
	s_getreg_b32 s5, hwreg(HW_REG_IB_STS2, 6, 4)
	s_add_co_i32 s4, s4, s3
	s_cmp_eq_u32 s5, 0
	s_cselect_b32 s3, ttmp9, s4
	s_delay_alu instid0(SALU_CYCLE_1) | instskip(SKIP_1) | instid1(VALU_DEP_1)
	v_lshl_or_b32 v1, s3, 8, v0
	s_mov_b32 s3, exec_lo
	v_lshrrev_b32_e32 v2, 2, v1
	s_wait_kmcnt 0x0
	s_delay_alu instid0(VALU_DEP_1)
	v_cmpx_gt_i32_e64 s20, v2
	s_cbranch_execz .LBB144_26
; %bb.10:
	v_mbcnt_lo_u32_b32 v3, -1, 0
	s_clause 0x1
	s_load_b32 s21, s[0:1], 0x50
	s_load_b256 s[4:11], s[0:1], 0x18
	v_dual_mov_b32 v7, 0 :: v_dual_bitop2_b32 v6, 3, v0 bitop3:0x40
	s_mov_b32 s3, 0
	v_dual_mov_b32 v5, -1 :: v_dual_bitop2_b32 v0, 2, v3 bitop3:0x14
	s_load_b64 s[12:13], s[0:1], 0x40
	s_wait_xcnt 0x0
	s_ashr_i32 s1, s2, 31
	s_mov_b32 s0, s2
	v_cmp_gt_i32_e32 vcc_lo, 32, v0
	s_sub_nc_u64 s[16:17], 0, s[0:1]
	v_cmp_eq_u32_e64 s0, 3, v6
	v_not_b32_e32 v4, v6
	s_mov_b32 s22, s18
	v_dual_cndmask_b32 v8, v3, v0, vcc_lo :: v_dual_bitop2_b32 v10, 1, v3 bitop3:0x14
	v_sub_nc_u64_e64 v[0:1], v[6:7], s[2:3]
	s_delay_alu instid0(VALU_DEP_3) | instskip(SKIP_1) | instid1(VALU_DEP_3)
	v_add_nc_u64_e32 v[4:5], s[2:3], v[4:5]
	s_mov_b32 s23, s3
	v_dual_lshlrev_b32 v24, 2, v8 :: v_dual_bitop2_b32 v6, 4, v6 bitop3:0x54
	v_cmp_gt_i32_e32 vcc_lo, 32, v10
	s_wait_kmcnt 0x0
	s_lshl_b32 s1, s21, 6
	v_add_nc_u64_e32 v[8:9], s[8:9], v[0:1]
	s_cmp_lg_u32 s19, 0
	v_sub_nc_u64_e64 v[6:7], v[6:7], s[2:3]
	v_cndmask_b32_e32 v3, v3, v10, vcc_lo
	s_add_nc_u64 s[10:11], s[10:11], s[16:17]
	s_cselect_b32 s21, -1, 0
	s_add_nc_u64 s[16:17], s[6:7], 16
	v_add_nc_u64_e32 v[8:9], 4, v[8:9]
	v_lshlrev_b32_e32 v25, 2, v3
	s_branch .LBB144_13
.LBB144_11:                             ;   in Loop: Header=BB144_13 Depth=1
	global_store_b32 v[10:11], v12, off
.LBB144_12:                             ;   in Loop: Header=BB144_13 Depth=1
	s_wait_xcnt 0x0
	s_or_b32 exec_lo, exec_lo, s24
	v_add_nc_u32_e32 v2, s1, v2
	s_delay_alu instid0(VALU_DEP_1) | instskip(SKIP_1) | instid1(SALU_CYCLE_1)
	v_cmp_le_i32_e32 vcc_lo, s20, v2
	s_or_b32 s23, vcc_lo, s23
	s_and_not1_b32 exec_lo, exec_lo, s23
	s_cbranch_execz .LBB144_26
.LBB144_13:                             ; =>This Loop Header: Depth=1
                                        ;     Child Loop BB144_16 Depth 2
                                        ;     Child Loop BB144_20 Depth 2
	s_wait_dscnt 0x0
	s_clause 0x1
	global_load_b64 v[10:11], v2, s[4:5] scale_offset
	global_load_b64 v[18:19], v2, s[14:15] scale_offset
	v_mov_b32_e32 v3, 0
	s_mov_b32 s24, exec_lo
	s_wait_loadcnt 0x1
	v_sub_nc_u64_e64 v[10:11], v[10:11], s[2:3]
	s_wait_loadcnt 0x0
	v_add_nc_u64_e32 v[12:13], v[18:19], v[0:1]
	s_wait_xcnt 0x0
	s_delay_alu instid0(VALU_DEP_1)
	v_cmpx_lt_i64_e64 v[12:13], v[10:11]
	s_cbranch_execz .LBB144_23
; %bb.14:                               ;   in Loop: Header=BB144_13 Depth=1
	v_add_nc_u64_e32 v[14:15], v[6:7], v[18:19]
	v_mov_b32_e32 v3, 0
	s_mov_b32 s26, -1
	s_mov_b32 s25, exec_lo
	s_delay_alu instid0(VALU_DEP_2) | instskip(NEXT) | instid1(VALU_DEP_1)
	v_max_i64 v[14:15], v[14:15], v[10:11]
	v_add_nc_u64_e32 v[14:15], v[4:5], v[14:15]
	s_delay_alu instid0(VALU_DEP_1) | instskip(NEXT) | instid1(VALU_DEP_1)
	v_sub_nc_u64_e32 v[14:15], v[14:15], v[18:19]
	v_cmpx_lt_u64_e32 3, v[14:15]
	s_cbranch_execz .LBB144_18
; %bb.15:                               ;   in Loop: Header=BB144_13 Depth=1
	v_lshrrev_b64 v[14:15], 2, v[14:15]
	v_add_nc_u64_e32 v[18:19], v[8:9], v[18:19]
	v_lshl_add_u64 v[20:21], v[12:13], 2, s[16:17]
	v_dual_mov_b32 v3, 0 :: v_dual_mov_b32 v26, 0
	s_mov_b32 s26, 0
	s_delay_alu instid0(VALU_DEP_4) | instskip(NEXT) | instid1(VALU_DEP_1)
	v_add_nc_u64_e32 v[14:15], 1, v[14:15]
	v_dual_mov_b32 v17, v15 :: v_dual_bitop2_b32 v16, -2, v14 bitop3:0x40
	s_delay_alu instid0(VALU_DEP_1)
	v_mov_b64_e32 v[22:23], v[16:17]
.LBB144_16:                             ;   Parent Loop BB144_13 Depth=1
                                        ; =>  This Inner Loop Header: Depth=2
	s_clause 0x1
	global_load_b32 v27, v[20:21], off
	global_load_b32 v28, v[20:21], off offset:-16
	s_clause 0x1
	global_load_i8 v29, v[18:19], off
	global_load_i8 v30, v[18:19], off offset:-4
	v_add_nc_u64_e32 v[22:23], -2, v[22:23]
	s_wait_xcnt 0x0
	v_add_nc_u64_e32 v[18:19], 8, v[18:19]
	v_add_nc_u64_e32 v[20:21], 32, v[20:21]
	s_wait_loadcnt 0x3
	global_load_i8 v31, v27, s[10:11]
	s_wait_loadcnt 0x3
	global_load_i8 v32, v28, s[10:11]
	s_wait_loadcnt 0x3
	s_wait_xcnt 0x1
	v_mul_lo_u32 v27, s22, v29
	s_wait_loadcnt 0x2
	s_wait_xcnt 0x0
	v_mul_lo_u32 v28, s18, v30
	v_cmp_eq_u64_e32 vcc_lo, 0, v[22:23]
	s_or_b32 s26, vcc_lo, s26
	s_wait_loadcnt 0x1
	s_delay_alu instid0(VALU_DEP_3) | instskip(SKIP_1) | instid1(VALU_DEP_3)
	v_mad_u32 v26, v27, v31, v26
	s_wait_loadcnt 0x0
	v_mad_u32 v3, v28, v32, v3
	s_and_not1_b32 exec_lo, exec_lo, s26
	s_cbranch_execnz .LBB144_16
; %bb.17:                               ;   in Loop: Header=BB144_13 Depth=1
	s_or_b32 exec_lo, exec_lo, s26
	v_cmp_ne_u64_e32 vcc_lo, v[14:15], v[16:17]
	v_lshl_add_u64 v[12:13], v[16:17], 2, v[12:13]
	s_delay_alu instid0(VALU_DEP_3)
	v_add_nc_u32_e32 v3, v3, v26
	s_or_not1_b32 s26, vcc_lo, exec_lo
.LBB144_18:                             ;   in Loop: Header=BB144_13 Depth=1
	s_or_b32 exec_lo, exec_lo, s25
	s_and_saveexec_b32 s25, s26
	s_cbranch_execz .LBB144_22
; %bb.19:                               ;   in Loop: Header=BB144_13 Depth=1
	v_lshl_add_u64 v[14:15], v[12:13], 2, s[6:7]
	s_mov_b32 s26, 0
.LBB144_20:                             ;   Parent Loop BB144_13 Depth=1
                                        ; =>  This Inner Loop Header: Depth=2
	global_load_b32 v18, v[14:15], off
	v_add_nc_u64_e32 v[16:17], s[8:9], v[12:13]
	v_add_nc_u64_e32 v[12:13], 4, v[12:13]
	s_wait_xcnt 0x0
	v_add_nc_u64_e32 v[14:15], 16, v[14:15]
	global_load_i8 v19, v[16:17], off
	s_wait_loadcnt 0x1
	global_load_i8 v20, v18, s[10:11]
	v_cmp_ge_i64_e32 vcc_lo, v[12:13], v[10:11]
	s_or_b32 s26, vcc_lo, s26
	s_wait_loadcnt 0x1
	s_wait_xcnt 0x1
	v_mul_lo_u32 v16, s18, v19
	s_wait_loadcnt 0x0
	s_delay_alu instid0(VALU_DEP_1)
	v_mad_u32 v3, v16, v20, v3
	s_wait_xcnt 0x0
	s_and_not1_b32 exec_lo, exec_lo, s26
	s_cbranch_execnz .LBB144_20
; %bb.21:                               ;   in Loop: Header=BB144_13 Depth=1
	s_or_b32 exec_lo, exec_lo, s26
.LBB144_22:                             ;   in Loop: Header=BB144_13 Depth=1
	s_delay_alu instid0(SALU_CYCLE_1)
	s_or_b32 exec_lo, exec_lo, s25
.LBB144_23:                             ;   in Loop: Header=BB144_13 Depth=1
	s_delay_alu instid0(SALU_CYCLE_1)
	s_or_b32 exec_lo, exec_lo, s24
	ds_bpermute_b32 v10, v24, v3
	s_wait_dscnt 0x0
	v_dual_add_nc_u32 v10, v10, v3 :: v_dual_ashrrev_i32 v3, 31, v2
	ds_bpermute_b32 v11, v25, v10
	s_and_saveexec_b32 s24, s0
	s_cbranch_execz .LBB144_12
; %bb.24:                               ;   in Loop: Header=BB144_13 Depth=1
	s_wait_dscnt 0x0
	v_add_nc_u32_e32 v12, v11, v10
	v_lshl_add_u64 v[10:11], v[2:3], 2, s[12:13]
	s_and_not1_b32 vcc_lo, exec_lo, s21
	s_cbranch_vccnz .LBB144_11
; %bb.25:                               ;   in Loop: Header=BB144_13 Depth=1
	global_load_b32 v3, v[10:11], off
	s_wait_loadcnt 0x0
	v_mad_u32 v12, v3, s19, v12
	s_branch .LBB144_11
.LBB144_26:
	s_endpgm
	.section	.rodata,"a",@progbits
	.p2align	6, 0x0
	.amdhsa_kernel _ZN9rocsparseL21csrmvn_general_kernelILj256ELj4EliaaiiEEvbT2_NS_24const_host_device_scalarIT6_EEPKT1_S7_PKS1_PKT3_PKT4_S4_PT5_21rocsparse_index_base_b
		.amdhsa_group_segment_fixed_size 0
		.amdhsa_private_segment_fixed_size 0
		.amdhsa_kernarg_size 336
		.amdhsa_user_sgpr_count 2
		.amdhsa_user_sgpr_dispatch_ptr 0
		.amdhsa_user_sgpr_queue_ptr 0
		.amdhsa_user_sgpr_kernarg_segment_ptr 1
		.amdhsa_user_sgpr_dispatch_id 0
		.amdhsa_user_sgpr_kernarg_preload_length 0
		.amdhsa_user_sgpr_kernarg_preload_offset 0
		.amdhsa_user_sgpr_private_segment_size 0
		.amdhsa_wavefront_size32 1
		.amdhsa_uses_dynamic_stack 0
		.amdhsa_enable_private_segment 0
		.amdhsa_system_sgpr_workgroup_id_x 1
		.amdhsa_system_sgpr_workgroup_id_y 0
		.amdhsa_system_sgpr_workgroup_id_z 0
		.amdhsa_system_sgpr_workgroup_info 0
		.amdhsa_system_vgpr_workitem_id 0
		.amdhsa_next_free_vgpr 33
		.amdhsa_next_free_sgpr 27
		.amdhsa_named_barrier_count 0
		.amdhsa_reserve_vcc 1
		.amdhsa_float_round_mode_32 0
		.amdhsa_float_round_mode_16_64 0
		.amdhsa_float_denorm_mode_32 3
		.amdhsa_float_denorm_mode_16_64 3
		.amdhsa_fp16_overflow 0
		.amdhsa_memory_ordered 1
		.amdhsa_forward_progress 1
		.amdhsa_inst_pref_size 9
		.amdhsa_round_robin_scheduling 0
		.amdhsa_exception_fp_ieee_invalid_op 0
		.amdhsa_exception_fp_denorm_src 0
		.amdhsa_exception_fp_ieee_div_zero 0
		.amdhsa_exception_fp_ieee_overflow 0
		.amdhsa_exception_fp_ieee_underflow 0
		.amdhsa_exception_fp_ieee_inexact 0
		.amdhsa_exception_int_div_zero 0
	.end_amdhsa_kernel
	.section	.text._ZN9rocsparseL21csrmvn_general_kernelILj256ELj4EliaaiiEEvbT2_NS_24const_host_device_scalarIT6_EEPKT1_S7_PKS1_PKT3_PKT4_S4_PT5_21rocsparse_index_base_b,"axG",@progbits,_ZN9rocsparseL21csrmvn_general_kernelILj256ELj4EliaaiiEEvbT2_NS_24const_host_device_scalarIT6_EEPKT1_S7_PKS1_PKT3_PKT4_S4_PT5_21rocsparse_index_base_b,comdat
.Lfunc_end144:
	.size	_ZN9rocsparseL21csrmvn_general_kernelILj256ELj4EliaaiiEEvbT2_NS_24const_host_device_scalarIT6_EEPKT1_S7_PKS1_PKT3_PKT4_S4_PT5_21rocsparse_index_base_b, .Lfunc_end144-_ZN9rocsparseL21csrmvn_general_kernelILj256ELj4EliaaiiEEvbT2_NS_24const_host_device_scalarIT6_EEPKT1_S7_PKS1_PKT3_PKT4_S4_PT5_21rocsparse_index_base_b
                                        ; -- End function
	.set _ZN9rocsparseL21csrmvn_general_kernelILj256ELj4EliaaiiEEvbT2_NS_24const_host_device_scalarIT6_EEPKT1_S7_PKS1_PKT3_PKT4_S4_PT5_21rocsparse_index_base_b.num_vgpr, 33
	.set _ZN9rocsparseL21csrmvn_general_kernelILj256ELj4EliaaiiEEvbT2_NS_24const_host_device_scalarIT6_EEPKT1_S7_PKS1_PKT3_PKT4_S4_PT5_21rocsparse_index_base_b.num_agpr, 0
	.set _ZN9rocsparseL21csrmvn_general_kernelILj256ELj4EliaaiiEEvbT2_NS_24const_host_device_scalarIT6_EEPKT1_S7_PKS1_PKT3_PKT4_S4_PT5_21rocsparse_index_base_b.numbered_sgpr, 27
	.set _ZN9rocsparseL21csrmvn_general_kernelILj256ELj4EliaaiiEEvbT2_NS_24const_host_device_scalarIT6_EEPKT1_S7_PKS1_PKT3_PKT4_S4_PT5_21rocsparse_index_base_b.num_named_barrier, 0
	.set _ZN9rocsparseL21csrmvn_general_kernelILj256ELj4EliaaiiEEvbT2_NS_24const_host_device_scalarIT6_EEPKT1_S7_PKS1_PKT3_PKT4_S4_PT5_21rocsparse_index_base_b.private_seg_size, 0
	.set _ZN9rocsparseL21csrmvn_general_kernelILj256ELj4EliaaiiEEvbT2_NS_24const_host_device_scalarIT6_EEPKT1_S7_PKS1_PKT3_PKT4_S4_PT5_21rocsparse_index_base_b.uses_vcc, 1
	.set _ZN9rocsparseL21csrmvn_general_kernelILj256ELj4EliaaiiEEvbT2_NS_24const_host_device_scalarIT6_EEPKT1_S7_PKS1_PKT3_PKT4_S4_PT5_21rocsparse_index_base_b.uses_flat_scratch, 0
	.set _ZN9rocsparseL21csrmvn_general_kernelILj256ELj4EliaaiiEEvbT2_NS_24const_host_device_scalarIT6_EEPKT1_S7_PKS1_PKT3_PKT4_S4_PT5_21rocsparse_index_base_b.has_dyn_sized_stack, 0
	.set _ZN9rocsparseL21csrmvn_general_kernelILj256ELj4EliaaiiEEvbT2_NS_24const_host_device_scalarIT6_EEPKT1_S7_PKS1_PKT3_PKT4_S4_PT5_21rocsparse_index_base_b.has_recursion, 0
	.set _ZN9rocsparseL21csrmvn_general_kernelILj256ELj4EliaaiiEEvbT2_NS_24const_host_device_scalarIT6_EEPKT1_S7_PKS1_PKT3_PKT4_S4_PT5_21rocsparse_index_base_b.has_indirect_call, 0
	.section	.AMDGPU.csdata,"",@progbits
; Kernel info:
; codeLenInByte = 1148
; TotalNumSgprs: 29
; NumVgprs: 33
; ScratchSize: 0
; MemoryBound: 0
; FloatMode: 240
; IeeeMode: 1
; LDSByteSize: 0 bytes/workgroup (compile time only)
; SGPRBlocks: 0
; VGPRBlocks: 2
; NumSGPRsForWavesPerEU: 29
; NumVGPRsForWavesPerEU: 33
; NamedBarCnt: 0
; Occupancy: 16
; WaveLimiterHint : 1
; COMPUTE_PGM_RSRC2:SCRATCH_EN: 0
; COMPUTE_PGM_RSRC2:USER_SGPR: 2
; COMPUTE_PGM_RSRC2:TRAP_HANDLER: 0
; COMPUTE_PGM_RSRC2:TGID_X_EN: 1
; COMPUTE_PGM_RSRC2:TGID_Y_EN: 0
; COMPUTE_PGM_RSRC2:TGID_Z_EN: 0
; COMPUTE_PGM_RSRC2:TIDIG_COMP_CNT: 0
	.section	.text._ZN9rocsparseL21csrmvn_general_kernelILj256ELj8EliaaiiEEvbT2_NS_24const_host_device_scalarIT6_EEPKT1_S7_PKS1_PKT3_PKT4_S4_PT5_21rocsparse_index_base_b,"axG",@progbits,_ZN9rocsparseL21csrmvn_general_kernelILj256ELj8EliaaiiEEvbT2_NS_24const_host_device_scalarIT6_EEPKT1_S7_PKS1_PKT3_PKT4_S4_PT5_21rocsparse_index_base_b,comdat
	.globl	_ZN9rocsparseL21csrmvn_general_kernelILj256ELj8EliaaiiEEvbT2_NS_24const_host_device_scalarIT6_EEPKT1_S7_PKS1_PKT3_PKT4_S4_PT5_21rocsparse_index_base_b ; -- Begin function _ZN9rocsparseL21csrmvn_general_kernelILj256ELj8EliaaiiEEvbT2_NS_24const_host_device_scalarIT6_EEPKT1_S7_PKS1_PKT3_PKT4_S4_PT5_21rocsparse_index_base_b
	.p2align	8
	.type	_ZN9rocsparseL21csrmvn_general_kernelILj256ELj8EliaaiiEEvbT2_NS_24const_host_device_scalarIT6_EEPKT1_S7_PKS1_PKT3_PKT4_S4_PT5_21rocsparse_index_base_b,@function
_ZN9rocsparseL21csrmvn_general_kernelILj256ELj8EliaaiiEEvbT2_NS_24const_host_device_scalarIT6_EEPKT1_S7_PKS1_PKT3_PKT4_S4_PT5_21rocsparse_index_base_b: ; @_ZN9rocsparseL21csrmvn_general_kernelILj256ELj8EliaaiiEEvbT2_NS_24const_host_device_scalarIT6_EEPKT1_S7_PKS1_PKT3_PKT4_S4_PT5_21rocsparse_index_base_b
; %bb.0:
	s_clause 0x1
	s_load_b64 s[2:3], s[0:1], 0x48
	s_load_b128 s[12:15], s[0:1], 0x8
	s_mov_b32 s6, -1
                                        ; implicit-def: $sgpr18
	s_wait_kmcnt 0x0
	s_bitcmp1_b32 s3, 0
	s_cselect_b32 s3, -1, 0
	s_delay_alu instid0(SALU_CYCLE_1) | instskip(NEXT) | instid1(SALU_CYCLE_1)
	s_xor_b32 s3, s3, -1
	s_and_b32 vcc_lo, exec_lo, s3
	s_cbranch_vccnz .LBB145_4
; %bb.1:
	s_load_b64 s[4:5], s[0:1], 0x38
	s_and_not1_b32 vcc_lo, exec_lo, s6
	s_cbranch_vccz .LBB145_5
.LBB145_2:
	s_and_b32 vcc_lo, exec_lo, s3
	s_cbranch_vccz .LBB145_6
.LBB145_3:
	s_wait_kmcnt 0x0
	s_load_b32 s19, s[4:5], 0x0
	s_cbranch_execz .LBB145_7
	s_branch .LBB145_8
.LBB145_4:
	s_load_b32 s18, s[12:13], 0x0
	s_load_b64 s[4:5], s[0:1], 0x38
	s_cbranch_execnz .LBB145_2
.LBB145_5:
	s_wait_kmcnt 0x0
	s_mov_b32 s18, s12
	s_and_b32 vcc_lo, exec_lo, s3
	s_cbranch_vccnz .LBB145_3
.LBB145_6:
                                        ; implicit-def: $sgpr19
.LBB145_7:
	s_wait_kmcnt 0x0
	s_mov_b32 s19, s4
.LBB145_8:
	s_wait_kmcnt 0x0
	s_cmp_lg_u32 s18, 0
	s_cselect_b32 s3, -1, 0
	s_cmp_lg_u32 s19, 1
	s_cselect_b32 s4, -1, 0
	s_delay_alu instid0(SALU_CYCLE_1) | instskip(NEXT) | instid1(SALU_CYCLE_1)
	s_or_b32 s3, s3, s4
	s_and_not1_b32 vcc_lo, exec_lo, s3
	s_cbranch_vccnz .LBB145_26
; %bb.9:
	s_bfe_u32 s3, ttmp6, 0x4000c
	s_load_b32 s20, s[0:1], 0x4
	s_add_co_i32 s3, s3, 1
	s_and_b32 s4, ttmp6, 15
	s_mul_i32 s3, ttmp9, s3
	s_getreg_b32 s5, hwreg(HW_REG_IB_STS2, 6, 4)
	s_add_co_i32 s4, s4, s3
	s_cmp_eq_u32 s5, 0
	s_cselect_b32 s3, ttmp9, s4
	s_delay_alu instid0(SALU_CYCLE_1) | instskip(SKIP_1) | instid1(VALU_DEP_1)
	v_lshl_or_b32 v1, s3, 8, v0
	s_mov_b32 s3, exec_lo
	v_lshrrev_b32_e32 v2, 3, v1
	s_wait_kmcnt 0x0
	s_delay_alu instid0(VALU_DEP_1)
	v_cmpx_gt_i32_e64 s20, v2
	s_cbranch_execz .LBB145_26
; %bb.10:
	v_mbcnt_lo_u32_b32 v3, -1, 0
	v_dual_mov_b32 v7, 0 :: v_dual_bitop2_b32 v6, 7, v0 bitop3:0x40
	s_clause 0x1
	s_load_b256 s[4:11], s[0:1], 0x18
	s_load_b32 s21, s[0:1], 0x50
	s_mov_b32 s3, 0
	v_xor_b32_e32 v1, 2, v3
	v_xor_b32_e32 v0, 4, v3
	;; [unrolled: 1-line block ×3, first 2 shown]
	s_load_b64 s[12:13], s[0:1], 0x40
	s_wait_xcnt 0x0
	s_ashr_i32 s1, s2, 31
	s_mov_b32 s0, s2
	v_cmp_gt_i32_e32 vcc_lo, 32, v0
	s_sub_nc_u64 s[16:17], 0, s[0:1]
	v_cmp_eq_u32_e64 s0, 7, v6
	s_mov_b32 s22, s18
	s_mov_b32 s23, s3
	v_cndmask_b32_e32 v4, v3, v0, vcc_lo
	v_cmp_gt_i32_e32 vcc_lo, 32, v1
	s_wait_kmcnt 0x0
	s_add_nc_u64 s[10:11], s[10:11], s[16:17]
	v_cndmask_b32_e32 v5, v3, v1, vcc_lo
	v_sub_nc_u64_e64 v[0:1], v[6:7], s[2:3]
	v_lshlrev_b32_e32 v24, 2, v4
	v_not_b32_e32 v4, v6
	s_lshl_b32 s1, s21, 5
	v_dual_lshlrev_b32 v25, 2, v5 :: v_dual_mov_b32 v5, -1
	v_cmp_gt_i32_e32 vcc_lo, 32, v10
	v_add_nc_u64_e32 v[8:9], s[8:9], v[0:1]
	s_cmp_lg_u32 s19, 0
	s_add_nc_u64 s[16:17], s[6:7], 32
	v_add_nc_u64_e32 v[4:5], s[2:3], v[4:5]
	v_cndmask_b32_e32 v3, v3, v10, vcc_lo
	v_or_b32_e32 v6, 8, v6
	s_cselect_b32 s21, -1, 0
	v_add_nc_u64_e32 v[8:9], 8, v[8:9]
	s_delay_alu instid0(VALU_DEP_3) | instskip(NEXT) | instid1(VALU_DEP_3)
	v_lshlrev_b32_e32 v26, 2, v3
	v_sub_nc_u64_e64 v[6:7], v[6:7], s[2:3]
	s_branch .LBB145_13
.LBB145_11:                             ;   in Loop: Header=BB145_13 Depth=1
	global_store_b32 v[10:11], v12, off
.LBB145_12:                             ;   in Loop: Header=BB145_13 Depth=1
	s_wait_xcnt 0x0
	s_or_b32 exec_lo, exec_lo, s24
	v_add_nc_u32_e32 v2, s1, v2
	s_delay_alu instid0(VALU_DEP_1) | instskip(SKIP_1) | instid1(SALU_CYCLE_1)
	v_cmp_le_i32_e32 vcc_lo, s20, v2
	s_or_b32 s23, vcc_lo, s23
	s_and_not1_b32 exec_lo, exec_lo, s23
	s_cbranch_execz .LBB145_26
.LBB145_13:                             ; =>This Loop Header: Depth=1
                                        ;     Child Loop BB145_16 Depth 2
                                        ;     Child Loop BB145_20 Depth 2
	s_wait_dscnt 0x0
	s_clause 0x1
	global_load_b64 v[10:11], v2, s[4:5] scale_offset
	global_load_b64 v[18:19], v2, s[14:15] scale_offset
	v_mov_b32_e32 v3, 0
	s_mov_b32 s24, exec_lo
	s_wait_loadcnt 0x1
	v_sub_nc_u64_e64 v[10:11], v[10:11], s[2:3]
	s_wait_loadcnt 0x0
	v_add_nc_u64_e32 v[12:13], v[18:19], v[0:1]
	s_wait_xcnt 0x0
	s_delay_alu instid0(VALU_DEP_1)
	v_cmpx_lt_i64_e64 v[12:13], v[10:11]
	s_cbranch_execz .LBB145_23
; %bb.14:                               ;   in Loop: Header=BB145_13 Depth=1
	v_add_nc_u64_e32 v[14:15], v[6:7], v[18:19]
	v_mov_b32_e32 v3, 0
	s_mov_b32 s26, -1
	s_mov_b32 s25, exec_lo
	s_delay_alu instid0(VALU_DEP_2) | instskip(NEXT) | instid1(VALU_DEP_1)
	v_max_i64 v[14:15], v[14:15], v[10:11]
	v_add_nc_u64_e32 v[14:15], v[4:5], v[14:15]
	s_delay_alu instid0(VALU_DEP_1) | instskip(NEXT) | instid1(VALU_DEP_1)
	v_sub_nc_u64_e32 v[14:15], v[14:15], v[18:19]
	v_cmpx_lt_u64_e32 7, v[14:15]
	s_cbranch_execz .LBB145_18
; %bb.15:                               ;   in Loop: Header=BB145_13 Depth=1
	v_lshrrev_b64 v[14:15], 3, v[14:15]
	v_add_nc_u64_e32 v[18:19], v[8:9], v[18:19]
	v_lshl_add_u64 v[20:21], v[12:13], 2, s[16:17]
	v_dual_mov_b32 v3, 0 :: v_dual_mov_b32 v27, 0
	s_mov_b32 s26, 0
	s_delay_alu instid0(VALU_DEP_4) | instskip(NEXT) | instid1(VALU_DEP_1)
	v_add_nc_u64_e32 v[14:15], 1, v[14:15]
	v_dual_mov_b32 v17, v15 :: v_dual_bitop2_b32 v16, -2, v14 bitop3:0x40
	s_delay_alu instid0(VALU_DEP_1)
	v_mov_b64_e32 v[22:23], v[16:17]
.LBB145_16:                             ;   Parent Loop BB145_13 Depth=1
                                        ; =>  This Inner Loop Header: Depth=2
	s_clause 0x1
	global_load_b32 v28, v[20:21], off
	global_load_b32 v29, v[20:21], off offset:-32
	s_clause 0x1
	global_load_i8 v30, v[18:19], off
	global_load_i8 v31, v[18:19], off offset:-8
	v_add_nc_u64_e32 v[22:23], -2, v[22:23]
	s_wait_xcnt 0x0
	v_add_nc_u64_e32 v[18:19], 16, v[18:19]
	v_add_nc_u64_e32 v[20:21], 64, v[20:21]
	s_wait_loadcnt 0x3
	global_load_i8 v32, v28, s[10:11]
	s_wait_loadcnt 0x3
	global_load_i8 v33, v29, s[10:11]
	s_wait_loadcnt 0x3
	s_wait_xcnt 0x1
	v_mul_lo_u32 v28, s22, v30
	s_wait_loadcnt 0x2
	s_wait_xcnt 0x0
	v_mul_lo_u32 v29, s18, v31
	v_cmp_eq_u64_e32 vcc_lo, 0, v[22:23]
	s_or_b32 s26, vcc_lo, s26
	s_wait_loadcnt 0x1
	s_delay_alu instid0(VALU_DEP_3) | instskip(SKIP_1) | instid1(VALU_DEP_3)
	v_mad_u32 v27, v28, v32, v27
	s_wait_loadcnt 0x0
	v_mad_u32 v3, v29, v33, v3
	s_and_not1_b32 exec_lo, exec_lo, s26
	s_cbranch_execnz .LBB145_16
; %bb.17:                               ;   in Loop: Header=BB145_13 Depth=1
	s_or_b32 exec_lo, exec_lo, s26
	v_cmp_ne_u64_e32 vcc_lo, v[14:15], v[16:17]
	v_lshl_add_u64 v[12:13], v[16:17], 3, v[12:13]
	s_delay_alu instid0(VALU_DEP_3)
	v_add_nc_u32_e32 v3, v3, v27
	s_or_not1_b32 s26, vcc_lo, exec_lo
.LBB145_18:                             ;   in Loop: Header=BB145_13 Depth=1
	s_or_b32 exec_lo, exec_lo, s25
	s_and_saveexec_b32 s25, s26
	s_cbranch_execz .LBB145_22
; %bb.19:                               ;   in Loop: Header=BB145_13 Depth=1
	v_lshl_add_u64 v[14:15], v[12:13], 2, s[6:7]
	s_mov_b32 s26, 0
.LBB145_20:                             ;   Parent Loop BB145_13 Depth=1
                                        ; =>  This Inner Loop Header: Depth=2
	global_load_b32 v18, v[14:15], off
	v_add_nc_u64_e32 v[16:17], s[8:9], v[12:13]
	v_add_nc_u64_e32 v[12:13], 8, v[12:13]
	s_wait_xcnt 0x0
	v_add_nc_u64_e32 v[14:15], 32, v[14:15]
	global_load_i8 v19, v[16:17], off
	s_wait_loadcnt 0x1
	global_load_i8 v20, v18, s[10:11]
	v_cmp_ge_i64_e32 vcc_lo, v[12:13], v[10:11]
	s_or_b32 s26, vcc_lo, s26
	s_wait_loadcnt 0x1
	s_wait_xcnt 0x1
	v_mul_lo_u32 v16, s18, v19
	s_wait_loadcnt 0x0
	s_delay_alu instid0(VALU_DEP_1)
	v_mad_u32 v3, v16, v20, v3
	s_wait_xcnt 0x0
	s_and_not1_b32 exec_lo, exec_lo, s26
	s_cbranch_execnz .LBB145_20
; %bb.21:                               ;   in Loop: Header=BB145_13 Depth=1
	s_or_b32 exec_lo, exec_lo, s26
.LBB145_22:                             ;   in Loop: Header=BB145_13 Depth=1
	s_delay_alu instid0(SALU_CYCLE_1)
	s_or_b32 exec_lo, exec_lo, s25
.LBB145_23:                             ;   in Loop: Header=BB145_13 Depth=1
	s_delay_alu instid0(SALU_CYCLE_1)
	s_or_b32 exec_lo, exec_lo, s24
	ds_bpermute_b32 v10, v24, v3
	s_wait_dscnt 0x0
	v_add_nc_u32_e32 v3, v10, v3
	ds_bpermute_b32 v10, v25, v3
	s_wait_dscnt 0x0
	v_dual_add_nc_u32 v10, v10, v3 :: v_dual_ashrrev_i32 v3, 31, v2
	ds_bpermute_b32 v11, v26, v10
	s_and_saveexec_b32 s24, s0
	s_cbranch_execz .LBB145_12
; %bb.24:                               ;   in Loop: Header=BB145_13 Depth=1
	s_wait_dscnt 0x0
	v_add_nc_u32_e32 v12, v11, v10
	v_lshl_add_u64 v[10:11], v[2:3], 2, s[12:13]
	s_and_not1_b32 vcc_lo, exec_lo, s21
	s_cbranch_vccnz .LBB145_11
; %bb.25:                               ;   in Loop: Header=BB145_13 Depth=1
	global_load_b32 v3, v[10:11], off
	s_wait_loadcnt 0x0
	v_mad_u32 v12, v3, s19, v12
	s_branch .LBB145_11
.LBB145_26:
	s_endpgm
	.section	.rodata,"a",@progbits
	.p2align	6, 0x0
	.amdhsa_kernel _ZN9rocsparseL21csrmvn_general_kernelILj256ELj8EliaaiiEEvbT2_NS_24const_host_device_scalarIT6_EEPKT1_S7_PKS1_PKT3_PKT4_S4_PT5_21rocsparse_index_base_b
		.amdhsa_group_segment_fixed_size 0
		.amdhsa_private_segment_fixed_size 0
		.amdhsa_kernarg_size 336
		.amdhsa_user_sgpr_count 2
		.amdhsa_user_sgpr_dispatch_ptr 0
		.amdhsa_user_sgpr_queue_ptr 0
		.amdhsa_user_sgpr_kernarg_segment_ptr 1
		.amdhsa_user_sgpr_dispatch_id 0
		.amdhsa_user_sgpr_kernarg_preload_length 0
		.amdhsa_user_sgpr_kernarg_preload_offset 0
		.amdhsa_user_sgpr_private_segment_size 0
		.amdhsa_wavefront_size32 1
		.amdhsa_uses_dynamic_stack 0
		.amdhsa_enable_private_segment 0
		.amdhsa_system_sgpr_workgroup_id_x 1
		.amdhsa_system_sgpr_workgroup_id_y 0
		.amdhsa_system_sgpr_workgroup_id_z 0
		.amdhsa_system_sgpr_workgroup_info 0
		.amdhsa_system_vgpr_workitem_id 0
		.amdhsa_next_free_vgpr 34
		.amdhsa_next_free_sgpr 27
		.amdhsa_named_barrier_count 0
		.amdhsa_reserve_vcc 1
		.amdhsa_float_round_mode_32 0
		.amdhsa_float_round_mode_16_64 0
		.amdhsa_float_denorm_mode_32 3
		.amdhsa_float_denorm_mode_16_64 3
		.amdhsa_fp16_overflow 0
		.amdhsa_memory_ordered 1
		.amdhsa_forward_progress 1
		.amdhsa_inst_pref_size 10
		.amdhsa_round_robin_scheduling 0
		.amdhsa_exception_fp_ieee_invalid_op 0
		.amdhsa_exception_fp_denorm_src 0
		.amdhsa_exception_fp_ieee_div_zero 0
		.amdhsa_exception_fp_ieee_overflow 0
		.amdhsa_exception_fp_ieee_underflow 0
		.amdhsa_exception_fp_ieee_inexact 0
		.amdhsa_exception_int_div_zero 0
	.end_amdhsa_kernel
	.section	.text._ZN9rocsparseL21csrmvn_general_kernelILj256ELj8EliaaiiEEvbT2_NS_24const_host_device_scalarIT6_EEPKT1_S7_PKS1_PKT3_PKT4_S4_PT5_21rocsparse_index_base_b,"axG",@progbits,_ZN9rocsparseL21csrmvn_general_kernelILj256ELj8EliaaiiEEvbT2_NS_24const_host_device_scalarIT6_EEPKT1_S7_PKS1_PKT3_PKT4_S4_PT5_21rocsparse_index_base_b,comdat
.Lfunc_end145:
	.size	_ZN9rocsparseL21csrmvn_general_kernelILj256ELj8EliaaiiEEvbT2_NS_24const_host_device_scalarIT6_EEPKT1_S7_PKS1_PKT3_PKT4_S4_PT5_21rocsparse_index_base_b, .Lfunc_end145-_ZN9rocsparseL21csrmvn_general_kernelILj256ELj8EliaaiiEEvbT2_NS_24const_host_device_scalarIT6_EEPKT1_S7_PKS1_PKT3_PKT4_S4_PT5_21rocsparse_index_base_b
                                        ; -- End function
	.set _ZN9rocsparseL21csrmvn_general_kernelILj256ELj8EliaaiiEEvbT2_NS_24const_host_device_scalarIT6_EEPKT1_S7_PKS1_PKT3_PKT4_S4_PT5_21rocsparse_index_base_b.num_vgpr, 34
	.set _ZN9rocsparseL21csrmvn_general_kernelILj256ELj8EliaaiiEEvbT2_NS_24const_host_device_scalarIT6_EEPKT1_S7_PKS1_PKT3_PKT4_S4_PT5_21rocsparse_index_base_b.num_agpr, 0
	.set _ZN9rocsparseL21csrmvn_general_kernelILj256ELj8EliaaiiEEvbT2_NS_24const_host_device_scalarIT6_EEPKT1_S7_PKS1_PKT3_PKT4_S4_PT5_21rocsparse_index_base_b.numbered_sgpr, 27
	.set _ZN9rocsparseL21csrmvn_general_kernelILj256ELj8EliaaiiEEvbT2_NS_24const_host_device_scalarIT6_EEPKT1_S7_PKS1_PKT3_PKT4_S4_PT5_21rocsparse_index_base_b.num_named_barrier, 0
	.set _ZN9rocsparseL21csrmvn_general_kernelILj256ELj8EliaaiiEEvbT2_NS_24const_host_device_scalarIT6_EEPKT1_S7_PKS1_PKT3_PKT4_S4_PT5_21rocsparse_index_base_b.private_seg_size, 0
	.set _ZN9rocsparseL21csrmvn_general_kernelILj256ELj8EliaaiiEEvbT2_NS_24const_host_device_scalarIT6_EEPKT1_S7_PKS1_PKT3_PKT4_S4_PT5_21rocsparse_index_base_b.uses_vcc, 1
	.set _ZN9rocsparseL21csrmvn_general_kernelILj256ELj8EliaaiiEEvbT2_NS_24const_host_device_scalarIT6_EEPKT1_S7_PKS1_PKT3_PKT4_S4_PT5_21rocsparse_index_base_b.uses_flat_scratch, 0
	.set _ZN9rocsparseL21csrmvn_general_kernelILj256ELj8EliaaiiEEvbT2_NS_24const_host_device_scalarIT6_EEPKT1_S7_PKS1_PKT3_PKT4_S4_PT5_21rocsparse_index_base_b.has_dyn_sized_stack, 0
	.set _ZN9rocsparseL21csrmvn_general_kernelILj256ELj8EliaaiiEEvbT2_NS_24const_host_device_scalarIT6_EEPKT1_S7_PKS1_PKT3_PKT4_S4_PT5_21rocsparse_index_base_b.has_recursion, 0
	.set _ZN9rocsparseL21csrmvn_general_kernelILj256ELj8EliaaiiEEvbT2_NS_24const_host_device_scalarIT6_EEPKT1_S7_PKS1_PKT3_PKT4_S4_PT5_21rocsparse_index_base_b.has_indirect_call, 0
	.section	.AMDGPU.csdata,"",@progbits
; Kernel info:
; codeLenInByte = 1176
; TotalNumSgprs: 29
; NumVgprs: 34
; ScratchSize: 0
; MemoryBound: 0
; FloatMode: 240
; IeeeMode: 1
; LDSByteSize: 0 bytes/workgroup (compile time only)
; SGPRBlocks: 0
; VGPRBlocks: 2
; NumSGPRsForWavesPerEU: 29
; NumVGPRsForWavesPerEU: 34
; NamedBarCnt: 0
; Occupancy: 16
; WaveLimiterHint : 1
; COMPUTE_PGM_RSRC2:SCRATCH_EN: 0
; COMPUTE_PGM_RSRC2:USER_SGPR: 2
; COMPUTE_PGM_RSRC2:TRAP_HANDLER: 0
; COMPUTE_PGM_RSRC2:TGID_X_EN: 1
; COMPUTE_PGM_RSRC2:TGID_Y_EN: 0
; COMPUTE_PGM_RSRC2:TGID_Z_EN: 0
; COMPUTE_PGM_RSRC2:TIDIG_COMP_CNT: 0
	.section	.text._ZN9rocsparseL21csrmvn_general_kernelILj256ELj16EliaaiiEEvbT2_NS_24const_host_device_scalarIT6_EEPKT1_S7_PKS1_PKT3_PKT4_S4_PT5_21rocsparse_index_base_b,"axG",@progbits,_ZN9rocsparseL21csrmvn_general_kernelILj256ELj16EliaaiiEEvbT2_NS_24const_host_device_scalarIT6_EEPKT1_S7_PKS1_PKT3_PKT4_S4_PT5_21rocsparse_index_base_b,comdat
	.globl	_ZN9rocsparseL21csrmvn_general_kernelILj256ELj16EliaaiiEEvbT2_NS_24const_host_device_scalarIT6_EEPKT1_S7_PKS1_PKT3_PKT4_S4_PT5_21rocsparse_index_base_b ; -- Begin function _ZN9rocsparseL21csrmvn_general_kernelILj256ELj16EliaaiiEEvbT2_NS_24const_host_device_scalarIT6_EEPKT1_S7_PKS1_PKT3_PKT4_S4_PT5_21rocsparse_index_base_b
	.p2align	8
	.type	_ZN9rocsparseL21csrmvn_general_kernelILj256ELj16EliaaiiEEvbT2_NS_24const_host_device_scalarIT6_EEPKT1_S7_PKS1_PKT3_PKT4_S4_PT5_21rocsparse_index_base_b,@function
_ZN9rocsparseL21csrmvn_general_kernelILj256ELj16EliaaiiEEvbT2_NS_24const_host_device_scalarIT6_EEPKT1_S7_PKS1_PKT3_PKT4_S4_PT5_21rocsparse_index_base_b: ; @_ZN9rocsparseL21csrmvn_general_kernelILj256ELj16EliaaiiEEvbT2_NS_24const_host_device_scalarIT6_EEPKT1_S7_PKS1_PKT3_PKT4_S4_PT5_21rocsparse_index_base_b
; %bb.0:
	s_clause 0x1
	s_load_b64 s[2:3], s[0:1], 0x48
	s_load_b128 s[12:15], s[0:1], 0x8
	s_mov_b32 s6, -1
                                        ; implicit-def: $sgpr18
	s_wait_kmcnt 0x0
	s_bitcmp1_b32 s3, 0
	s_cselect_b32 s3, -1, 0
	s_delay_alu instid0(SALU_CYCLE_1) | instskip(NEXT) | instid1(SALU_CYCLE_1)
	s_xor_b32 s3, s3, -1
	s_and_b32 vcc_lo, exec_lo, s3
	s_cbranch_vccnz .LBB146_4
; %bb.1:
	s_load_b64 s[4:5], s[0:1], 0x38
	s_and_not1_b32 vcc_lo, exec_lo, s6
	s_cbranch_vccz .LBB146_5
.LBB146_2:
	s_and_b32 vcc_lo, exec_lo, s3
	s_cbranch_vccz .LBB146_6
.LBB146_3:
	s_wait_kmcnt 0x0
	s_load_b32 s19, s[4:5], 0x0
	s_cbranch_execz .LBB146_7
	s_branch .LBB146_8
.LBB146_4:
	s_load_b32 s18, s[12:13], 0x0
	s_load_b64 s[4:5], s[0:1], 0x38
	s_cbranch_execnz .LBB146_2
.LBB146_5:
	s_wait_kmcnt 0x0
	s_mov_b32 s18, s12
	s_and_b32 vcc_lo, exec_lo, s3
	s_cbranch_vccnz .LBB146_3
.LBB146_6:
                                        ; implicit-def: $sgpr19
.LBB146_7:
	s_wait_kmcnt 0x0
	s_mov_b32 s19, s4
.LBB146_8:
	s_wait_kmcnt 0x0
	s_cmp_lg_u32 s18, 0
	s_cselect_b32 s3, -1, 0
	s_cmp_lg_u32 s19, 1
	s_cselect_b32 s4, -1, 0
	s_delay_alu instid0(SALU_CYCLE_1) | instskip(NEXT) | instid1(SALU_CYCLE_1)
	s_or_b32 s3, s3, s4
	s_and_not1_b32 vcc_lo, exec_lo, s3
	s_cbranch_vccnz .LBB146_26
; %bb.9:
	s_bfe_u32 s3, ttmp6, 0x4000c
	s_load_b32 s20, s[0:1], 0x4
	s_add_co_i32 s3, s3, 1
	s_and_b32 s4, ttmp6, 15
	s_mul_i32 s3, ttmp9, s3
	s_getreg_b32 s5, hwreg(HW_REG_IB_STS2, 6, 4)
	s_add_co_i32 s4, s4, s3
	s_cmp_eq_u32 s5, 0
	s_cselect_b32 s3, ttmp9, s4
	s_delay_alu instid0(SALU_CYCLE_1) | instskip(SKIP_1) | instid1(VALU_DEP_1)
	v_lshl_or_b32 v1, s3, 8, v0
	s_mov_b32 s3, exec_lo
	v_lshrrev_b32_e32 v2, 4, v1
	s_wait_kmcnt 0x0
	s_delay_alu instid0(VALU_DEP_1)
	v_cmpx_gt_i32_e64 s20, v2
	s_cbranch_execz .LBB146_26
; %bb.10:
	v_mbcnt_lo_u32_b32 v3, -1, 0
	s_clause 0x2
	s_load_b32 s21, s[0:1], 0x50
	s_load_b256 s[4:11], s[0:1], 0x18
	s_load_b64 s[12:13], s[0:1], 0x40
	v_dual_mov_b32 v7, 0 :: v_dual_bitop2_b32 v6, 15, v0 bitop3:0x40
	s_mov_b32 s3, 0
	v_xor_b32_e32 v5, 4, v3
	v_xor_b32_e32 v4, 8, v3
	s_wait_xcnt 0x0
	s_ashr_i32 s1, s2, 31
	v_sub_nc_u64_e64 v[0:1], v[6:7], s[2:3]
	s_mov_b32 s0, s2
	s_mov_b32 s22, s18
	v_cmp_gt_i32_e32 vcc_lo, 32, v4
	s_sub_nc_u64 s[16:17], 0, s[0:1]
	v_cmp_eq_u32_e64 s0, 15, v6
	s_mov_b32 s23, s3
	v_dual_cndmask_b32 v4, v3, v4, vcc_lo :: v_dual_bitop2_b32 v10, 1, v3 bitop3:0x14
	v_xor_b32_e32 v8, 2, v3
	v_cmp_gt_i32_e32 vcc_lo, 32, v5
	s_wait_kmcnt 0x0
	s_lshl_b32 s1, s21, 4
	s_cmp_lg_u32 s19, 0
	v_lshlrev_b32_e32 v24, 2, v4
	v_not_b32_e32 v4, v6
	v_cndmask_b32_e32 v5, v3, v5, vcc_lo
	v_cmp_gt_i32_e32 vcc_lo, 32, v8
	v_or_b32_e32 v6, 16, v6
	s_add_nc_u64 s[10:11], s[10:11], s[16:17]
	s_cselect_b32 s21, -1, 0
	v_dual_cndmask_b32 v8, v3, v8 :: v_dual_lshlrev_b32 v25, 2, v5
	v_mov_b32_e32 v5, -1
	v_sub_nc_u64_e64 v[6:7], v[6:7], s[2:3]
	s_add_nc_u64 s[16:17], s[6:7], 64
	v_cmp_gt_i32_e32 vcc_lo, 32, v10
	v_lshlrev_b32_e32 v26, 2, v8
	v_add_nc_u64_e32 v[8:9], s[8:9], v[0:1]
	v_add_nc_u64_e32 v[4:5], s[2:3], v[4:5]
	v_cndmask_b32_e32 v3, v3, v10, vcc_lo
	s_delay_alu instid0(VALU_DEP_3) | instskip(NEXT) | instid1(VALU_DEP_2)
	v_add_nc_u64_e32 v[8:9], 16, v[8:9]
	v_lshlrev_b32_e32 v27, 2, v3
	s_branch .LBB146_13
.LBB146_11:                             ;   in Loop: Header=BB146_13 Depth=1
	global_store_b32 v[10:11], v12, off
.LBB146_12:                             ;   in Loop: Header=BB146_13 Depth=1
	s_wait_xcnt 0x0
	s_or_b32 exec_lo, exec_lo, s24
	v_add_nc_u32_e32 v2, s1, v2
	s_delay_alu instid0(VALU_DEP_1) | instskip(SKIP_1) | instid1(SALU_CYCLE_1)
	v_cmp_le_i32_e32 vcc_lo, s20, v2
	s_or_b32 s23, vcc_lo, s23
	s_and_not1_b32 exec_lo, exec_lo, s23
	s_cbranch_execz .LBB146_26
.LBB146_13:                             ; =>This Loop Header: Depth=1
                                        ;     Child Loop BB146_16 Depth 2
                                        ;     Child Loop BB146_20 Depth 2
	s_wait_dscnt 0x0
	s_clause 0x1
	global_load_b64 v[10:11], v2, s[4:5] scale_offset
	global_load_b64 v[18:19], v2, s[14:15] scale_offset
	v_mov_b32_e32 v3, 0
	s_mov_b32 s24, exec_lo
	s_wait_loadcnt 0x1
	v_sub_nc_u64_e64 v[10:11], v[10:11], s[2:3]
	s_wait_loadcnt 0x0
	v_add_nc_u64_e32 v[12:13], v[18:19], v[0:1]
	s_wait_xcnt 0x0
	s_delay_alu instid0(VALU_DEP_1)
	v_cmpx_lt_i64_e64 v[12:13], v[10:11]
	s_cbranch_execz .LBB146_23
; %bb.14:                               ;   in Loop: Header=BB146_13 Depth=1
	v_add_nc_u64_e32 v[14:15], v[6:7], v[18:19]
	v_mov_b32_e32 v3, 0
	s_mov_b32 s26, -1
	s_mov_b32 s25, exec_lo
	s_delay_alu instid0(VALU_DEP_2) | instskip(NEXT) | instid1(VALU_DEP_1)
	v_max_i64 v[14:15], v[14:15], v[10:11]
	v_add_nc_u64_e32 v[14:15], v[4:5], v[14:15]
	s_delay_alu instid0(VALU_DEP_1) | instskip(NEXT) | instid1(VALU_DEP_1)
	v_sub_nc_u64_e32 v[14:15], v[14:15], v[18:19]
	v_cmpx_lt_u64_e32 15, v[14:15]
	s_cbranch_execz .LBB146_18
; %bb.15:                               ;   in Loop: Header=BB146_13 Depth=1
	v_lshrrev_b64 v[14:15], 4, v[14:15]
	v_add_nc_u64_e32 v[18:19], v[8:9], v[18:19]
	v_lshl_add_u64 v[20:21], v[12:13], 2, s[16:17]
	v_dual_mov_b32 v3, 0 :: v_dual_mov_b32 v28, 0
	s_mov_b32 s26, 0
	s_delay_alu instid0(VALU_DEP_4) | instskip(NEXT) | instid1(VALU_DEP_1)
	v_add_nc_u64_e32 v[14:15], 1, v[14:15]
	v_dual_mov_b32 v17, v15 :: v_dual_bitop2_b32 v16, -2, v14 bitop3:0x40
	s_delay_alu instid0(VALU_DEP_1)
	v_mov_b64_e32 v[22:23], v[16:17]
.LBB146_16:                             ;   Parent Loop BB146_13 Depth=1
                                        ; =>  This Inner Loop Header: Depth=2
	s_clause 0x1
	global_load_b32 v29, v[20:21], off
	global_load_b32 v30, v[20:21], off offset:-64
	s_clause 0x1
	global_load_i8 v31, v[18:19], off
	global_load_i8 v32, v[18:19], off offset:-16
	v_add_nc_u64_e32 v[22:23], -2, v[22:23]
	s_wait_xcnt 0x0
	v_add_nc_u64_e32 v[18:19], 32, v[18:19]
	v_add_nc_u64_e32 v[20:21], 0x80, v[20:21]
	s_wait_loadcnt 0x3
	global_load_i8 v33, v29, s[10:11]
	s_wait_loadcnt 0x3
	global_load_i8 v34, v30, s[10:11]
	s_wait_loadcnt 0x3
	s_wait_xcnt 0x1
	v_mul_lo_u32 v29, s22, v31
	s_wait_loadcnt 0x2
	s_wait_xcnt 0x0
	v_mul_lo_u32 v30, s18, v32
	v_cmp_eq_u64_e32 vcc_lo, 0, v[22:23]
	s_or_b32 s26, vcc_lo, s26
	s_wait_loadcnt 0x1
	s_delay_alu instid0(VALU_DEP_3) | instskip(SKIP_1) | instid1(VALU_DEP_3)
	v_mad_u32 v28, v29, v33, v28
	s_wait_loadcnt 0x0
	v_mad_u32 v3, v30, v34, v3
	s_and_not1_b32 exec_lo, exec_lo, s26
	s_cbranch_execnz .LBB146_16
; %bb.17:                               ;   in Loop: Header=BB146_13 Depth=1
	s_or_b32 exec_lo, exec_lo, s26
	v_cmp_ne_u64_e32 vcc_lo, v[14:15], v[16:17]
	v_lshl_add_u64 v[12:13], v[16:17], 4, v[12:13]
	s_delay_alu instid0(VALU_DEP_3)
	v_add_nc_u32_e32 v3, v3, v28
	s_or_not1_b32 s26, vcc_lo, exec_lo
.LBB146_18:                             ;   in Loop: Header=BB146_13 Depth=1
	s_or_b32 exec_lo, exec_lo, s25
	s_and_saveexec_b32 s25, s26
	s_cbranch_execz .LBB146_22
; %bb.19:                               ;   in Loop: Header=BB146_13 Depth=1
	v_lshl_add_u64 v[14:15], v[12:13], 2, s[6:7]
	s_mov_b32 s26, 0
.LBB146_20:                             ;   Parent Loop BB146_13 Depth=1
                                        ; =>  This Inner Loop Header: Depth=2
	global_load_b32 v18, v[14:15], off
	v_add_nc_u64_e32 v[16:17], s[8:9], v[12:13]
	v_add_nc_u64_e32 v[12:13], 16, v[12:13]
	s_wait_xcnt 0x0
	v_add_nc_u64_e32 v[14:15], 64, v[14:15]
	global_load_i8 v19, v[16:17], off
	s_wait_loadcnt 0x1
	global_load_i8 v20, v18, s[10:11]
	v_cmp_ge_i64_e32 vcc_lo, v[12:13], v[10:11]
	s_or_b32 s26, vcc_lo, s26
	s_wait_loadcnt 0x1
	s_wait_xcnt 0x1
	v_mul_lo_u32 v16, s18, v19
	s_wait_loadcnt 0x0
	s_delay_alu instid0(VALU_DEP_1)
	v_mad_u32 v3, v16, v20, v3
	s_wait_xcnt 0x0
	s_and_not1_b32 exec_lo, exec_lo, s26
	s_cbranch_execnz .LBB146_20
; %bb.21:                               ;   in Loop: Header=BB146_13 Depth=1
	s_or_b32 exec_lo, exec_lo, s26
.LBB146_22:                             ;   in Loop: Header=BB146_13 Depth=1
	s_delay_alu instid0(SALU_CYCLE_1)
	s_or_b32 exec_lo, exec_lo, s25
.LBB146_23:                             ;   in Loop: Header=BB146_13 Depth=1
	s_delay_alu instid0(SALU_CYCLE_1)
	s_or_b32 exec_lo, exec_lo, s24
	ds_bpermute_b32 v10, v24, v3
	s_wait_dscnt 0x0
	v_add_nc_u32_e32 v3, v10, v3
	ds_bpermute_b32 v10, v25, v3
	s_wait_dscnt 0x0
	v_add_nc_u32_e32 v3, v10, v3
	ds_bpermute_b32 v10, v26, v3
	s_wait_dscnt 0x0
	v_dual_add_nc_u32 v10, v10, v3 :: v_dual_ashrrev_i32 v3, 31, v2
	ds_bpermute_b32 v11, v27, v10
	s_and_saveexec_b32 s24, s0
	s_cbranch_execz .LBB146_12
; %bb.24:                               ;   in Loop: Header=BB146_13 Depth=1
	s_wait_dscnt 0x0
	v_add_nc_u32_e32 v12, v11, v10
	v_lshl_add_u64 v[10:11], v[2:3], 2, s[12:13]
	s_and_not1_b32 vcc_lo, exec_lo, s21
	s_cbranch_vccnz .LBB146_11
; %bb.25:                               ;   in Loop: Header=BB146_13 Depth=1
	global_load_b32 v3, v[10:11], off
	s_wait_loadcnt 0x0
	v_mad_u32 v12, v3, s19, v12
	s_branch .LBB146_11
.LBB146_26:
	s_endpgm
	.section	.rodata,"a",@progbits
	.p2align	6, 0x0
	.amdhsa_kernel _ZN9rocsparseL21csrmvn_general_kernelILj256ELj16EliaaiiEEvbT2_NS_24const_host_device_scalarIT6_EEPKT1_S7_PKS1_PKT3_PKT4_S4_PT5_21rocsparse_index_base_b
		.amdhsa_group_segment_fixed_size 0
		.amdhsa_private_segment_fixed_size 0
		.amdhsa_kernarg_size 336
		.amdhsa_user_sgpr_count 2
		.amdhsa_user_sgpr_dispatch_ptr 0
		.amdhsa_user_sgpr_queue_ptr 0
		.amdhsa_user_sgpr_kernarg_segment_ptr 1
		.amdhsa_user_sgpr_dispatch_id 0
		.amdhsa_user_sgpr_kernarg_preload_length 0
		.amdhsa_user_sgpr_kernarg_preload_offset 0
		.amdhsa_user_sgpr_private_segment_size 0
		.amdhsa_wavefront_size32 1
		.amdhsa_uses_dynamic_stack 0
		.amdhsa_enable_private_segment 0
		.amdhsa_system_sgpr_workgroup_id_x 1
		.amdhsa_system_sgpr_workgroup_id_y 0
		.amdhsa_system_sgpr_workgroup_id_z 0
		.amdhsa_system_sgpr_workgroup_info 0
		.amdhsa_system_vgpr_workitem_id 0
		.amdhsa_next_free_vgpr 35
		.amdhsa_next_free_sgpr 27
		.amdhsa_named_barrier_count 0
		.amdhsa_reserve_vcc 1
		.amdhsa_float_round_mode_32 0
		.amdhsa_float_round_mode_16_64 0
		.amdhsa_float_denorm_mode_32 3
		.amdhsa_float_denorm_mode_16_64 3
		.amdhsa_fp16_overflow 0
		.amdhsa_memory_ordered 1
		.amdhsa_forward_progress 1
		.amdhsa_inst_pref_size 10
		.amdhsa_round_robin_scheduling 0
		.amdhsa_exception_fp_ieee_invalid_op 0
		.amdhsa_exception_fp_denorm_src 0
		.amdhsa_exception_fp_ieee_div_zero 0
		.amdhsa_exception_fp_ieee_overflow 0
		.amdhsa_exception_fp_ieee_underflow 0
		.amdhsa_exception_fp_ieee_inexact 0
		.amdhsa_exception_int_div_zero 0
	.end_amdhsa_kernel
	.section	.text._ZN9rocsparseL21csrmvn_general_kernelILj256ELj16EliaaiiEEvbT2_NS_24const_host_device_scalarIT6_EEPKT1_S7_PKS1_PKT3_PKT4_S4_PT5_21rocsparse_index_base_b,"axG",@progbits,_ZN9rocsparseL21csrmvn_general_kernelILj256ELj16EliaaiiEEvbT2_NS_24const_host_device_scalarIT6_EEPKT1_S7_PKS1_PKT3_PKT4_S4_PT5_21rocsparse_index_base_b,comdat
.Lfunc_end146:
	.size	_ZN9rocsparseL21csrmvn_general_kernelILj256ELj16EliaaiiEEvbT2_NS_24const_host_device_scalarIT6_EEPKT1_S7_PKS1_PKT3_PKT4_S4_PT5_21rocsparse_index_base_b, .Lfunc_end146-_ZN9rocsparseL21csrmvn_general_kernelILj256ELj16EliaaiiEEvbT2_NS_24const_host_device_scalarIT6_EEPKT1_S7_PKS1_PKT3_PKT4_S4_PT5_21rocsparse_index_base_b
                                        ; -- End function
	.set _ZN9rocsparseL21csrmvn_general_kernelILj256ELj16EliaaiiEEvbT2_NS_24const_host_device_scalarIT6_EEPKT1_S7_PKS1_PKT3_PKT4_S4_PT5_21rocsparse_index_base_b.num_vgpr, 35
	.set _ZN9rocsparseL21csrmvn_general_kernelILj256ELj16EliaaiiEEvbT2_NS_24const_host_device_scalarIT6_EEPKT1_S7_PKS1_PKT3_PKT4_S4_PT5_21rocsparse_index_base_b.num_agpr, 0
	.set _ZN9rocsparseL21csrmvn_general_kernelILj256ELj16EliaaiiEEvbT2_NS_24const_host_device_scalarIT6_EEPKT1_S7_PKS1_PKT3_PKT4_S4_PT5_21rocsparse_index_base_b.numbered_sgpr, 27
	.set _ZN9rocsparseL21csrmvn_general_kernelILj256ELj16EliaaiiEEvbT2_NS_24const_host_device_scalarIT6_EEPKT1_S7_PKS1_PKT3_PKT4_S4_PT5_21rocsparse_index_base_b.num_named_barrier, 0
	.set _ZN9rocsparseL21csrmvn_general_kernelILj256ELj16EliaaiiEEvbT2_NS_24const_host_device_scalarIT6_EEPKT1_S7_PKS1_PKT3_PKT4_S4_PT5_21rocsparse_index_base_b.private_seg_size, 0
	.set _ZN9rocsparseL21csrmvn_general_kernelILj256ELj16EliaaiiEEvbT2_NS_24const_host_device_scalarIT6_EEPKT1_S7_PKS1_PKT3_PKT4_S4_PT5_21rocsparse_index_base_b.uses_vcc, 1
	.set _ZN9rocsparseL21csrmvn_general_kernelILj256ELj16EliaaiiEEvbT2_NS_24const_host_device_scalarIT6_EEPKT1_S7_PKS1_PKT3_PKT4_S4_PT5_21rocsparse_index_base_b.uses_flat_scratch, 0
	.set _ZN9rocsparseL21csrmvn_general_kernelILj256ELj16EliaaiiEEvbT2_NS_24const_host_device_scalarIT6_EEPKT1_S7_PKS1_PKT3_PKT4_S4_PT5_21rocsparse_index_base_b.has_dyn_sized_stack, 0
	.set _ZN9rocsparseL21csrmvn_general_kernelILj256ELj16EliaaiiEEvbT2_NS_24const_host_device_scalarIT6_EEPKT1_S7_PKS1_PKT3_PKT4_S4_PT5_21rocsparse_index_base_b.has_recursion, 0
	.set _ZN9rocsparseL21csrmvn_general_kernelILj256ELj16EliaaiiEEvbT2_NS_24const_host_device_scalarIT6_EEPKT1_S7_PKS1_PKT3_PKT4_S4_PT5_21rocsparse_index_base_b.has_indirect_call, 0
	.section	.AMDGPU.csdata,"",@progbits
; Kernel info:
; codeLenInByte = 1208
; TotalNumSgprs: 29
; NumVgprs: 35
; ScratchSize: 0
; MemoryBound: 0
; FloatMode: 240
; IeeeMode: 1
; LDSByteSize: 0 bytes/workgroup (compile time only)
; SGPRBlocks: 0
; VGPRBlocks: 2
; NumSGPRsForWavesPerEU: 29
; NumVGPRsForWavesPerEU: 35
; NamedBarCnt: 0
; Occupancy: 16
; WaveLimiterHint : 1
; COMPUTE_PGM_RSRC2:SCRATCH_EN: 0
; COMPUTE_PGM_RSRC2:USER_SGPR: 2
; COMPUTE_PGM_RSRC2:TRAP_HANDLER: 0
; COMPUTE_PGM_RSRC2:TGID_X_EN: 1
; COMPUTE_PGM_RSRC2:TGID_Y_EN: 0
; COMPUTE_PGM_RSRC2:TGID_Z_EN: 0
; COMPUTE_PGM_RSRC2:TIDIG_COMP_CNT: 0
	.section	.text._ZN9rocsparseL21csrmvn_general_kernelILj256ELj32EliaaiiEEvbT2_NS_24const_host_device_scalarIT6_EEPKT1_S7_PKS1_PKT3_PKT4_S4_PT5_21rocsparse_index_base_b,"axG",@progbits,_ZN9rocsparseL21csrmvn_general_kernelILj256ELj32EliaaiiEEvbT2_NS_24const_host_device_scalarIT6_EEPKT1_S7_PKS1_PKT3_PKT4_S4_PT5_21rocsparse_index_base_b,comdat
	.globl	_ZN9rocsparseL21csrmvn_general_kernelILj256ELj32EliaaiiEEvbT2_NS_24const_host_device_scalarIT6_EEPKT1_S7_PKS1_PKT3_PKT4_S4_PT5_21rocsparse_index_base_b ; -- Begin function _ZN9rocsparseL21csrmvn_general_kernelILj256ELj32EliaaiiEEvbT2_NS_24const_host_device_scalarIT6_EEPKT1_S7_PKS1_PKT3_PKT4_S4_PT5_21rocsparse_index_base_b
	.p2align	8
	.type	_ZN9rocsparseL21csrmvn_general_kernelILj256ELj32EliaaiiEEvbT2_NS_24const_host_device_scalarIT6_EEPKT1_S7_PKS1_PKT3_PKT4_S4_PT5_21rocsparse_index_base_b,@function
_ZN9rocsparseL21csrmvn_general_kernelILj256ELj32EliaaiiEEvbT2_NS_24const_host_device_scalarIT6_EEPKT1_S7_PKS1_PKT3_PKT4_S4_PT5_21rocsparse_index_base_b: ; @_ZN9rocsparseL21csrmvn_general_kernelILj256ELj32EliaaiiEEvbT2_NS_24const_host_device_scalarIT6_EEPKT1_S7_PKS1_PKT3_PKT4_S4_PT5_21rocsparse_index_base_b
; %bb.0:
	s_clause 0x1
	s_load_b64 s[2:3], s[0:1], 0x48
	s_load_b128 s[12:15], s[0:1], 0x8
	s_mov_b32 s6, -1
                                        ; implicit-def: $sgpr18
	s_wait_kmcnt 0x0
	s_bitcmp1_b32 s3, 0
	s_cselect_b32 s3, -1, 0
	s_delay_alu instid0(SALU_CYCLE_1) | instskip(NEXT) | instid1(SALU_CYCLE_1)
	s_xor_b32 s3, s3, -1
	s_and_b32 vcc_lo, exec_lo, s3
	s_cbranch_vccnz .LBB147_4
; %bb.1:
	s_load_b64 s[4:5], s[0:1], 0x38
	s_and_not1_b32 vcc_lo, exec_lo, s6
	s_cbranch_vccz .LBB147_5
.LBB147_2:
	s_and_b32 vcc_lo, exec_lo, s3
	s_cbranch_vccz .LBB147_6
.LBB147_3:
	s_wait_kmcnt 0x0
	s_load_b32 s19, s[4:5], 0x0
	s_cbranch_execz .LBB147_7
	s_branch .LBB147_8
.LBB147_4:
	s_load_b32 s18, s[12:13], 0x0
	s_load_b64 s[4:5], s[0:1], 0x38
	s_cbranch_execnz .LBB147_2
.LBB147_5:
	s_wait_kmcnt 0x0
	s_mov_b32 s18, s12
	s_and_b32 vcc_lo, exec_lo, s3
	s_cbranch_vccnz .LBB147_3
.LBB147_6:
                                        ; implicit-def: $sgpr19
.LBB147_7:
	s_wait_kmcnt 0x0
	s_mov_b32 s19, s4
.LBB147_8:
	s_wait_kmcnt 0x0
	s_cmp_lg_u32 s18, 0
	s_cselect_b32 s3, -1, 0
	s_cmp_lg_u32 s19, 1
	s_cselect_b32 s4, -1, 0
	s_delay_alu instid0(SALU_CYCLE_1) | instskip(NEXT) | instid1(SALU_CYCLE_1)
	s_or_b32 s3, s3, s4
	s_and_not1_b32 vcc_lo, exec_lo, s3
	s_cbranch_vccnz .LBB147_26
; %bb.9:
	s_bfe_u32 s3, ttmp6, 0x4000c
	s_load_b32 s20, s[0:1], 0x4
	s_add_co_i32 s3, s3, 1
	s_and_b32 s4, ttmp6, 15
	s_mul_i32 s3, ttmp9, s3
	s_getreg_b32 s5, hwreg(HW_REG_IB_STS2, 6, 4)
	s_add_co_i32 s4, s4, s3
	s_cmp_eq_u32 s5, 0
	s_cselect_b32 s3, ttmp9, s4
	s_delay_alu instid0(SALU_CYCLE_1) | instskip(SKIP_1) | instid1(VALU_DEP_1)
	v_lshl_or_b32 v1, s3, 8, v0
	s_mov_b32 s3, exec_lo
	v_lshrrev_b32_e32 v2, 5, v1
	s_wait_kmcnt 0x0
	s_delay_alu instid0(VALU_DEP_1)
	v_cmpx_gt_i32_e64 s20, v2
	s_cbranch_execz .LBB147_26
; %bb.10:
	v_mbcnt_lo_u32_b32 v3, -1, 0
	s_clause 0x2
	s_load_b32 s21, s[0:1], 0x50
	s_load_b64 s[12:13], s[0:1], 0x40
	s_load_b256 s[4:11], s[0:1], 0x18
	v_dual_mov_b32 v7, 0 :: v_dual_bitop2_b32 v6, 31, v0 bitop3:0x40
	s_mov_b32 s3, 0
	v_xor_b32_e32 v5, 8, v3
	v_xor_b32_e32 v4, 16, v3
	;; [unrolled: 1-line block ×5, first 2 shown]
	v_sub_nc_u64_e64 v[0:1], v[6:7], s[2:3]
	v_cmp_gt_i32_e32 vcc_lo, 32, v4
	s_wait_xcnt 0x0
	s_ashr_i32 s1, s2, 31
	s_mov_b32 s0, s2
	s_mov_b32 s22, s18
	s_sub_nc_u64 s[16:17], 0, s[0:1]
	v_cndmask_b32_e32 v4, v3, v4, vcc_lo
	v_cmp_gt_i32_e32 vcc_lo, 32, v5
	v_cmp_eq_u32_e64 s0, 31, v6
	s_wait_kmcnt 0x0
	s_lshl_b32 s1, s21, 3
	s_cmp_lg_u32 s19, 0
	s_add_nc_u64 s[10:11], s[10:11], s[16:17]
	v_cndmask_b32_e32 v5, v3, v5, vcc_lo
	v_cmp_gt_i32_e32 vcc_lo, 32, v8
	v_lshlrev_b32_e32 v24, 2, v4
	v_not_b32_e32 v4, v6
	s_cselect_b32 s21, -1, 0
	v_dual_cndmask_b32 v8, v3, v8 :: v_dual_lshlrev_b32 v25, 2, v5
	v_cmp_gt_i32_e32 vcc_lo, 32, v9
	v_mov_b32_e32 v5, -1
	s_add_nc_u64 s[16:17], s[6:7], 0x80
	s_mov_b32 s23, s3
	v_cndmask_b32_e32 v9, v3, v9, vcc_lo
	v_cmp_gt_i32_e32 vcc_lo, 32, v10
	v_lshlrev_b32_e32 v26, 2, v8
	v_add_nc_u64_e32 v[4:5], s[2:3], v[4:5]
	s_delay_alu instid0(VALU_DEP_4) | instskip(SKIP_2) | instid1(VALU_DEP_1)
	v_lshlrev_b32_e32 v27, 2, v9
	v_add_nc_u64_e32 v[8:9], s[8:9], v[0:1]
	v_cndmask_b32_e32 v3, v3, v10, vcc_lo
	v_dual_lshlrev_b32 v28, 2, v3 :: v_dual_bitop2_b32 v6, 32, v6 bitop3:0x54
	s_delay_alu instid0(VALU_DEP_1) | instskip(NEXT) | instid1(VALU_DEP_4)
	v_sub_nc_u64_e64 v[6:7], v[6:7], s[2:3]
	v_add_nc_u64_e32 v[8:9], 32, v[8:9]
	s_branch .LBB147_13
.LBB147_11:                             ;   in Loop: Header=BB147_13 Depth=1
	global_store_b32 v[10:11], v12, off
.LBB147_12:                             ;   in Loop: Header=BB147_13 Depth=1
	s_wait_xcnt 0x0
	s_or_b32 exec_lo, exec_lo, s24
	v_add_nc_u32_e32 v2, s1, v2
	s_delay_alu instid0(VALU_DEP_1) | instskip(SKIP_1) | instid1(SALU_CYCLE_1)
	v_cmp_le_i32_e32 vcc_lo, s20, v2
	s_or_b32 s23, vcc_lo, s23
	s_and_not1_b32 exec_lo, exec_lo, s23
	s_cbranch_execz .LBB147_26
.LBB147_13:                             ; =>This Loop Header: Depth=1
                                        ;     Child Loop BB147_16 Depth 2
                                        ;     Child Loop BB147_20 Depth 2
	s_wait_dscnt 0x0
	s_clause 0x1
	global_load_b64 v[10:11], v2, s[4:5] scale_offset
	global_load_b64 v[18:19], v2, s[14:15] scale_offset
	v_mov_b32_e32 v3, 0
	s_mov_b32 s24, exec_lo
	s_wait_loadcnt 0x1
	v_sub_nc_u64_e64 v[10:11], v[10:11], s[2:3]
	s_wait_loadcnt 0x0
	v_add_nc_u64_e32 v[12:13], v[18:19], v[0:1]
	s_wait_xcnt 0x0
	s_delay_alu instid0(VALU_DEP_1)
	v_cmpx_lt_i64_e64 v[12:13], v[10:11]
	s_cbranch_execz .LBB147_23
; %bb.14:                               ;   in Loop: Header=BB147_13 Depth=1
	v_add_nc_u64_e32 v[14:15], v[6:7], v[18:19]
	v_mov_b32_e32 v3, 0
	s_mov_b32 s26, -1
	s_mov_b32 s25, exec_lo
	s_delay_alu instid0(VALU_DEP_2) | instskip(NEXT) | instid1(VALU_DEP_1)
	v_max_i64 v[14:15], v[14:15], v[10:11]
	v_add_nc_u64_e32 v[14:15], v[4:5], v[14:15]
	s_delay_alu instid0(VALU_DEP_1) | instskip(NEXT) | instid1(VALU_DEP_1)
	v_sub_nc_u64_e32 v[14:15], v[14:15], v[18:19]
	v_cmpx_lt_u64_e32 31, v[14:15]
	s_cbranch_execz .LBB147_18
; %bb.15:                               ;   in Loop: Header=BB147_13 Depth=1
	v_lshrrev_b64 v[14:15], 5, v[14:15]
	v_add_nc_u64_e32 v[18:19], v[8:9], v[18:19]
	v_lshl_add_u64 v[20:21], v[12:13], 2, s[16:17]
	v_dual_mov_b32 v3, 0 :: v_dual_mov_b32 v29, 0
	s_mov_b32 s26, 0
	s_delay_alu instid0(VALU_DEP_4) | instskip(NEXT) | instid1(VALU_DEP_1)
	v_add_nc_u64_e32 v[14:15], 1, v[14:15]
	v_dual_mov_b32 v17, v15 :: v_dual_bitop2_b32 v16, -2, v14 bitop3:0x40
	s_delay_alu instid0(VALU_DEP_1)
	v_mov_b64_e32 v[22:23], v[16:17]
.LBB147_16:                             ;   Parent Loop BB147_13 Depth=1
                                        ; =>  This Inner Loop Header: Depth=2
	s_clause 0x1
	global_load_b32 v30, v[20:21], off
	global_load_b32 v31, v[20:21], off offset:-128
	s_clause 0x1
	global_load_i8 v32, v[18:19], off
	global_load_i8 v33, v[18:19], off offset:-32
	v_add_nc_u64_e32 v[22:23], -2, v[22:23]
	s_wait_xcnt 0x0
	v_add_nc_u64_e32 v[18:19], 64, v[18:19]
	v_add_nc_u64_e32 v[20:21], 0x100, v[20:21]
	s_wait_loadcnt 0x3
	global_load_i8 v34, v30, s[10:11]
	s_wait_loadcnt 0x3
	global_load_i8 v35, v31, s[10:11]
	s_wait_loadcnt 0x3
	s_wait_xcnt 0x1
	v_mul_lo_u32 v30, s22, v32
	s_wait_loadcnt 0x2
	s_wait_xcnt 0x0
	v_mul_lo_u32 v31, s18, v33
	v_cmp_eq_u64_e32 vcc_lo, 0, v[22:23]
	s_or_b32 s26, vcc_lo, s26
	s_wait_loadcnt 0x1
	s_delay_alu instid0(VALU_DEP_3) | instskip(SKIP_1) | instid1(VALU_DEP_3)
	v_mad_u32 v29, v30, v34, v29
	s_wait_loadcnt 0x0
	v_mad_u32 v3, v31, v35, v3
	s_and_not1_b32 exec_lo, exec_lo, s26
	s_cbranch_execnz .LBB147_16
; %bb.17:                               ;   in Loop: Header=BB147_13 Depth=1
	s_or_b32 exec_lo, exec_lo, s26
	v_lshlrev_b64_e32 v[18:19], 5, v[16:17]
	v_cmp_ne_u64_e32 vcc_lo, v[14:15], v[16:17]
	s_delay_alu instid0(VALU_DEP_3) | instskip(NEXT) | instid1(VALU_DEP_3)
	v_add_nc_u32_e32 v3, v3, v29
	v_add_nc_u64_e32 v[12:13], v[12:13], v[18:19]
	s_or_not1_b32 s26, vcc_lo, exec_lo
.LBB147_18:                             ;   in Loop: Header=BB147_13 Depth=1
	s_or_b32 exec_lo, exec_lo, s25
	s_and_saveexec_b32 s25, s26
	s_cbranch_execz .LBB147_22
; %bb.19:                               ;   in Loop: Header=BB147_13 Depth=1
	s_delay_alu instid0(VALU_DEP_1)
	v_lshl_add_u64 v[14:15], v[12:13], 2, s[6:7]
	s_mov_b32 s26, 0
.LBB147_20:                             ;   Parent Loop BB147_13 Depth=1
                                        ; =>  This Inner Loop Header: Depth=2
	global_load_b32 v18, v[14:15], off
	v_add_nc_u64_e32 v[16:17], s[8:9], v[12:13]
	v_add_nc_u64_e32 v[12:13], 32, v[12:13]
	s_wait_xcnt 0x0
	v_add_nc_u64_e32 v[14:15], 0x80, v[14:15]
	global_load_i8 v19, v[16:17], off
	s_wait_loadcnt 0x1
	global_load_i8 v20, v18, s[10:11]
	v_cmp_ge_i64_e32 vcc_lo, v[12:13], v[10:11]
	s_or_b32 s26, vcc_lo, s26
	s_wait_loadcnt 0x1
	s_wait_xcnt 0x1
	v_mul_lo_u32 v16, s18, v19
	s_wait_loadcnt 0x0
	s_delay_alu instid0(VALU_DEP_1)
	v_mad_u32 v3, v16, v20, v3
	s_wait_xcnt 0x0
	s_and_not1_b32 exec_lo, exec_lo, s26
	s_cbranch_execnz .LBB147_20
; %bb.21:                               ;   in Loop: Header=BB147_13 Depth=1
	s_or_b32 exec_lo, exec_lo, s26
.LBB147_22:                             ;   in Loop: Header=BB147_13 Depth=1
	s_delay_alu instid0(SALU_CYCLE_1)
	s_or_b32 exec_lo, exec_lo, s25
.LBB147_23:                             ;   in Loop: Header=BB147_13 Depth=1
	s_delay_alu instid0(SALU_CYCLE_1)
	s_or_b32 exec_lo, exec_lo, s24
	ds_bpermute_b32 v10, v24, v3
	s_wait_dscnt 0x0
	v_add_nc_u32_e32 v3, v10, v3
	ds_bpermute_b32 v10, v25, v3
	s_wait_dscnt 0x0
	v_add_nc_u32_e32 v3, v10, v3
	;; [unrolled: 3-line block ×3, first 2 shown]
	ds_bpermute_b32 v10, v27, v3
	s_wait_dscnt 0x0
	v_dual_add_nc_u32 v10, v10, v3 :: v_dual_ashrrev_i32 v3, 31, v2
	ds_bpermute_b32 v11, v28, v10
	s_and_saveexec_b32 s24, s0
	s_cbranch_execz .LBB147_12
; %bb.24:                               ;   in Loop: Header=BB147_13 Depth=1
	s_wait_dscnt 0x0
	v_add_nc_u32_e32 v12, v11, v10
	v_lshl_add_u64 v[10:11], v[2:3], 2, s[12:13]
	s_and_not1_b32 vcc_lo, exec_lo, s21
	s_cbranch_vccnz .LBB147_11
; %bb.25:                               ;   in Loop: Header=BB147_13 Depth=1
	global_load_b32 v3, v[10:11], off
	s_wait_loadcnt 0x0
	v_mad_u32 v12, v3, s19, v12
	s_branch .LBB147_11
.LBB147_26:
	s_endpgm
	.section	.rodata,"a",@progbits
	.p2align	6, 0x0
	.amdhsa_kernel _ZN9rocsparseL21csrmvn_general_kernelILj256ELj32EliaaiiEEvbT2_NS_24const_host_device_scalarIT6_EEPKT1_S7_PKS1_PKT3_PKT4_S4_PT5_21rocsparse_index_base_b
		.amdhsa_group_segment_fixed_size 0
		.amdhsa_private_segment_fixed_size 0
		.amdhsa_kernarg_size 336
		.amdhsa_user_sgpr_count 2
		.amdhsa_user_sgpr_dispatch_ptr 0
		.amdhsa_user_sgpr_queue_ptr 0
		.amdhsa_user_sgpr_kernarg_segment_ptr 1
		.amdhsa_user_sgpr_dispatch_id 0
		.amdhsa_user_sgpr_kernarg_preload_length 0
		.amdhsa_user_sgpr_kernarg_preload_offset 0
		.amdhsa_user_sgpr_private_segment_size 0
		.amdhsa_wavefront_size32 1
		.amdhsa_uses_dynamic_stack 0
		.amdhsa_enable_private_segment 0
		.amdhsa_system_sgpr_workgroup_id_x 1
		.amdhsa_system_sgpr_workgroup_id_y 0
		.amdhsa_system_sgpr_workgroup_id_z 0
		.amdhsa_system_sgpr_workgroup_info 0
		.amdhsa_system_vgpr_workitem_id 0
		.amdhsa_next_free_vgpr 36
		.amdhsa_next_free_sgpr 27
		.amdhsa_named_barrier_count 0
		.amdhsa_reserve_vcc 1
		.amdhsa_float_round_mode_32 0
		.amdhsa_float_round_mode_16_64 0
		.amdhsa_float_denorm_mode_32 3
		.amdhsa_float_denorm_mode_16_64 3
		.amdhsa_fp16_overflow 0
		.amdhsa_memory_ordered 1
		.amdhsa_forward_progress 1
		.amdhsa_inst_pref_size 10
		.amdhsa_round_robin_scheduling 0
		.amdhsa_exception_fp_ieee_invalid_op 0
		.amdhsa_exception_fp_denorm_src 0
		.amdhsa_exception_fp_ieee_div_zero 0
		.amdhsa_exception_fp_ieee_overflow 0
		.amdhsa_exception_fp_ieee_underflow 0
		.amdhsa_exception_fp_ieee_inexact 0
		.amdhsa_exception_int_div_zero 0
	.end_amdhsa_kernel
	.section	.text._ZN9rocsparseL21csrmvn_general_kernelILj256ELj32EliaaiiEEvbT2_NS_24const_host_device_scalarIT6_EEPKT1_S7_PKS1_PKT3_PKT4_S4_PT5_21rocsparse_index_base_b,"axG",@progbits,_ZN9rocsparseL21csrmvn_general_kernelILj256ELj32EliaaiiEEvbT2_NS_24const_host_device_scalarIT6_EEPKT1_S7_PKS1_PKT3_PKT4_S4_PT5_21rocsparse_index_base_b,comdat
.Lfunc_end147:
	.size	_ZN9rocsparseL21csrmvn_general_kernelILj256ELj32EliaaiiEEvbT2_NS_24const_host_device_scalarIT6_EEPKT1_S7_PKS1_PKT3_PKT4_S4_PT5_21rocsparse_index_base_b, .Lfunc_end147-_ZN9rocsparseL21csrmvn_general_kernelILj256ELj32EliaaiiEEvbT2_NS_24const_host_device_scalarIT6_EEPKT1_S7_PKS1_PKT3_PKT4_S4_PT5_21rocsparse_index_base_b
                                        ; -- End function
	.set _ZN9rocsparseL21csrmvn_general_kernelILj256ELj32EliaaiiEEvbT2_NS_24const_host_device_scalarIT6_EEPKT1_S7_PKS1_PKT3_PKT4_S4_PT5_21rocsparse_index_base_b.num_vgpr, 36
	.set _ZN9rocsparseL21csrmvn_general_kernelILj256ELj32EliaaiiEEvbT2_NS_24const_host_device_scalarIT6_EEPKT1_S7_PKS1_PKT3_PKT4_S4_PT5_21rocsparse_index_base_b.num_agpr, 0
	.set _ZN9rocsparseL21csrmvn_general_kernelILj256ELj32EliaaiiEEvbT2_NS_24const_host_device_scalarIT6_EEPKT1_S7_PKS1_PKT3_PKT4_S4_PT5_21rocsparse_index_base_b.numbered_sgpr, 27
	.set _ZN9rocsparseL21csrmvn_general_kernelILj256ELj32EliaaiiEEvbT2_NS_24const_host_device_scalarIT6_EEPKT1_S7_PKS1_PKT3_PKT4_S4_PT5_21rocsparse_index_base_b.num_named_barrier, 0
	.set _ZN9rocsparseL21csrmvn_general_kernelILj256ELj32EliaaiiEEvbT2_NS_24const_host_device_scalarIT6_EEPKT1_S7_PKS1_PKT3_PKT4_S4_PT5_21rocsparse_index_base_b.private_seg_size, 0
	.set _ZN9rocsparseL21csrmvn_general_kernelILj256ELj32EliaaiiEEvbT2_NS_24const_host_device_scalarIT6_EEPKT1_S7_PKS1_PKT3_PKT4_S4_PT5_21rocsparse_index_base_b.uses_vcc, 1
	.set _ZN9rocsparseL21csrmvn_general_kernelILj256ELj32EliaaiiEEvbT2_NS_24const_host_device_scalarIT6_EEPKT1_S7_PKS1_PKT3_PKT4_S4_PT5_21rocsparse_index_base_b.uses_flat_scratch, 0
	.set _ZN9rocsparseL21csrmvn_general_kernelILj256ELj32EliaaiiEEvbT2_NS_24const_host_device_scalarIT6_EEPKT1_S7_PKS1_PKT3_PKT4_S4_PT5_21rocsparse_index_base_b.has_dyn_sized_stack, 0
	.set _ZN9rocsparseL21csrmvn_general_kernelILj256ELj32EliaaiiEEvbT2_NS_24const_host_device_scalarIT6_EEPKT1_S7_PKS1_PKT3_PKT4_S4_PT5_21rocsparse_index_base_b.has_recursion, 0
	.set _ZN9rocsparseL21csrmvn_general_kernelILj256ELj32EliaaiiEEvbT2_NS_24const_host_device_scalarIT6_EEPKT1_S7_PKS1_PKT3_PKT4_S4_PT5_21rocsparse_index_base_b.has_indirect_call, 0
	.section	.AMDGPU.csdata,"",@progbits
; Kernel info:
; codeLenInByte = 1260
; TotalNumSgprs: 29
; NumVgprs: 36
; ScratchSize: 0
; MemoryBound: 0
; FloatMode: 240
; IeeeMode: 1
; LDSByteSize: 0 bytes/workgroup (compile time only)
; SGPRBlocks: 0
; VGPRBlocks: 2
; NumSGPRsForWavesPerEU: 29
; NumVGPRsForWavesPerEU: 36
; NamedBarCnt: 0
; Occupancy: 16
; WaveLimiterHint : 1
; COMPUTE_PGM_RSRC2:SCRATCH_EN: 0
; COMPUTE_PGM_RSRC2:USER_SGPR: 2
; COMPUTE_PGM_RSRC2:TRAP_HANDLER: 0
; COMPUTE_PGM_RSRC2:TGID_X_EN: 1
; COMPUTE_PGM_RSRC2:TGID_Y_EN: 0
; COMPUTE_PGM_RSRC2:TGID_Z_EN: 0
; COMPUTE_PGM_RSRC2:TIDIG_COMP_CNT: 0
	.section	.text._ZN9rocsparseL21csrmvn_general_kernelILj256ELj64EliaaiiEEvbT2_NS_24const_host_device_scalarIT6_EEPKT1_S7_PKS1_PKT3_PKT4_S4_PT5_21rocsparse_index_base_b,"axG",@progbits,_ZN9rocsparseL21csrmvn_general_kernelILj256ELj64EliaaiiEEvbT2_NS_24const_host_device_scalarIT6_EEPKT1_S7_PKS1_PKT3_PKT4_S4_PT5_21rocsparse_index_base_b,comdat
	.globl	_ZN9rocsparseL21csrmvn_general_kernelILj256ELj64EliaaiiEEvbT2_NS_24const_host_device_scalarIT6_EEPKT1_S7_PKS1_PKT3_PKT4_S4_PT5_21rocsparse_index_base_b ; -- Begin function _ZN9rocsparseL21csrmvn_general_kernelILj256ELj64EliaaiiEEvbT2_NS_24const_host_device_scalarIT6_EEPKT1_S7_PKS1_PKT3_PKT4_S4_PT5_21rocsparse_index_base_b
	.p2align	8
	.type	_ZN9rocsparseL21csrmvn_general_kernelILj256ELj64EliaaiiEEvbT2_NS_24const_host_device_scalarIT6_EEPKT1_S7_PKS1_PKT3_PKT4_S4_PT5_21rocsparse_index_base_b,@function
_ZN9rocsparseL21csrmvn_general_kernelILj256ELj64EliaaiiEEvbT2_NS_24const_host_device_scalarIT6_EEPKT1_S7_PKS1_PKT3_PKT4_S4_PT5_21rocsparse_index_base_b: ; @_ZN9rocsparseL21csrmvn_general_kernelILj256ELj64EliaaiiEEvbT2_NS_24const_host_device_scalarIT6_EEPKT1_S7_PKS1_PKT3_PKT4_S4_PT5_21rocsparse_index_base_b
; %bb.0:
	s_clause 0x1
	s_load_b64 s[2:3], s[0:1], 0x48
	s_load_b128 s[12:15], s[0:1], 0x8
	s_mov_b32 s6, -1
                                        ; implicit-def: $sgpr18
	s_wait_kmcnt 0x0
	s_bitcmp1_b32 s3, 0
	s_cselect_b32 s3, -1, 0
	s_delay_alu instid0(SALU_CYCLE_1) | instskip(NEXT) | instid1(SALU_CYCLE_1)
	s_xor_b32 s3, s3, -1
	s_and_b32 vcc_lo, exec_lo, s3
	s_cbranch_vccnz .LBB148_4
; %bb.1:
	s_load_b64 s[4:5], s[0:1], 0x38
	s_and_not1_b32 vcc_lo, exec_lo, s6
	s_cbranch_vccz .LBB148_5
.LBB148_2:
	s_and_b32 vcc_lo, exec_lo, s3
	s_cbranch_vccz .LBB148_6
.LBB148_3:
	s_wait_kmcnt 0x0
	s_load_b32 s19, s[4:5], 0x0
	s_cbranch_execz .LBB148_7
	s_branch .LBB148_8
.LBB148_4:
	s_load_b32 s18, s[12:13], 0x0
	s_load_b64 s[4:5], s[0:1], 0x38
	s_cbranch_execnz .LBB148_2
.LBB148_5:
	s_wait_kmcnt 0x0
	s_mov_b32 s18, s12
	s_and_b32 vcc_lo, exec_lo, s3
	s_cbranch_vccnz .LBB148_3
.LBB148_6:
                                        ; implicit-def: $sgpr19
.LBB148_7:
	s_wait_kmcnt 0x0
	s_mov_b32 s19, s4
.LBB148_8:
	s_wait_kmcnt 0x0
	s_cmp_lg_u32 s18, 0
	s_cselect_b32 s3, -1, 0
	s_cmp_lg_u32 s19, 1
	s_cselect_b32 s4, -1, 0
	s_delay_alu instid0(SALU_CYCLE_1) | instskip(NEXT) | instid1(SALU_CYCLE_1)
	s_or_b32 s3, s3, s4
	s_and_not1_b32 vcc_lo, exec_lo, s3
	s_cbranch_vccnz .LBB148_26
; %bb.9:
	s_bfe_u32 s3, ttmp6, 0x4000c
	s_load_b32 s20, s[0:1], 0x4
	s_add_co_i32 s3, s3, 1
	s_and_b32 s4, ttmp6, 15
	s_mul_i32 s3, ttmp9, s3
	s_getreg_b32 s5, hwreg(HW_REG_IB_STS2, 6, 4)
	s_add_co_i32 s4, s4, s3
	s_cmp_eq_u32 s5, 0
	s_cselect_b32 s3, ttmp9, s4
	s_delay_alu instid0(SALU_CYCLE_1) | instskip(SKIP_1) | instid1(VALU_DEP_1)
	v_lshl_or_b32 v1, s3, 8, v0
	s_mov_b32 s3, exec_lo
	v_lshrrev_b32_e32 v2, 6, v1
	s_wait_kmcnt 0x0
	s_delay_alu instid0(VALU_DEP_1)
	v_cmpx_gt_i32_e64 s20, v2
	s_cbranch_execz .LBB148_26
; %bb.10:
	v_mbcnt_lo_u32_b32 v3, -1, 0
	s_clause 0x2
	s_load_b32 s21, s[0:1], 0x50
	s_load_b256 s[4:11], s[0:1], 0x18
	s_load_b64 s[12:13], s[0:1], 0x40
	v_dual_mov_b32 v7, 0 :: v_dual_bitop2_b32 v6, 63, v0 bitop3:0x40
	s_mov_b32 s3, 0
	v_xor_b32_e32 v5, 16, v3
	v_or_b32_e32 v4, 32, v3
	v_xor_b32_e32 v9, 4, v3
	v_xor_b32_e32 v8, 8, v3
	v_sub_nc_u64_e64 v[0:1], v[6:7], s[2:3]
	s_wait_xcnt 0x0
	s_ashr_i32 s1, s2, 31
	v_cmp_gt_i32_e32 vcc_lo, 32, v4
	s_mov_b32 s0, s2
	s_mov_b32 s22, s18
	s_sub_nc_u64 s[16:17], 0, s[0:1]
	v_cmp_eq_u32_e64 s0, 63, v6
	v_cndmask_b32_e32 v4, v3, v4, vcc_lo
	v_cmp_gt_i32_e32 vcc_lo, 32, v5
	v_xor_b32_e32 v10, 2, v3
	s_wait_kmcnt 0x0
	s_lshl_b32 s1, s21, 2
	s_cmp_lg_u32 s19, 0
	v_dual_cndmask_b32 v5, v3, v5 :: v_dual_lshlrev_b32 v24, 2, v4
	v_cmp_gt_i32_e32 vcc_lo, 32, v8
	v_not_b32_e32 v4, v6
	s_add_nc_u64 s[10:11], s[10:11], s[16:17]
	s_cselect_b32 s21, -1, 0
	s_add_nc_u64 s[16:17], s[6:7], 0x100
	v_cndmask_b32_e32 v8, v3, v8, vcc_lo
	v_cmp_gt_i32_e32 vcc_lo, 32, v9
	s_mov_b32 s23, s3
	v_dual_lshlrev_b32 v25, 2, v5 :: v_dual_mov_b32 v5, -1
	v_dual_cndmask_b32 v9, v3, v9, vcc_lo :: v_dual_bitop2_b32 v6, 64, v6 bitop3:0x54
	v_cmp_gt_i32_e32 vcc_lo, 32, v10
	v_lshlrev_b32_e32 v26, 2, v8
	s_delay_alu instid0(VALU_DEP_4) | instskip(NEXT) | instid1(VALU_DEP_4)
	v_add_nc_u64_e32 v[4:5], s[2:3], v[4:5]
	v_sub_nc_u64_e64 v[6:7], v[6:7], s[2:3]
	v_dual_cndmask_b32 v10, v3, v10 :: v_dual_lshlrev_b32 v27, 2, v9
	v_add_nc_u64_e32 v[8:9], s[8:9], v[0:1]
	s_delay_alu instid0(VALU_DEP_2) | instskip(NEXT) | instid1(VALU_DEP_2)
	v_dual_lshlrev_b32 v28, 2, v10 :: v_dual_bitop2_b32 v10, 1, v3 bitop3:0x14
	v_add_nc_u64_e32 v[8:9], 64, v[8:9]
	s_delay_alu instid0(VALU_DEP_2) | instskip(SKIP_1) | instid1(VALU_DEP_1)
	v_cmp_gt_i32_e32 vcc_lo, 32, v10
	v_cndmask_b32_e32 v3, v3, v10, vcc_lo
	v_lshlrev_b32_e32 v29, 2, v3
	s_branch .LBB148_13
.LBB148_11:                             ;   in Loop: Header=BB148_13 Depth=1
	global_store_b32 v[10:11], v12, off
.LBB148_12:                             ;   in Loop: Header=BB148_13 Depth=1
	s_wait_xcnt 0x0
	s_or_b32 exec_lo, exec_lo, s24
	v_add_nc_u32_e32 v2, s1, v2
	s_delay_alu instid0(VALU_DEP_1) | instskip(SKIP_1) | instid1(SALU_CYCLE_1)
	v_cmp_le_i32_e32 vcc_lo, s20, v2
	s_or_b32 s23, vcc_lo, s23
	s_and_not1_b32 exec_lo, exec_lo, s23
	s_cbranch_execz .LBB148_26
.LBB148_13:                             ; =>This Loop Header: Depth=1
                                        ;     Child Loop BB148_16 Depth 2
                                        ;     Child Loop BB148_20 Depth 2
	s_wait_dscnt 0x0
	s_clause 0x1
	global_load_b64 v[10:11], v2, s[4:5] scale_offset
	global_load_b64 v[18:19], v2, s[14:15] scale_offset
	v_mov_b32_e32 v3, 0
	s_mov_b32 s24, exec_lo
	s_wait_loadcnt 0x1
	v_sub_nc_u64_e64 v[10:11], v[10:11], s[2:3]
	s_wait_loadcnt 0x0
	v_add_nc_u64_e32 v[12:13], v[18:19], v[0:1]
	s_wait_xcnt 0x0
	s_delay_alu instid0(VALU_DEP_1)
	v_cmpx_lt_i64_e64 v[12:13], v[10:11]
	s_cbranch_execz .LBB148_23
; %bb.14:                               ;   in Loop: Header=BB148_13 Depth=1
	v_add_nc_u64_e32 v[14:15], v[6:7], v[18:19]
	v_mov_b32_e32 v3, 0
	s_mov_b32 s26, -1
	s_mov_b32 s25, exec_lo
	s_delay_alu instid0(VALU_DEP_2) | instskip(NEXT) | instid1(VALU_DEP_1)
	v_max_i64 v[14:15], v[14:15], v[10:11]
	v_add_nc_u64_e32 v[14:15], v[4:5], v[14:15]
	s_delay_alu instid0(VALU_DEP_1) | instskip(NEXT) | instid1(VALU_DEP_1)
	v_sub_nc_u64_e32 v[14:15], v[14:15], v[18:19]
	v_cmpx_lt_u64_e32 63, v[14:15]
	s_cbranch_execz .LBB148_18
; %bb.15:                               ;   in Loop: Header=BB148_13 Depth=1
	v_lshrrev_b64 v[14:15], 6, v[14:15]
	v_add_nc_u64_e32 v[18:19], v[8:9], v[18:19]
	v_lshl_add_u64 v[20:21], v[12:13], 2, s[16:17]
	v_dual_mov_b32 v3, 0 :: v_dual_mov_b32 v30, 0
	s_mov_b32 s26, 0
	s_delay_alu instid0(VALU_DEP_4) | instskip(NEXT) | instid1(VALU_DEP_1)
	v_add_nc_u64_e32 v[14:15], 1, v[14:15]
	v_dual_mov_b32 v17, v15 :: v_dual_bitop2_b32 v16, -2, v14 bitop3:0x40
	s_delay_alu instid0(VALU_DEP_1)
	v_mov_b64_e32 v[22:23], v[16:17]
.LBB148_16:                             ;   Parent Loop BB148_13 Depth=1
                                        ; =>  This Inner Loop Header: Depth=2
	s_clause 0x1
	global_load_b32 v31, v[20:21], off
	global_load_b32 v32, v[20:21], off offset:-256
	s_clause 0x1
	global_load_i8 v33, v[18:19], off
	global_load_i8 v34, v[18:19], off offset:-64
	v_add_nc_u64_e32 v[22:23], -2, v[22:23]
	s_wait_xcnt 0x0
	v_add_nc_u64_e32 v[18:19], 0x80, v[18:19]
	v_add_nc_u64_e32 v[20:21], 0x200, v[20:21]
	s_wait_loadcnt 0x3
	global_load_i8 v35, v31, s[10:11]
	s_wait_loadcnt 0x3
	global_load_i8 v36, v32, s[10:11]
	s_wait_loadcnt 0x3
	s_wait_xcnt 0x1
	v_mul_lo_u32 v31, s22, v33
	s_wait_loadcnt 0x2
	s_wait_xcnt 0x0
	v_mul_lo_u32 v32, s18, v34
	v_cmp_eq_u64_e32 vcc_lo, 0, v[22:23]
	s_or_b32 s26, vcc_lo, s26
	s_wait_loadcnt 0x1
	s_delay_alu instid0(VALU_DEP_3) | instskip(SKIP_1) | instid1(VALU_DEP_3)
	v_mad_u32 v30, v31, v35, v30
	s_wait_loadcnt 0x0
	v_mad_u32 v3, v32, v36, v3
	s_and_not1_b32 exec_lo, exec_lo, s26
	s_cbranch_execnz .LBB148_16
; %bb.17:                               ;   in Loop: Header=BB148_13 Depth=1
	s_or_b32 exec_lo, exec_lo, s26
	v_lshlrev_b64_e32 v[18:19], 6, v[16:17]
	v_cmp_ne_u64_e32 vcc_lo, v[14:15], v[16:17]
	s_delay_alu instid0(VALU_DEP_3) | instskip(NEXT) | instid1(VALU_DEP_3)
	v_add_nc_u32_e32 v3, v3, v30
	v_add_nc_u64_e32 v[12:13], v[12:13], v[18:19]
	s_or_not1_b32 s26, vcc_lo, exec_lo
.LBB148_18:                             ;   in Loop: Header=BB148_13 Depth=1
	s_or_b32 exec_lo, exec_lo, s25
	s_and_saveexec_b32 s25, s26
	s_cbranch_execz .LBB148_22
; %bb.19:                               ;   in Loop: Header=BB148_13 Depth=1
	s_delay_alu instid0(VALU_DEP_1)
	v_lshl_add_u64 v[14:15], v[12:13], 2, s[6:7]
	s_mov_b32 s26, 0
.LBB148_20:                             ;   Parent Loop BB148_13 Depth=1
                                        ; =>  This Inner Loop Header: Depth=2
	global_load_b32 v18, v[14:15], off
	v_add_nc_u64_e32 v[16:17], s[8:9], v[12:13]
	v_add_nc_u64_e32 v[12:13], 64, v[12:13]
	s_wait_xcnt 0x0
	v_add_nc_u64_e32 v[14:15], 0x100, v[14:15]
	global_load_i8 v19, v[16:17], off
	s_wait_loadcnt 0x1
	global_load_i8 v20, v18, s[10:11]
	v_cmp_ge_i64_e32 vcc_lo, v[12:13], v[10:11]
	s_or_b32 s26, vcc_lo, s26
	s_wait_loadcnt 0x1
	s_wait_xcnt 0x1
	v_mul_lo_u32 v16, s18, v19
	s_wait_loadcnt 0x0
	s_delay_alu instid0(VALU_DEP_1)
	v_mad_u32 v3, v16, v20, v3
	s_wait_xcnt 0x0
	s_and_not1_b32 exec_lo, exec_lo, s26
	s_cbranch_execnz .LBB148_20
; %bb.21:                               ;   in Loop: Header=BB148_13 Depth=1
	s_or_b32 exec_lo, exec_lo, s26
.LBB148_22:                             ;   in Loop: Header=BB148_13 Depth=1
	s_delay_alu instid0(SALU_CYCLE_1)
	s_or_b32 exec_lo, exec_lo, s25
.LBB148_23:                             ;   in Loop: Header=BB148_13 Depth=1
	s_delay_alu instid0(SALU_CYCLE_1)
	s_or_b32 exec_lo, exec_lo, s24
	ds_bpermute_b32 v10, v24, v3
	s_wait_dscnt 0x0
	v_add_nc_u32_e32 v3, v10, v3
	ds_bpermute_b32 v10, v25, v3
	s_wait_dscnt 0x0
	v_add_nc_u32_e32 v3, v10, v3
	;; [unrolled: 3-line block ×4, first 2 shown]
	ds_bpermute_b32 v10, v28, v3
	s_wait_dscnt 0x0
	v_dual_add_nc_u32 v10, v10, v3 :: v_dual_ashrrev_i32 v3, 31, v2
	ds_bpermute_b32 v11, v29, v10
	s_and_saveexec_b32 s24, s0
	s_cbranch_execz .LBB148_12
; %bb.24:                               ;   in Loop: Header=BB148_13 Depth=1
	s_wait_dscnt 0x0
	v_add_nc_u32_e32 v12, v11, v10
	v_lshl_add_u64 v[10:11], v[2:3], 2, s[12:13]
	s_and_not1_b32 vcc_lo, exec_lo, s21
	s_cbranch_vccnz .LBB148_11
; %bb.25:                               ;   in Loop: Header=BB148_13 Depth=1
	global_load_b32 v3, v[10:11], off
	s_wait_loadcnt 0x0
	v_mad_u32 v12, v3, s19, v12
	s_branch .LBB148_11
.LBB148_26:
	s_endpgm
	.section	.rodata,"a",@progbits
	.p2align	6, 0x0
	.amdhsa_kernel _ZN9rocsparseL21csrmvn_general_kernelILj256ELj64EliaaiiEEvbT2_NS_24const_host_device_scalarIT6_EEPKT1_S7_PKS1_PKT3_PKT4_S4_PT5_21rocsparse_index_base_b
		.amdhsa_group_segment_fixed_size 0
		.amdhsa_private_segment_fixed_size 0
		.amdhsa_kernarg_size 336
		.amdhsa_user_sgpr_count 2
		.amdhsa_user_sgpr_dispatch_ptr 0
		.amdhsa_user_sgpr_queue_ptr 0
		.amdhsa_user_sgpr_kernarg_segment_ptr 1
		.amdhsa_user_sgpr_dispatch_id 0
		.amdhsa_user_sgpr_kernarg_preload_length 0
		.amdhsa_user_sgpr_kernarg_preload_offset 0
		.amdhsa_user_sgpr_private_segment_size 0
		.amdhsa_wavefront_size32 1
		.amdhsa_uses_dynamic_stack 0
		.amdhsa_enable_private_segment 0
		.amdhsa_system_sgpr_workgroup_id_x 1
		.amdhsa_system_sgpr_workgroup_id_y 0
		.amdhsa_system_sgpr_workgroup_id_z 0
		.amdhsa_system_sgpr_workgroup_info 0
		.amdhsa_system_vgpr_workitem_id 0
		.amdhsa_next_free_vgpr 37
		.amdhsa_next_free_sgpr 27
		.amdhsa_named_barrier_count 0
		.amdhsa_reserve_vcc 1
		.amdhsa_float_round_mode_32 0
		.amdhsa_float_round_mode_16_64 0
		.amdhsa_float_denorm_mode_32 3
		.amdhsa_float_denorm_mode_16_64 3
		.amdhsa_fp16_overflow 0
		.amdhsa_memory_ordered 1
		.amdhsa_forward_progress 1
		.amdhsa_inst_pref_size 11
		.amdhsa_round_robin_scheduling 0
		.amdhsa_exception_fp_ieee_invalid_op 0
		.amdhsa_exception_fp_denorm_src 0
		.amdhsa_exception_fp_ieee_div_zero 0
		.amdhsa_exception_fp_ieee_overflow 0
		.amdhsa_exception_fp_ieee_underflow 0
		.amdhsa_exception_fp_ieee_inexact 0
		.amdhsa_exception_int_div_zero 0
	.end_amdhsa_kernel
	.section	.text._ZN9rocsparseL21csrmvn_general_kernelILj256ELj64EliaaiiEEvbT2_NS_24const_host_device_scalarIT6_EEPKT1_S7_PKS1_PKT3_PKT4_S4_PT5_21rocsparse_index_base_b,"axG",@progbits,_ZN9rocsparseL21csrmvn_general_kernelILj256ELj64EliaaiiEEvbT2_NS_24const_host_device_scalarIT6_EEPKT1_S7_PKS1_PKT3_PKT4_S4_PT5_21rocsparse_index_base_b,comdat
.Lfunc_end148:
	.size	_ZN9rocsparseL21csrmvn_general_kernelILj256ELj64EliaaiiEEvbT2_NS_24const_host_device_scalarIT6_EEPKT1_S7_PKS1_PKT3_PKT4_S4_PT5_21rocsparse_index_base_b, .Lfunc_end148-_ZN9rocsparseL21csrmvn_general_kernelILj256ELj64EliaaiiEEvbT2_NS_24const_host_device_scalarIT6_EEPKT1_S7_PKS1_PKT3_PKT4_S4_PT5_21rocsparse_index_base_b
                                        ; -- End function
	.set _ZN9rocsparseL21csrmvn_general_kernelILj256ELj64EliaaiiEEvbT2_NS_24const_host_device_scalarIT6_EEPKT1_S7_PKS1_PKT3_PKT4_S4_PT5_21rocsparse_index_base_b.num_vgpr, 37
	.set _ZN9rocsparseL21csrmvn_general_kernelILj256ELj64EliaaiiEEvbT2_NS_24const_host_device_scalarIT6_EEPKT1_S7_PKS1_PKT3_PKT4_S4_PT5_21rocsparse_index_base_b.num_agpr, 0
	.set _ZN9rocsparseL21csrmvn_general_kernelILj256ELj64EliaaiiEEvbT2_NS_24const_host_device_scalarIT6_EEPKT1_S7_PKS1_PKT3_PKT4_S4_PT5_21rocsparse_index_base_b.numbered_sgpr, 27
	.set _ZN9rocsparseL21csrmvn_general_kernelILj256ELj64EliaaiiEEvbT2_NS_24const_host_device_scalarIT6_EEPKT1_S7_PKS1_PKT3_PKT4_S4_PT5_21rocsparse_index_base_b.num_named_barrier, 0
	.set _ZN9rocsparseL21csrmvn_general_kernelILj256ELj64EliaaiiEEvbT2_NS_24const_host_device_scalarIT6_EEPKT1_S7_PKS1_PKT3_PKT4_S4_PT5_21rocsparse_index_base_b.private_seg_size, 0
	.set _ZN9rocsparseL21csrmvn_general_kernelILj256ELj64EliaaiiEEvbT2_NS_24const_host_device_scalarIT6_EEPKT1_S7_PKS1_PKT3_PKT4_S4_PT5_21rocsparse_index_base_b.uses_vcc, 1
	.set _ZN9rocsparseL21csrmvn_general_kernelILj256ELj64EliaaiiEEvbT2_NS_24const_host_device_scalarIT6_EEPKT1_S7_PKS1_PKT3_PKT4_S4_PT5_21rocsparse_index_base_b.uses_flat_scratch, 0
	.set _ZN9rocsparseL21csrmvn_general_kernelILj256ELj64EliaaiiEEvbT2_NS_24const_host_device_scalarIT6_EEPKT1_S7_PKS1_PKT3_PKT4_S4_PT5_21rocsparse_index_base_b.has_dyn_sized_stack, 0
	.set _ZN9rocsparseL21csrmvn_general_kernelILj256ELj64EliaaiiEEvbT2_NS_24const_host_device_scalarIT6_EEPKT1_S7_PKS1_PKT3_PKT4_S4_PT5_21rocsparse_index_base_b.has_recursion, 0
	.set _ZN9rocsparseL21csrmvn_general_kernelILj256ELj64EliaaiiEEvbT2_NS_24const_host_device_scalarIT6_EEPKT1_S7_PKS1_PKT3_PKT4_S4_PT5_21rocsparse_index_base_b.has_indirect_call, 0
	.section	.AMDGPU.csdata,"",@progbits
; Kernel info:
; codeLenInByte = 1304
; TotalNumSgprs: 29
; NumVgprs: 37
; ScratchSize: 0
; MemoryBound: 0
; FloatMode: 240
; IeeeMode: 1
; LDSByteSize: 0 bytes/workgroup (compile time only)
; SGPRBlocks: 0
; VGPRBlocks: 2
; NumSGPRsForWavesPerEU: 29
; NumVGPRsForWavesPerEU: 37
; NamedBarCnt: 0
; Occupancy: 16
; WaveLimiterHint : 1
; COMPUTE_PGM_RSRC2:SCRATCH_EN: 0
; COMPUTE_PGM_RSRC2:USER_SGPR: 2
; COMPUTE_PGM_RSRC2:TRAP_HANDLER: 0
; COMPUTE_PGM_RSRC2:TGID_X_EN: 1
; COMPUTE_PGM_RSRC2:TGID_Y_EN: 0
; COMPUTE_PGM_RSRC2:TGID_Z_EN: 0
; COMPUTE_PGM_RSRC2:TIDIG_COMP_CNT: 0
	.section	.text._ZN9rocsparseL21csrmvt_general_kernelILj256ELj4EliaaiiEEvbbT2_NS_24const_host_device_scalarIT6_EEPKT1_S7_PKS1_PKT3_PKT4_PT5_21rocsparse_index_base_b,"axG",@progbits,_ZN9rocsparseL21csrmvt_general_kernelILj256ELj4EliaaiiEEvbbT2_NS_24const_host_device_scalarIT6_EEPKT1_S7_PKS1_PKT3_PKT4_PT5_21rocsparse_index_base_b,comdat
	.globl	_ZN9rocsparseL21csrmvt_general_kernelILj256ELj4EliaaiiEEvbbT2_NS_24const_host_device_scalarIT6_EEPKT1_S7_PKS1_PKT3_PKT4_PT5_21rocsparse_index_base_b ; -- Begin function _ZN9rocsparseL21csrmvt_general_kernelILj256ELj4EliaaiiEEvbbT2_NS_24const_host_device_scalarIT6_EEPKT1_S7_PKS1_PKT3_PKT4_PT5_21rocsparse_index_base_b
	.p2align	8
	.type	_ZN9rocsparseL21csrmvt_general_kernelILj256ELj4EliaaiiEEvbbT2_NS_24const_host_device_scalarIT6_EEPKT1_S7_PKS1_PKT3_PKT4_PT5_21rocsparse_index_base_b,@function
_ZN9rocsparseL21csrmvt_general_kernelILj256ELj4EliaaiiEEvbbT2_NS_24const_host_device_scalarIT6_EEPKT1_S7_PKS1_PKT3_PKT4_PT5_21rocsparse_index_base_b: ; @_ZN9rocsparseL21csrmvt_general_kernelILj256ELj4EliaaiiEEvbbT2_NS_24const_host_device_scalarIT6_EEPKT1_S7_PKS1_PKT3_PKT4_PT5_21rocsparse_index_base_b
; %bb.0:
	s_clause 0x1
	s_load_b64 s[2:3], s[0:1], 0x40
	s_load_b128 s[12:15], s[0:1], 0x8
	s_wait_kmcnt 0x0
	s_bitcmp0_b32 s3, 0
	s_mov_b32 s3, 0
	s_cbranch_scc0 .LBB149_2
; %bb.1:
	s_load_b32 s18, s[12:13], 0x0
	s_and_not1_b32 vcc_lo, exec_lo, s3
	s_cbranch_vccz .LBB149_3
	s_branch .LBB149_4
.LBB149_2:
                                        ; implicit-def: $sgpr18
.LBB149_3:
	s_wait_kmcnt 0x0
	s_mov_b32 s18, s12
.LBB149_4:
	s_wait_kmcnt 0x0
	s_cmp_eq_u32 s18, 0
	s_cbranch_scc1 .LBB149_22
; %bb.5:
	s_clause 0x3
	s_load_b64 s[12:13], s[0:1], 0x0
	s_load_b32 s3, s[0:1], 0x48
	s_load_b64 s[16:17], s[0:1], 0x38
	s_load_b256 s[4:11], s[0:1], 0x18
	s_wait_xcnt 0x0
	s_bfe_u32 s0, ttmp6, 0x4000c
	s_and_b32 s19, ttmp6, 15
	s_add_co_i32 s0, s0, 1
	s_getreg_b32 s20, hwreg(HW_REG_IB_STS2, 6, 4)
	s_mul_i32 s0, ttmp9, s0
	s_delay_alu instid0(SALU_CYCLE_1)
	s_add_co_i32 s19, s19, s0
	s_wait_kmcnt 0x0
	s_and_b32 s12, s12, 1
	s_lshl_b32 s1, s3, 6
	s_cmp_eq_u32 s20, 0
	s_mov_b32 s3, -1
	s_cselect_b32 s0, ttmp9, s19
	s_cmp_eq_u32 s12, 0
	v_lshl_or_b32 v1, s0, 8, v0
	s_delay_alu instid0(VALU_DEP_1) | instskip(NEXT) | instid1(VALU_DEP_1)
	v_dual_lshrrev_b32 v2, 2, v1 :: v_dual_bitop2_b32 v0, 3, v0 bitop3:0x40
	v_cmp_gt_i32_e64 s0, s13, v2
	s_cbranch_scc0 .LBB149_13
; %bb.6:
	s_and_saveexec_b32 s12, s0
	s_cbranch_execz .LBB149_12
; %bb.7:
	v_dual_mov_b32 v1, 0 :: v_dual_mov_b32 v6, v2
	s_mov_b32 s3, 0
	s_delay_alu instid0(SALU_CYCLE_1) | instskip(NEXT) | instid1(VALU_DEP_1)
	s_mov_b32 s19, s3
	v_sub_nc_u64_e64 v[4:5], v[0:1], s[2:3]
	s_branch .LBB149_9
.LBB149_8:                              ;   in Loop: Header=BB149_9 Depth=1
	s_or_b32 exec_lo, exec_lo, s20
	v_add_nc_u32_e32 v6, s1, v6
	s_delay_alu instid0(VALU_DEP_1) | instskip(SKIP_1) | instid1(SALU_CYCLE_1)
	v_cmp_le_i32_e32 vcc_lo, s13, v6
	s_or_b32 s19, vcc_lo, s19
	s_and_not1_b32 exec_lo, exec_lo, s19
	s_cbranch_execz .LBB149_12
.LBB149_9:                              ; =>This Loop Header: Depth=1
                                        ;     Child Loop BB149_11 Depth 2
	s_clause 0x1
	global_load_b64 v[8:9], v6, s[4:5] scale_offset
	global_load_b64 v[10:11], v6, s[14:15] scale_offset
	s_mov_b32 s20, exec_lo
	s_wait_loadcnt 0x1
	v_sub_nc_u64_e64 v[8:9], v[8:9], s[2:3]
	s_wait_loadcnt 0x0
	v_add_nc_u64_e32 v[10:11], v[10:11], v[4:5]
	s_wait_xcnt 0x0
	s_delay_alu instid0(VALU_DEP_1)
	v_cmpx_lt_i64_e64 v[10:11], v[8:9]
	s_cbranch_execz .LBB149_8
; %bb.10:                               ;   in Loop: Header=BB149_9 Depth=1
	v_ashrrev_i32_e32 v7, 31, v6
	s_mov_b32 s21, 0
	s_delay_alu instid0(VALU_DEP_1)
	v_add_nc_u64_e32 v[12:13], s[10:11], v[6:7]
	global_load_i8 v1, v[12:13], off
	s_wait_xcnt 0x0
	v_lshl_add_u64 v[12:13], v[10:11], 2, s[6:7]
	s_wait_loadcnt 0x0
	v_mul_lo_u32 v1, s18, v1
.LBB149_11:                             ;   Parent Loop BB149_9 Depth=1
                                        ; =>  This Inner Loop Header: Depth=2
	v_add_nc_u64_e32 v[14:15], s[8:9], v[10:11]
	v_add_nc_u64_e32 v[10:11], 4, v[10:11]
	global_load_i8 v3, v[14:15], off
	global_load_b32 v7, v[12:13], off
	v_cmp_ge_i64_e32 vcc_lo, v[10:11], v[8:9]
	s_wait_xcnt 0x0
	v_add_nc_u64_e32 v[12:13], 16, v[12:13]
	s_or_b32 s21, vcc_lo, s21
	s_wait_loadcnt 0x1
	v_mul_lo_u32 v3, v1, v3
	s_wait_loadcnt 0x0
	v_subrev_nc_u32_e32 v7, s2, v7
	global_atomic_add_u32 v7, v3, s[16:17] scale_offset scope:SCOPE_DEV
	s_wait_xcnt 0x0
	s_and_not1_b32 exec_lo, exec_lo, s21
	s_cbranch_execnz .LBB149_11
	s_branch .LBB149_8
.LBB149_12:
	s_or_b32 exec_lo, exec_lo, s12
	s_mov_b32 s3, 0
.LBB149_13:
	s_delay_alu instid0(SALU_CYCLE_1)
	s_and_not1_b32 vcc_lo, exec_lo, s3
	s_cbranch_vccnz .LBB149_22
; %bb.14:
	s_and_saveexec_b32 s3, s0
	s_cbranch_execz .LBB149_22
; %bb.15:
	v_mov_b32_e32 v1, 0
	s_mov_b32 s3, 0
	s_delay_alu instid0(SALU_CYCLE_1) | instskip(NEXT) | instid1(VALU_DEP_1)
	s_mov_b32 s0, s3
	v_sub_nc_u64_e64 v[0:1], v[0:1], s[2:3]
	s_branch .LBB149_17
.LBB149_16:                             ;   in Loop: Header=BB149_17 Depth=1
	s_or_b32 exec_lo, exec_lo, s12
	v_add_nc_u32_e32 v2, s1, v2
	s_delay_alu instid0(VALU_DEP_1) | instskip(SKIP_1) | instid1(SALU_CYCLE_1)
	v_cmp_le_i32_e32 vcc_lo, s13, v2
	s_or_b32 s0, vcc_lo, s0
	s_and_not1_b32 exec_lo, exec_lo, s0
	s_cbranch_execz .LBB149_22
.LBB149_17:                             ; =>This Loop Header: Depth=1
                                        ;     Child Loop BB149_20 Depth 2
	s_clause 0x1
	global_load_b64 v[4:5], v2, s[4:5] scale_offset
	global_load_b64 v[6:7], v2, s[14:15] scale_offset
	s_mov_b32 s12, exec_lo
	s_wait_loadcnt 0x1
	v_sub_nc_u64_e64 v[4:5], v[4:5], s[2:3]
	s_wait_loadcnt 0x0
	v_add_nc_u64_e32 v[6:7], v[6:7], v[0:1]
	s_wait_xcnt 0x0
	s_delay_alu instid0(VALU_DEP_1)
	v_cmpx_lt_i64_e64 v[6:7], v[4:5]
	s_cbranch_execz .LBB149_16
; %bb.18:                               ;   in Loop: Header=BB149_17 Depth=1
	v_ashrrev_i32_e32 v3, 31, v2
	s_mov_b32 s19, 0
	s_delay_alu instid0(VALU_DEP_1)
	v_add_nc_u64_e32 v[8:9], s[10:11], v[2:3]
	global_load_i8 v3, v[8:9], off
	s_wait_xcnt 0x0
	v_lshl_add_u64 v[8:9], v[6:7], 2, s[6:7]
	s_wait_loadcnt 0x0
	v_mul_lo_u32 v3, s18, v3
	s_branch .LBB149_20
.LBB149_19:                             ;   in Loop: Header=BB149_20 Depth=2
	s_wait_xcnt 0x0
	s_or_b32 exec_lo, exec_lo, s20
	v_add_nc_u64_e32 v[6:7], 4, v[6:7]
	v_add_nc_u64_e32 v[8:9], 16, v[8:9]
	s_delay_alu instid0(VALU_DEP_2) | instskip(SKIP_1) | instid1(SALU_CYCLE_1)
	v_cmp_ge_i64_e32 vcc_lo, v[6:7], v[4:5]
	s_or_b32 s19, vcc_lo, s19
	s_and_not1_b32 exec_lo, exec_lo, s19
	s_cbranch_execz .LBB149_16
.LBB149_20:                             ;   Parent Loop BB149_17 Depth=1
                                        ; =>  This Inner Loop Header: Depth=2
	global_load_b32 v10, v[8:9], off
	s_mov_b32 s20, exec_lo
	s_wait_loadcnt 0x0
	v_subrev_nc_u32_e32 v10, s2, v10
	s_wait_xcnt 0x0
	s_delay_alu instid0(VALU_DEP_1)
	v_cmpx_ne_u32_e64 v10, v2
	s_cbranch_execz .LBB149_19
; %bb.21:                               ;   in Loop: Header=BB149_20 Depth=2
	v_add_nc_u64_e32 v[12:13], s[8:9], v[6:7]
	global_load_i8 v11, v[12:13], off
	s_wait_loadcnt 0x0
	v_mul_lo_u32 v11, v3, v11
	s_wait_xcnt 0x0
	global_atomic_add_u32 v10, v11, s[16:17] scale_offset scope:SCOPE_DEV
	s_branch .LBB149_19
.LBB149_22:
	s_endpgm
	.section	.rodata,"a",@progbits
	.p2align	6, 0x0
	.amdhsa_kernel _ZN9rocsparseL21csrmvt_general_kernelILj256ELj4EliaaiiEEvbbT2_NS_24const_host_device_scalarIT6_EEPKT1_S7_PKS1_PKT3_PKT4_PT5_21rocsparse_index_base_b
		.amdhsa_group_segment_fixed_size 0
		.amdhsa_private_segment_fixed_size 0
		.amdhsa_kernarg_size 328
		.amdhsa_user_sgpr_count 2
		.amdhsa_user_sgpr_dispatch_ptr 0
		.amdhsa_user_sgpr_queue_ptr 0
		.amdhsa_user_sgpr_kernarg_segment_ptr 1
		.amdhsa_user_sgpr_dispatch_id 0
		.amdhsa_user_sgpr_kernarg_preload_length 0
		.amdhsa_user_sgpr_kernarg_preload_offset 0
		.amdhsa_user_sgpr_private_segment_size 0
		.amdhsa_wavefront_size32 1
		.amdhsa_uses_dynamic_stack 0
		.amdhsa_enable_private_segment 0
		.amdhsa_system_sgpr_workgroup_id_x 1
		.amdhsa_system_sgpr_workgroup_id_y 0
		.amdhsa_system_sgpr_workgroup_id_z 0
		.amdhsa_system_sgpr_workgroup_info 0
		.amdhsa_system_vgpr_workitem_id 0
		.amdhsa_next_free_vgpr 16
		.amdhsa_next_free_sgpr 22
		.amdhsa_named_barrier_count 0
		.amdhsa_reserve_vcc 1
		.amdhsa_float_round_mode_32 0
		.amdhsa_float_round_mode_16_64 0
		.amdhsa_float_denorm_mode_32 3
		.amdhsa_float_denorm_mode_16_64 3
		.amdhsa_fp16_overflow 0
		.amdhsa_memory_ordered 1
		.amdhsa_forward_progress 1
		.amdhsa_inst_pref_size 7
		.amdhsa_round_robin_scheduling 0
		.amdhsa_exception_fp_ieee_invalid_op 0
		.amdhsa_exception_fp_denorm_src 0
		.amdhsa_exception_fp_ieee_div_zero 0
		.amdhsa_exception_fp_ieee_overflow 0
		.amdhsa_exception_fp_ieee_underflow 0
		.amdhsa_exception_fp_ieee_inexact 0
		.amdhsa_exception_int_div_zero 0
	.end_amdhsa_kernel
	.section	.text._ZN9rocsparseL21csrmvt_general_kernelILj256ELj4EliaaiiEEvbbT2_NS_24const_host_device_scalarIT6_EEPKT1_S7_PKS1_PKT3_PKT4_PT5_21rocsparse_index_base_b,"axG",@progbits,_ZN9rocsparseL21csrmvt_general_kernelILj256ELj4EliaaiiEEvbbT2_NS_24const_host_device_scalarIT6_EEPKT1_S7_PKS1_PKT3_PKT4_PT5_21rocsparse_index_base_b,comdat
.Lfunc_end149:
	.size	_ZN9rocsparseL21csrmvt_general_kernelILj256ELj4EliaaiiEEvbbT2_NS_24const_host_device_scalarIT6_EEPKT1_S7_PKS1_PKT3_PKT4_PT5_21rocsparse_index_base_b, .Lfunc_end149-_ZN9rocsparseL21csrmvt_general_kernelILj256ELj4EliaaiiEEvbbT2_NS_24const_host_device_scalarIT6_EEPKT1_S7_PKS1_PKT3_PKT4_PT5_21rocsparse_index_base_b
                                        ; -- End function
	.set _ZN9rocsparseL21csrmvt_general_kernelILj256ELj4EliaaiiEEvbbT2_NS_24const_host_device_scalarIT6_EEPKT1_S7_PKS1_PKT3_PKT4_PT5_21rocsparse_index_base_b.num_vgpr, 16
	.set _ZN9rocsparseL21csrmvt_general_kernelILj256ELj4EliaaiiEEvbbT2_NS_24const_host_device_scalarIT6_EEPKT1_S7_PKS1_PKT3_PKT4_PT5_21rocsparse_index_base_b.num_agpr, 0
	.set _ZN9rocsparseL21csrmvt_general_kernelILj256ELj4EliaaiiEEvbbT2_NS_24const_host_device_scalarIT6_EEPKT1_S7_PKS1_PKT3_PKT4_PT5_21rocsparse_index_base_b.numbered_sgpr, 22
	.set _ZN9rocsparseL21csrmvt_general_kernelILj256ELj4EliaaiiEEvbbT2_NS_24const_host_device_scalarIT6_EEPKT1_S7_PKS1_PKT3_PKT4_PT5_21rocsparse_index_base_b.num_named_barrier, 0
	.set _ZN9rocsparseL21csrmvt_general_kernelILj256ELj4EliaaiiEEvbbT2_NS_24const_host_device_scalarIT6_EEPKT1_S7_PKS1_PKT3_PKT4_PT5_21rocsparse_index_base_b.private_seg_size, 0
	.set _ZN9rocsparseL21csrmvt_general_kernelILj256ELj4EliaaiiEEvbbT2_NS_24const_host_device_scalarIT6_EEPKT1_S7_PKS1_PKT3_PKT4_PT5_21rocsparse_index_base_b.uses_vcc, 1
	.set _ZN9rocsparseL21csrmvt_general_kernelILj256ELj4EliaaiiEEvbbT2_NS_24const_host_device_scalarIT6_EEPKT1_S7_PKS1_PKT3_PKT4_PT5_21rocsparse_index_base_b.uses_flat_scratch, 0
	.set _ZN9rocsparseL21csrmvt_general_kernelILj256ELj4EliaaiiEEvbbT2_NS_24const_host_device_scalarIT6_EEPKT1_S7_PKS1_PKT3_PKT4_PT5_21rocsparse_index_base_b.has_dyn_sized_stack, 0
	.set _ZN9rocsparseL21csrmvt_general_kernelILj256ELj4EliaaiiEEvbbT2_NS_24const_host_device_scalarIT6_EEPKT1_S7_PKS1_PKT3_PKT4_PT5_21rocsparse_index_base_b.has_recursion, 0
	.set _ZN9rocsparseL21csrmvt_general_kernelILj256ELj4EliaaiiEEvbbT2_NS_24const_host_device_scalarIT6_EEPKT1_S7_PKS1_PKT3_PKT4_PT5_21rocsparse_index_base_b.has_indirect_call, 0
	.section	.AMDGPU.csdata,"",@progbits
; Kernel info:
; codeLenInByte = 844
; TotalNumSgprs: 24
; NumVgprs: 16
; ScratchSize: 0
; MemoryBound: 0
; FloatMode: 240
; IeeeMode: 1
; LDSByteSize: 0 bytes/workgroup (compile time only)
; SGPRBlocks: 0
; VGPRBlocks: 0
; NumSGPRsForWavesPerEU: 24
; NumVGPRsForWavesPerEU: 16
; NamedBarCnt: 0
; Occupancy: 16
; WaveLimiterHint : 1
; COMPUTE_PGM_RSRC2:SCRATCH_EN: 0
; COMPUTE_PGM_RSRC2:USER_SGPR: 2
; COMPUTE_PGM_RSRC2:TRAP_HANDLER: 0
; COMPUTE_PGM_RSRC2:TGID_X_EN: 1
; COMPUTE_PGM_RSRC2:TGID_Y_EN: 0
; COMPUTE_PGM_RSRC2:TGID_Z_EN: 0
; COMPUTE_PGM_RSRC2:TIDIG_COMP_CNT: 0
	.section	.text._ZN9rocsparseL21csrmvt_general_kernelILj256ELj8EliaaiiEEvbbT2_NS_24const_host_device_scalarIT6_EEPKT1_S7_PKS1_PKT3_PKT4_PT5_21rocsparse_index_base_b,"axG",@progbits,_ZN9rocsparseL21csrmvt_general_kernelILj256ELj8EliaaiiEEvbbT2_NS_24const_host_device_scalarIT6_EEPKT1_S7_PKS1_PKT3_PKT4_PT5_21rocsparse_index_base_b,comdat
	.globl	_ZN9rocsparseL21csrmvt_general_kernelILj256ELj8EliaaiiEEvbbT2_NS_24const_host_device_scalarIT6_EEPKT1_S7_PKS1_PKT3_PKT4_PT5_21rocsparse_index_base_b ; -- Begin function _ZN9rocsparseL21csrmvt_general_kernelILj256ELj8EliaaiiEEvbbT2_NS_24const_host_device_scalarIT6_EEPKT1_S7_PKS1_PKT3_PKT4_PT5_21rocsparse_index_base_b
	.p2align	8
	.type	_ZN9rocsparseL21csrmvt_general_kernelILj256ELj8EliaaiiEEvbbT2_NS_24const_host_device_scalarIT6_EEPKT1_S7_PKS1_PKT3_PKT4_PT5_21rocsparse_index_base_b,@function
_ZN9rocsparseL21csrmvt_general_kernelILj256ELj8EliaaiiEEvbbT2_NS_24const_host_device_scalarIT6_EEPKT1_S7_PKS1_PKT3_PKT4_PT5_21rocsparse_index_base_b: ; @_ZN9rocsparseL21csrmvt_general_kernelILj256ELj8EliaaiiEEvbbT2_NS_24const_host_device_scalarIT6_EEPKT1_S7_PKS1_PKT3_PKT4_PT5_21rocsparse_index_base_b
; %bb.0:
	s_clause 0x1
	s_load_b64 s[2:3], s[0:1], 0x40
	s_load_b128 s[12:15], s[0:1], 0x8
	s_wait_kmcnt 0x0
	s_bitcmp0_b32 s3, 0
	s_mov_b32 s3, 0
	s_cbranch_scc0 .LBB150_2
; %bb.1:
	s_load_b32 s18, s[12:13], 0x0
	s_and_not1_b32 vcc_lo, exec_lo, s3
	s_cbranch_vccz .LBB150_3
	s_branch .LBB150_4
.LBB150_2:
                                        ; implicit-def: $sgpr18
.LBB150_3:
	s_wait_kmcnt 0x0
	s_mov_b32 s18, s12
.LBB150_4:
	s_wait_kmcnt 0x0
	s_cmp_eq_u32 s18, 0
	s_cbranch_scc1 .LBB150_22
; %bb.5:
	s_clause 0x3
	s_load_b64 s[12:13], s[0:1], 0x0
	s_load_b32 s3, s[0:1], 0x48
	s_load_b64 s[16:17], s[0:1], 0x38
	s_load_b256 s[4:11], s[0:1], 0x18
	s_wait_xcnt 0x0
	s_bfe_u32 s0, ttmp6, 0x4000c
	s_and_b32 s19, ttmp6, 15
	s_add_co_i32 s0, s0, 1
	s_getreg_b32 s20, hwreg(HW_REG_IB_STS2, 6, 4)
	s_mul_i32 s0, ttmp9, s0
	s_delay_alu instid0(SALU_CYCLE_1)
	s_add_co_i32 s19, s19, s0
	s_wait_kmcnt 0x0
	s_and_b32 s12, s12, 1
	s_lshl_b32 s1, s3, 5
	s_cmp_eq_u32 s20, 0
	s_mov_b32 s3, -1
	s_cselect_b32 s0, ttmp9, s19
	s_cmp_eq_u32 s12, 0
	v_lshl_or_b32 v1, s0, 8, v0
	s_delay_alu instid0(VALU_DEP_1) | instskip(NEXT) | instid1(VALU_DEP_1)
	v_dual_lshrrev_b32 v2, 3, v1 :: v_dual_bitop2_b32 v0, 7, v0 bitop3:0x40
	v_cmp_gt_i32_e64 s0, s13, v2
	s_cbranch_scc0 .LBB150_13
; %bb.6:
	s_and_saveexec_b32 s12, s0
	s_cbranch_execz .LBB150_12
; %bb.7:
	v_dual_mov_b32 v1, 0 :: v_dual_mov_b32 v6, v2
	s_mov_b32 s3, 0
	s_delay_alu instid0(SALU_CYCLE_1) | instskip(NEXT) | instid1(VALU_DEP_1)
	s_mov_b32 s19, s3
	v_sub_nc_u64_e64 v[4:5], v[0:1], s[2:3]
	s_branch .LBB150_9
.LBB150_8:                              ;   in Loop: Header=BB150_9 Depth=1
	s_or_b32 exec_lo, exec_lo, s20
	v_add_nc_u32_e32 v6, s1, v6
	s_delay_alu instid0(VALU_DEP_1) | instskip(SKIP_1) | instid1(SALU_CYCLE_1)
	v_cmp_le_i32_e32 vcc_lo, s13, v6
	s_or_b32 s19, vcc_lo, s19
	s_and_not1_b32 exec_lo, exec_lo, s19
	s_cbranch_execz .LBB150_12
.LBB150_9:                              ; =>This Loop Header: Depth=1
                                        ;     Child Loop BB150_11 Depth 2
	s_clause 0x1
	global_load_b64 v[8:9], v6, s[4:5] scale_offset
	global_load_b64 v[10:11], v6, s[14:15] scale_offset
	s_mov_b32 s20, exec_lo
	s_wait_loadcnt 0x1
	v_sub_nc_u64_e64 v[8:9], v[8:9], s[2:3]
	s_wait_loadcnt 0x0
	v_add_nc_u64_e32 v[10:11], v[10:11], v[4:5]
	s_wait_xcnt 0x0
	s_delay_alu instid0(VALU_DEP_1)
	v_cmpx_lt_i64_e64 v[10:11], v[8:9]
	s_cbranch_execz .LBB150_8
; %bb.10:                               ;   in Loop: Header=BB150_9 Depth=1
	v_ashrrev_i32_e32 v7, 31, v6
	s_mov_b32 s21, 0
	s_delay_alu instid0(VALU_DEP_1)
	v_add_nc_u64_e32 v[12:13], s[10:11], v[6:7]
	global_load_i8 v1, v[12:13], off
	s_wait_xcnt 0x0
	v_lshl_add_u64 v[12:13], v[10:11], 2, s[6:7]
	s_wait_loadcnt 0x0
	v_mul_lo_u32 v1, s18, v1
.LBB150_11:                             ;   Parent Loop BB150_9 Depth=1
                                        ; =>  This Inner Loop Header: Depth=2
	v_add_nc_u64_e32 v[14:15], s[8:9], v[10:11]
	v_add_nc_u64_e32 v[10:11], 8, v[10:11]
	global_load_i8 v3, v[14:15], off
	global_load_b32 v7, v[12:13], off
	v_cmp_ge_i64_e32 vcc_lo, v[10:11], v[8:9]
	s_wait_xcnt 0x0
	v_add_nc_u64_e32 v[12:13], 32, v[12:13]
	s_or_b32 s21, vcc_lo, s21
	s_wait_loadcnt 0x1
	v_mul_lo_u32 v3, v1, v3
	s_wait_loadcnt 0x0
	v_subrev_nc_u32_e32 v7, s2, v7
	global_atomic_add_u32 v7, v3, s[16:17] scale_offset scope:SCOPE_DEV
	s_wait_xcnt 0x0
	s_and_not1_b32 exec_lo, exec_lo, s21
	s_cbranch_execnz .LBB150_11
	s_branch .LBB150_8
.LBB150_12:
	s_or_b32 exec_lo, exec_lo, s12
	s_mov_b32 s3, 0
.LBB150_13:
	s_delay_alu instid0(SALU_CYCLE_1)
	s_and_not1_b32 vcc_lo, exec_lo, s3
	s_cbranch_vccnz .LBB150_22
; %bb.14:
	s_and_saveexec_b32 s3, s0
	s_cbranch_execz .LBB150_22
; %bb.15:
	v_mov_b32_e32 v1, 0
	s_mov_b32 s3, 0
	s_delay_alu instid0(SALU_CYCLE_1) | instskip(NEXT) | instid1(VALU_DEP_1)
	s_mov_b32 s0, s3
	v_sub_nc_u64_e64 v[0:1], v[0:1], s[2:3]
	s_branch .LBB150_17
.LBB150_16:                             ;   in Loop: Header=BB150_17 Depth=1
	s_or_b32 exec_lo, exec_lo, s12
	v_add_nc_u32_e32 v2, s1, v2
	s_delay_alu instid0(VALU_DEP_1) | instskip(SKIP_1) | instid1(SALU_CYCLE_1)
	v_cmp_le_i32_e32 vcc_lo, s13, v2
	s_or_b32 s0, vcc_lo, s0
	s_and_not1_b32 exec_lo, exec_lo, s0
	s_cbranch_execz .LBB150_22
.LBB150_17:                             ; =>This Loop Header: Depth=1
                                        ;     Child Loop BB150_20 Depth 2
	s_clause 0x1
	global_load_b64 v[4:5], v2, s[4:5] scale_offset
	global_load_b64 v[6:7], v2, s[14:15] scale_offset
	s_mov_b32 s12, exec_lo
	s_wait_loadcnt 0x1
	v_sub_nc_u64_e64 v[4:5], v[4:5], s[2:3]
	s_wait_loadcnt 0x0
	v_add_nc_u64_e32 v[6:7], v[6:7], v[0:1]
	s_wait_xcnt 0x0
	s_delay_alu instid0(VALU_DEP_1)
	v_cmpx_lt_i64_e64 v[6:7], v[4:5]
	s_cbranch_execz .LBB150_16
; %bb.18:                               ;   in Loop: Header=BB150_17 Depth=1
	v_ashrrev_i32_e32 v3, 31, v2
	s_mov_b32 s19, 0
	s_delay_alu instid0(VALU_DEP_1)
	v_add_nc_u64_e32 v[8:9], s[10:11], v[2:3]
	global_load_i8 v3, v[8:9], off
	s_wait_xcnt 0x0
	v_lshl_add_u64 v[8:9], v[6:7], 2, s[6:7]
	s_wait_loadcnt 0x0
	v_mul_lo_u32 v3, s18, v3
	s_branch .LBB150_20
.LBB150_19:                             ;   in Loop: Header=BB150_20 Depth=2
	s_wait_xcnt 0x0
	s_or_b32 exec_lo, exec_lo, s20
	v_add_nc_u64_e32 v[6:7], 8, v[6:7]
	v_add_nc_u64_e32 v[8:9], 32, v[8:9]
	s_delay_alu instid0(VALU_DEP_2) | instskip(SKIP_1) | instid1(SALU_CYCLE_1)
	v_cmp_ge_i64_e32 vcc_lo, v[6:7], v[4:5]
	s_or_b32 s19, vcc_lo, s19
	s_and_not1_b32 exec_lo, exec_lo, s19
	s_cbranch_execz .LBB150_16
.LBB150_20:                             ;   Parent Loop BB150_17 Depth=1
                                        ; =>  This Inner Loop Header: Depth=2
	global_load_b32 v10, v[8:9], off
	s_mov_b32 s20, exec_lo
	s_wait_loadcnt 0x0
	v_subrev_nc_u32_e32 v10, s2, v10
	s_wait_xcnt 0x0
	s_delay_alu instid0(VALU_DEP_1)
	v_cmpx_ne_u32_e64 v10, v2
	s_cbranch_execz .LBB150_19
; %bb.21:                               ;   in Loop: Header=BB150_20 Depth=2
	v_add_nc_u64_e32 v[12:13], s[8:9], v[6:7]
	global_load_i8 v11, v[12:13], off
	s_wait_loadcnt 0x0
	v_mul_lo_u32 v11, v3, v11
	s_wait_xcnt 0x0
	global_atomic_add_u32 v10, v11, s[16:17] scale_offset scope:SCOPE_DEV
	s_branch .LBB150_19
.LBB150_22:
	s_endpgm
	.section	.rodata,"a",@progbits
	.p2align	6, 0x0
	.amdhsa_kernel _ZN9rocsparseL21csrmvt_general_kernelILj256ELj8EliaaiiEEvbbT2_NS_24const_host_device_scalarIT6_EEPKT1_S7_PKS1_PKT3_PKT4_PT5_21rocsparse_index_base_b
		.amdhsa_group_segment_fixed_size 0
		.amdhsa_private_segment_fixed_size 0
		.amdhsa_kernarg_size 328
		.amdhsa_user_sgpr_count 2
		.amdhsa_user_sgpr_dispatch_ptr 0
		.amdhsa_user_sgpr_queue_ptr 0
		.amdhsa_user_sgpr_kernarg_segment_ptr 1
		.amdhsa_user_sgpr_dispatch_id 0
		.amdhsa_user_sgpr_kernarg_preload_length 0
		.amdhsa_user_sgpr_kernarg_preload_offset 0
		.amdhsa_user_sgpr_private_segment_size 0
		.amdhsa_wavefront_size32 1
		.amdhsa_uses_dynamic_stack 0
		.amdhsa_enable_private_segment 0
		.amdhsa_system_sgpr_workgroup_id_x 1
		.amdhsa_system_sgpr_workgroup_id_y 0
		.amdhsa_system_sgpr_workgroup_id_z 0
		.amdhsa_system_sgpr_workgroup_info 0
		.amdhsa_system_vgpr_workitem_id 0
		.amdhsa_next_free_vgpr 16
		.amdhsa_next_free_sgpr 22
		.amdhsa_named_barrier_count 0
		.amdhsa_reserve_vcc 1
		.amdhsa_float_round_mode_32 0
		.amdhsa_float_round_mode_16_64 0
		.amdhsa_float_denorm_mode_32 3
		.amdhsa_float_denorm_mode_16_64 3
		.amdhsa_fp16_overflow 0
		.amdhsa_memory_ordered 1
		.amdhsa_forward_progress 1
		.amdhsa_inst_pref_size 7
		.amdhsa_round_robin_scheduling 0
		.amdhsa_exception_fp_ieee_invalid_op 0
		.amdhsa_exception_fp_denorm_src 0
		.amdhsa_exception_fp_ieee_div_zero 0
		.amdhsa_exception_fp_ieee_overflow 0
		.amdhsa_exception_fp_ieee_underflow 0
		.amdhsa_exception_fp_ieee_inexact 0
		.amdhsa_exception_int_div_zero 0
	.end_amdhsa_kernel
	.section	.text._ZN9rocsparseL21csrmvt_general_kernelILj256ELj8EliaaiiEEvbbT2_NS_24const_host_device_scalarIT6_EEPKT1_S7_PKS1_PKT3_PKT4_PT5_21rocsparse_index_base_b,"axG",@progbits,_ZN9rocsparseL21csrmvt_general_kernelILj256ELj8EliaaiiEEvbbT2_NS_24const_host_device_scalarIT6_EEPKT1_S7_PKS1_PKT3_PKT4_PT5_21rocsparse_index_base_b,comdat
.Lfunc_end150:
	.size	_ZN9rocsparseL21csrmvt_general_kernelILj256ELj8EliaaiiEEvbbT2_NS_24const_host_device_scalarIT6_EEPKT1_S7_PKS1_PKT3_PKT4_PT5_21rocsparse_index_base_b, .Lfunc_end150-_ZN9rocsparseL21csrmvt_general_kernelILj256ELj8EliaaiiEEvbbT2_NS_24const_host_device_scalarIT6_EEPKT1_S7_PKS1_PKT3_PKT4_PT5_21rocsparse_index_base_b
                                        ; -- End function
	.set _ZN9rocsparseL21csrmvt_general_kernelILj256ELj8EliaaiiEEvbbT2_NS_24const_host_device_scalarIT6_EEPKT1_S7_PKS1_PKT3_PKT4_PT5_21rocsparse_index_base_b.num_vgpr, 16
	.set _ZN9rocsparseL21csrmvt_general_kernelILj256ELj8EliaaiiEEvbbT2_NS_24const_host_device_scalarIT6_EEPKT1_S7_PKS1_PKT3_PKT4_PT5_21rocsparse_index_base_b.num_agpr, 0
	.set _ZN9rocsparseL21csrmvt_general_kernelILj256ELj8EliaaiiEEvbbT2_NS_24const_host_device_scalarIT6_EEPKT1_S7_PKS1_PKT3_PKT4_PT5_21rocsparse_index_base_b.numbered_sgpr, 22
	.set _ZN9rocsparseL21csrmvt_general_kernelILj256ELj8EliaaiiEEvbbT2_NS_24const_host_device_scalarIT6_EEPKT1_S7_PKS1_PKT3_PKT4_PT5_21rocsparse_index_base_b.num_named_barrier, 0
	.set _ZN9rocsparseL21csrmvt_general_kernelILj256ELj8EliaaiiEEvbbT2_NS_24const_host_device_scalarIT6_EEPKT1_S7_PKS1_PKT3_PKT4_PT5_21rocsparse_index_base_b.private_seg_size, 0
	.set _ZN9rocsparseL21csrmvt_general_kernelILj256ELj8EliaaiiEEvbbT2_NS_24const_host_device_scalarIT6_EEPKT1_S7_PKS1_PKT3_PKT4_PT5_21rocsparse_index_base_b.uses_vcc, 1
	.set _ZN9rocsparseL21csrmvt_general_kernelILj256ELj8EliaaiiEEvbbT2_NS_24const_host_device_scalarIT6_EEPKT1_S7_PKS1_PKT3_PKT4_PT5_21rocsparse_index_base_b.uses_flat_scratch, 0
	.set _ZN9rocsparseL21csrmvt_general_kernelILj256ELj8EliaaiiEEvbbT2_NS_24const_host_device_scalarIT6_EEPKT1_S7_PKS1_PKT3_PKT4_PT5_21rocsparse_index_base_b.has_dyn_sized_stack, 0
	.set _ZN9rocsparseL21csrmvt_general_kernelILj256ELj8EliaaiiEEvbbT2_NS_24const_host_device_scalarIT6_EEPKT1_S7_PKS1_PKT3_PKT4_PT5_21rocsparse_index_base_b.has_recursion, 0
	.set _ZN9rocsparseL21csrmvt_general_kernelILj256ELj8EliaaiiEEvbbT2_NS_24const_host_device_scalarIT6_EEPKT1_S7_PKS1_PKT3_PKT4_PT5_21rocsparse_index_base_b.has_indirect_call, 0
	.section	.AMDGPU.csdata,"",@progbits
; Kernel info:
; codeLenInByte = 844
; TotalNumSgprs: 24
; NumVgprs: 16
; ScratchSize: 0
; MemoryBound: 0
; FloatMode: 240
; IeeeMode: 1
; LDSByteSize: 0 bytes/workgroup (compile time only)
; SGPRBlocks: 0
; VGPRBlocks: 0
; NumSGPRsForWavesPerEU: 24
; NumVGPRsForWavesPerEU: 16
; NamedBarCnt: 0
; Occupancy: 16
; WaveLimiterHint : 1
; COMPUTE_PGM_RSRC2:SCRATCH_EN: 0
; COMPUTE_PGM_RSRC2:USER_SGPR: 2
; COMPUTE_PGM_RSRC2:TRAP_HANDLER: 0
; COMPUTE_PGM_RSRC2:TGID_X_EN: 1
; COMPUTE_PGM_RSRC2:TGID_Y_EN: 0
; COMPUTE_PGM_RSRC2:TGID_Z_EN: 0
; COMPUTE_PGM_RSRC2:TIDIG_COMP_CNT: 0
	.section	.text._ZN9rocsparseL21csrmvt_general_kernelILj256ELj16EliaaiiEEvbbT2_NS_24const_host_device_scalarIT6_EEPKT1_S7_PKS1_PKT3_PKT4_PT5_21rocsparse_index_base_b,"axG",@progbits,_ZN9rocsparseL21csrmvt_general_kernelILj256ELj16EliaaiiEEvbbT2_NS_24const_host_device_scalarIT6_EEPKT1_S7_PKS1_PKT3_PKT4_PT5_21rocsparse_index_base_b,comdat
	.globl	_ZN9rocsparseL21csrmvt_general_kernelILj256ELj16EliaaiiEEvbbT2_NS_24const_host_device_scalarIT6_EEPKT1_S7_PKS1_PKT3_PKT4_PT5_21rocsparse_index_base_b ; -- Begin function _ZN9rocsparseL21csrmvt_general_kernelILj256ELj16EliaaiiEEvbbT2_NS_24const_host_device_scalarIT6_EEPKT1_S7_PKS1_PKT3_PKT4_PT5_21rocsparse_index_base_b
	.p2align	8
	.type	_ZN9rocsparseL21csrmvt_general_kernelILj256ELj16EliaaiiEEvbbT2_NS_24const_host_device_scalarIT6_EEPKT1_S7_PKS1_PKT3_PKT4_PT5_21rocsparse_index_base_b,@function
_ZN9rocsparseL21csrmvt_general_kernelILj256ELj16EliaaiiEEvbbT2_NS_24const_host_device_scalarIT6_EEPKT1_S7_PKS1_PKT3_PKT4_PT5_21rocsparse_index_base_b: ; @_ZN9rocsparseL21csrmvt_general_kernelILj256ELj16EliaaiiEEvbbT2_NS_24const_host_device_scalarIT6_EEPKT1_S7_PKS1_PKT3_PKT4_PT5_21rocsparse_index_base_b
; %bb.0:
	s_clause 0x1
	s_load_b64 s[2:3], s[0:1], 0x40
	s_load_b128 s[12:15], s[0:1], 0x8
	s_wait_kmcnt 0x0
	s_bitcmp0_b32 s3, 0
	s_mov_b32 s3, 0
	s_cbranch_scc0 .LBB151_2
; %bb.1:
	s_load_b32 s18, s[12:13], 0x0
	s_and_not1_b32 vcc_lo, exec_lo, s3
	s_cbranch_vccz .LBB151_3
	s_branch .LBB151_4
.LBB151_2:
                                        ; implicit-def: $sgpr18
.LBB151_3:
	s_wait_kmcnt 0x0
	s_mov_b32 s18, s12
.LBB151_4:
	s_wait_kmcnt 0x0
	s_cmp_eq_u32 s18, 0
	s_cbranch_scc1 .LBB151_22
; %bb.5:
	s_clause 0x3
	s_load_b64 s[12:13], s[0:1], 0x0
	s_load_b32 s3, s[0:1], 0x48
	s_load_b64 s[16:17], s[0:1], 0x38
	s_load_b256 s[4:11], s[0:1], 0x18
	s_wait_xcnt 0x0
	s_bfe_u32 s0, ttmp6, 0x4000c
	s_and_b32 s19, ttmp6, 15
	s_add_co_i32 s0, s0, 1
	s_getreg_b32 s20, hwreg(HW_REG_IB_STS2, 6, 4)
	s_mul_i32 s0, ttmp9, s0
	s_delay_alu instid0(SALU_CYCLE_1)
	s_add_co_i32 s19, s19, s0
	s_wait_kmcnt 0x0
	s_and_b32 s12, s12, 1
	s_lshl_b32 s1, s3, 4
	s_cmp_eq_u32 s20, 0
	s_mov_b32 s3, -1
	s_cselect_b32 s0, ttmp9, s19
	s_cmp_eq_u32 s12, 0
	v_lshl_or_b32 v1, s0, 8, v0
	s_delay_alu instid0(VALU_DEP_1) | instskip(NEXT) | instid1(VALU_DEP_1)
	v_dual_lshrrev_b32 v2, 4, v1 :: v_dual_bitop2_b32 v0, 15, v0 bitop3:0x40
	v_cmp_gt_i32_e64 s0, s13, v2
	s_cbranch_scc0 .LBB151_13
; %bb.6:
	s_and_saveexec_b32 s12, s0
	s_cbranch_execz .LBB151_12
; %bb.7:
	v_dual_mov_b32 v1, 0 :: v_dual_mov_b32 v6, v2
	s_mov_b32 s3, 0
	s_delay_alu instid0(SALU_CYCLE_1) | instskip(NEXT) | instid1(VALU_DEP_1)
	s_mov_b32 s19, s3
	v_sub_nc_u64_e64 v[4:5], v[0:1], s[2:3]
	s_branch .LBB151_9
.LBB151_8:                              ;   in Loop: Header=BB151_9 Depth=1
	s_or_b32 exec_lo, exec_lo, s20
	v_add_nc_u32_e32 v6, s1, v6
	s_delay_alu instid0(VALU_DEP_1) | instskip(SKIP_1) | instid1(SALU_CYCLE_1)
	v_cmp_le_i32_e32 vcc_lo, s13, v6
	s_or_b32 s19, vcc_lo, s19
	s_and_not1_b32 exec_lo, exec_lo, s19
	s_cbranch_execz .LBB151_12
.LBB151_9:                              ; =>This Loop Header: Depth=1
                                        ;     Child Loop BB151_11 Depth 2
	s_clause 0x1
	global_load_b64 v[8:9], v6, s[4:5] scale_offset
	global_load_b64 v[10:11], v6, s[14:15] scale_offset
	s_mov_b32 s20, exec_lo
	s_wait_loadcnt 0x1
	v_sub_nc_u64_e64 v[8:9], v[8:9], s[2:3]
	s_wait_loadcnt 0x0
	v_add_nc_u64_e32 v[10:11], v[10:11], v[4:5]
	s_wait_xcnt 0x0
	s_delay_alu instid0(VALU_DEP_1)
	v_cmpx_lt_i64_e64 v[10:11], v[8:9]
	s_cbranch_execz .LBB151_8
; %bb.10:                               ;   in Loop: Header=BB151_9 Depth=1
	v_ashrrev_i32_e32 v7, 31, v6
	s_mov_b32 s21, 0
	s_delay_alu instid0(VALU_DEP_1)
	v_add_nc_u64_e32 v[12:13], s[10:11], v[6:7]
	global_load_i8 v1, v[12:13], off
	s_wait_xcnt 0x0
	v_lshl_add_u64 v[12:13], v[10:11], 2, s[6:7]
	s_wait_loadcnt 0x0
	v_mul_lo_u32 v1, s18, v1
.LBB151_11:                             ;   Parent Loop BB151_9 Depth=1
                                        ; =>  This Inner Loop Header: Depth=2
	v_add_nc_u64_e32 v[14:15], s[8:9], v[10:11]
	v_add_nc_u64_e32 v[10:11], 16, v[10:11]
	global_load_i8 v3, v[14:15], off
	global_load_b32 v7, v[12:13], off
	v_cmp_ge_i64_e32 vcc_lo, v[10:11], v[8:9]
	s_wait_xcnt 0x0
	v_add_nc_u64_e32 v[12:13], 64, v[12:13]
	s_or_b32 s21, vcc_lo, s21
	s_wait_loadcnt 0x1
	v_mul_lo_u32 v3, v1, v3
	s_wait_loadcnt 0x0
	v_subrev_nc_u32_e32 v7, s2, v7
	global_atomic_add_u32 v7, v3, s[16:17] scale_offset scope:SCOPE_DEV
	s_wait_xcnt 0x0
	s_and_not1_b32 exec_lo, exec_lo, s21
	s_cbranch_execnz .LBB151_11
	s_branch .LBB151_8
.LBB151_12:
	s_or_b32 exec_lo, exec_lo, s12
	s_mov_b32 s3, 0
.LBB151_13:
	s_delay_alu instid0(SALU_CYCLE_1)
	s_and_not1_b32 vcc_lo, exec_lo, s3
	s_cbranch_vccnz .LBB151_22
; %bb.14:
	s_and_saveexec_b32 s3, s0
	s_cbranch_execz .LBB151_22
; %bb.15:
	v_mov_b32_e32 v1, 0
	s_mov_b32 s3, 0
	s_delay_alu instid0(SALU_CYCLE_1) | instskip(NEXT) | instid1(VALU_DEP_1)
	s_mov_b32 s0, s3
	v_sub_nc_u64_e64 v[0:1], v[0:1], s[2:3]
	s_branch .LBB151_17
.LBB151_16:                             ;   in Loop: Header=BB151_17 Depth=1
	s_or_b32 exec_lo, exec_lo, s12
	v_add_nc_u32_e32 v2, s1, v2
	s_delay_alu instid0(VALU_DEP_1) | instskip(SKIP_1) | instid1(SALU_CYCLE_1)
	v_cmp_le_i32_e32 vcc_lo, s13, v2
	s_or_b32 s0, vcc_lo, s0
	s_and_not1_b32 exec_lo, exec_lo, s0
	s_cbranch_execz .LBB151_22
.LBB151_17:                             ; =>This Loop Header: Depth=1
                                        ;     Child Loop BB151_20 Depth 2
	s_clause 0x1
	global_load_b64 v[4:5], v2, s[4:5] scale_offset
	global_load_b64 v[6:7], v2, s[14:15] scale_offset
	s_mov_b32 s12, exec_lo
	s_wait_loadcnt 0x1
	v_sub_nc_u64_e64 v[4:5], v[4:5], s[2:3]
	s_wait_loadcnt 0x0
	v_add_nc_u64_e32 v[6:7], v[6:7], v[0:1]
	s_wait_xcnt 0x0
	s_delay_alu instid0(VALU_DEP_1)
	v_cmpx_lt_i64_e64 v[6:7], v[4:5]
	s_cbranch_execz .LBB151_16
; %bb.18:                               ;   in Loop: Header=BB151_17 Depth=1
	v_ashrrev_i32_e32 v3, 31, v2
	s_mov_b32 s19, 0
	s_delay_alu instid0(VALU_DEP_1)
	v_add_nc_u64_e32 v[8:9], s[10:11], v[2:3]
	global_load_i8 v3, v[8:9], off
	s_wait_xcnt 0x0
	v_lshl_add_u64 v[8:9], v[6:7], 2, s[6:7]
	s_wait_loadcnt 0x0
	v_mul_lo_u32 v3, s18, v3
	s_branch .LBB151_20
.LBB151_19:                             ;   in Loop: Header=BB151_20 Depth=2
	s_wait_xcnt 0x0
	s_or_b32 exec_lo, exec_lo, s20
	v_add_nc_u64_e32 v[6:7], 16, v[6:7]
	v_add_nc_u64_e32 v[8:9], 64, v[8:9]
	s_delay_alu instid0(VALU_DEP_2) | instskip(SKIP_1) | instid1(SALU_CYCLE_1)
	v_cmp_ge_i64_e32 vcc_lo, v[6:7], v[4:5]
	s_or_b32 s19, vcc_lo, s19
	s_and_not1_b32 exec_lo, exec_lo, s19
	s_cbranch_execz .LBB151_16
.LBB151_20:                             ;   Parent Loop BB151_17 Depth=1
                                        ; =>  This Inner Loop Header: Depth=2
	global_load_b32 v10, v[8:9], off
	s_mov_b32 s20, exec_lo
	s_wait_loadcnt 0x0
	v_subrev_nc_u32_e32 v10, s2, v10
	s_wait_xcnt 0x0
	s_delay_alu instid0(VALU_DEP_1)
	v_cmpx_ne_u32_e64 v10, v2
	s_cbranch_execz .LBB151_19
; %bb.21:                               ;   in Loop: Header=BB151_20 Depth=2
	v_add_nc_u64_e32 v[12:13], s[8:9], v[6:7]
	global_load_i8 v11, v[12:13], off
	s_wait_loadcnt 0x0
	v_mul_lo_u32 v11, v3, v11
	s_wait_xcnt 0x0
	global_atomic_add_u32 v10, v11, s[16:17] scale_offset scope:SCOPE_DEV
	s_branch .LBB151_19
.LBB151_22:
	s_endpgm
	.section	.rodata,"a",@progbits
	.p2align	6, 0x0
	.amdhsa_kernel _ZN9rocsparseL21csrmvt_general_kernelILj256ELj16EliaaiiEEvbbT2_NS_24const_host_device_scalarIT6_EEPKT1_S7_PKS1_PKT3_PKT4_PT5_21rocsparse_index_base_b
		.amdhsa_group_segment_fixed_size 0
		.amdhsa_private_segment_fixed_size 0
		.amdhsa_kernarg_size 328
		.amdhsa_user_sgpr_count 2
		.amdhsa_user_sgpr_dispatch_ptr 0
		.amdhsa_user_sgpr_queue_ptr 0
		.amdhsa_user_sgpr_kernarg_segment_ptr 1
		.amdhsa_user_sgpr_dispatch_id 0
		.amdhsa_user_sgpr_kernarg_preload_length 0
		.amdhsa_user_sgpr_kernarg_preload_offset 0
		.amdhsa_user_sgpr_private_segment_size 0
		.amdhsa_wavefront_size32 1
		.amdhsa_uses_dynamic_stack 0
		.amdhsa_enable_private_segment 0
		.amdhsa_system_sgpr_workgroup_id_x 1
		.amdhsa_system_sgpr_workgroup_id_y 0
		.amdhsa_system_sgpr_workgroup_id_z 0
		.amdhsa_system_sgpr_workgroup_info 0
		.amdhsa_system_vgpr_workitem_id 0
		.amdhsa_next_free_vgpr 16
		.amdhsa_next_free_sgpr 22
		.amdhsa_named_barrier_count 0
		.amdhsa_reserve_vcc 1
		.amdhsa_float_round_mode_32 0
		.amdhsa_float_round_mode_16_64 0
		.amdhsa_float_denorm_mode_32 3
		.amdhsa_float_denorm_mode_16_64 3
		.amdhsa_fp16_overflow 0
		.amdhsa_memory_ordered 1
		.amdhsa_forward_progress 1
		.amdhsa_inst_pref_size 7
		.amdhsa_round_robin_scheduling 0
		.amdhsa_exception_fp_ieee_invalid_op 0
		.amdhsa_exception_fp_denorm_src 0
		.amdhsa_exception_fp_ieee_div_zero 0
		.amdhsa_exception_fp_ieee_overflow 0
		.amdhsa_exception_fp_ieee_underflow 0
		.amdhsa_exception_fp_ieee_inexact 0
		.amdhsa_exception_int_div_zero 0
	.end_amdhsa_kernel
	.section	.text._ZN9rocsparseL21csrmvt_general_kernelILj256ELj16EliaaiiEEvbbT2_NS_24const_host_device_scalarIT6_EEPKT1_S7_PKS1_PKT3_PKT4_PT5_21rocsparse_index_base_b,"axG",@progbits,_ZN9rocsparseL21csrmvt_general_kernelILj256ELj16EliaaiiEEvbbT2_NS_24const_host_device_scalarIT6_EEPKT1_S7_PKS1_PKT3_PKT4_PT5_21rocsparse_index_base_b,comdat
.Lfunc_end151:
	.size	_ZN9rocsparseL21csrmvt_general_kernelILj256ELj16EliaaiiEEvbbT2_NS_24const_host_device_scalarIT6_EEPKT1_S7_PKS1_PKT3_PKT4_PT5_21rocsparse_index_base_b, .Lfunc_end151-_ZN9rocsparseL21csrmvt_general_kernelILj256ELj16EliaaiiEEvbbT2_NS_24const_host_device_scalarIT6_EEPKT1_S7_PKS1_PKT3_PKT4_PT5_21rocsparse_index_base_b
                                        ; -- End function
	.set _ZN9rocsparseL21csrmvt_general_kernelILj256ELj16EliaaiiEEvbbT2_NS_24const_host_device_scalarIT6_EEPKT1_S7_PKS1_PKT3_PKT4_PT5_21rocsparse_index_base_b.num_vgpr, 16
	.set _ZN9rocsparseL21csrmvt_general_kernelILj256ELj16EliaaiiEEvbbT2_NS_24const_host_device_scalarIT6_EEPKT1_S7_PKS1_PKT3_PKT4_PT5_21rocsparse_index_base_b.num_agpr, 0
	.set _ZN9rocsparseL21csrmvt_general_kernelILj256ELj16EliaaiiEEvbbT2_NS_24const_host_device_scalarIT6_EEPKT1_S7_PKS1_PKT3_PKT4_PT5_21rocsparse_index_base_b.numbered_sgpr, 22
	.set _ZN9rocsparseL21csrmvt_general_kernelILj256ELj16EliaaiiEEvbbT2_NS_24const_host_device_scalarIT6_EEPKT1_S7_PKS1_PKT3_PKT4_PT5_21rocsparse_index_base_b.num_named_barrier, 0
	.set _ZN9rocsparseL21csrmvt_general_kernelILj256ELj16EliaaiiEEvbbT2_NS_24const_host_device_scalarIT6_EEPKT1_S7_PKS1_PKT3_PKT4_PT5_21rocsparse_index_base_b.private_seg_size, 0
	.set _ZN9rocsparseL21csrmvt_general_kernelILj256ELj16EliaaiiEEvbbT2_NS_24const_host_device_scalarIT6_EEPKT1_S7_PKS1_PKT3_PKT4_PT5_21rocsparse_index_base_b.uses_vcc, 1
	.set _ZN9rocsparseL21csrmvt_general_kernelILj256ELj16EliaaiiEEvbbT2_NS_24const_host_device_scalarIT6_EEPKT1_S7_PKS1_PKT3_PKT4_PT5_21rocsparse_index_base_b.uses_flat_scratch, 0
	.set _ZN9rocsparseL21csrmvt_general_kernelILj256ELj16EliaaiiEEvbbT2_NS_24const_host_device_scalarIT6_EEPKT1_S7_PKS1_PKT3_PKT4_PT5_21rocsparse_index_base_b.has_dyn_sized_stack, 0
	.set _ZN9rocsparseL21csrmvt_general_kernelILj256ELj16EliaaiiEEvbbT2_NS_24const_host_device_scalarIT6_EEPKT1_S7_PKS1_PKT3_PKT4_PT5_21rocsparse_index_base_b.has_recursion, 0
	.set _ZN9rocsparseL21csrmvt_general_kernelILj256ELj16EliaaiiEEvbbT2_NS_24const_host_device_scalarIT6_EEPKT1_S7_PKS1_PKT3_PKT4_PT5_21rocsparse_index_base_b.has_indirect_call, 0
	.section	.AMDGPU.csdata,"",@progbits
; Kernel info:
; codeLenInByte = 844
; TotalNumSgprs: 24
; NumVgprs: 16
; ScratchSize: 0
; MemoryBound: 0
; FloatMode: 240
; IeeeMode: 1
; LDSByteSize: 0 bytes/workgroup (compile time only)
; SGPRBlocks: 0
; VGPRBlocks: 0
; NumSGPRsForWavesPerEU: 24
; NumVGPRsForWavesPerEU: 16
; NamedBarCnt: 0
; Occupancy: 16
; WaveLimiterHint : 1
; COMPUTE_PGM_RSRC2:SCRATCH_EN: 0
; COMPUTE_PGM_RSRC2:USER_SGPR: 2
; COMPUTE_PGM_RSRC2:TRAP_HANDLER: 0
; COMPUTE_PGM_RSRC2:TGID_X_EN: 1
; COMPUTE_PGM_RSRC2:TGID_Y_EN: 0
; COMPUTE_PGM_RSRC2:TGID_Z_EN: 0
; COMPUTE_PGM_RSRC2:TIDIG_COMP_CNT: 0
	.section	.text._ZN9rocsparseL21csrmvt_general_kernelILj256ELj32EliaaiiEEvbbT2_NS_24const_host_device_scalarIT6_EEPKT1_S7_PKS1_PKT3_PKT4_PT5_21rocsparse_index_base_b,"axG",@progbits,_ZN9rocsparseL21csrmvt_general_kernelILj256ELj32EliaaiiEEvbbT2_NS_24const_host_device_scalarIT6_EEPKT1_S7_PKS1_PKT3_PKT4_PT5_21rocsparse_index_base_b,comdat
	.globl	_ZN9rocsparseL21csrmvt_general_kernelILj256ELj32EliaaiiEEvbbT2_NS_24const_host_device_scalarIT6_EEPKT1_S7_PKS1_PKT3_PKT4_PT5_21rocsparse_index_base_b ; -- Begin function _ZN9rocsparseL21csrmvt_general_kernelILj256ELj32EliaaiiEEvbbT2_NS_24const_host_device_scalarIT6_EEPKT1_S7_PKS1_PKT3_PKT4_PT5_21rocsparse_index_base_b
	.p2align	8
	.type	_ZN9rocsparseL21csrmvt_general_kernelILj256ELj32EliaaiiEEvbbT2_NS_24const_host_device_scalarIT6_EEPKT1_S7_PKS1_PKT3_PKT4_PT5_21rocsparse_index_base_b,@function
_ZN9rocsparseL21csrmvt_general_kernelILj256ELj32EliaaiiEEvbbT2_NS_24const_host_device_scalarIT6_EEPKT1_S7_PKS1_PKT3_PKT4_PT5_21rocsparse_index_base_b: ; @_ZN9rocsparseL21csrmvt_general_kernelILj256ELj32EliaaiiEEvbbT2_NS_24const_host_device_scalarIT6_EEPKT1_S7_PKS1_PKT3_PKT4_PT5_21rocsparse_index_base_b
; %bb.0:
	s_clause 0x1
	s_load_b64 s[2:3], s[0:1], 0x40
	s_load_b128 s[12:15], s[0:1], 0x8
	s_wait_kmcnt 0x0
	s_bitcmp0_b32 s3, 0
	s_mov_b32 s3, 0
	s_cbranch_scc0 .LBB152_2
; %bb.1:
	s_load_b32 s18, s[12:13], 0x0
	s_and_not1_b32 vcc_lo, exec_lo, s3
	s_cbranch_vccz .LBB152_3
	s_branch .LBB152_4
.LBB152_2:
                                        ; implicit-def: $sgpr18
.LBB152_3:
	s_wait_kmcnt 0x0
	s_mov_b32 s18, s12
.LBB152_4:
	s_wait_kmcnt 0x0
	s_cmp_eq_u32 s18, 0
	s_cbranch_scc1 .LBB152_22
; %bb.5:
	s_clause 0x3
	s_load_b64 s[12:13], s[0:1], 0x0
	s_load_b32 s3, s[0:1], 0x48
	s_load_b64 s[16:17], s[0:1], 0x38
	s_load_b256 s[4:11], s[0:1], 0x18
	s_wait_xcnt 0x0
	s_bfe_u32 s0, ttmp6, 0x4000c
	s_and_b32 s19, ttmp6, 15
	s_add_co_i32 s0, s0, 1
	s_getreg_b32 s20, hwreg(HW_REG_IB_STS2, 6, 4)
	s_mul_i32 s0, ttmp9, s0
	s_delay_alu instid0(SALU_CYCLE_1)
	s_add_co_i32 s19, s19, s0
	s_wait_kmcnt 0x0
	s_and_b32 s12, s12, 1
	s_lshl_b32 s1, s3, 3
	s_cmp_eq_u32 s20, 0
	s_mov_b32 s3, -1
	s_cselect_b32 s0, ttmp9, s19
	s_cmp_eq_u32 s12, 0
	v_lshl_or_b32 v1, s0, 8, v0
	s_delay_alu instid0(VALU_DEP_1) | instskip(NEXT) | instid1(VALU_DEP_1)
	v_dual_lshrrev_b32 v2, 5, v1 :: v_dual_bitop2_b32 v0, 31, v0 bitop3:0x40
	v_cmp_gt_i32_e64 s0, s13, v2
	s_cbranch_scc0 .LBB152_13
; %bb.6:
	s_and_saveexec_b32 s12, s0
	s_cbranch_execz .LBB152_12
; %bb.7:
	v_dual_mov_b32 v1, 0 :: v_dual_mov_b32 v6, v2
	s_mov_b32 s3, 0
	s_delay_alu instid0(SALU_CYCLE_1) | instskip(NEXT) | instid1(VALU_DEP_1)
	s_mov_b32 s19, s3
	v_sub_nc_u64_e64 v[4:5], v[0:1], s[2:3]
	s_branch .LBB152_9
.LBB152_8:                              ;   in Loop: Header=BB152_9 Depth=1
	s_or_b32 exec_lo, exec_lo, s20
	v_add_nc_u32_e32 v6, s1, v6
	s_delay_alu instid0(VALU_DEP_1) | instskip(SKIP_1) | instid1(SALU_CYCLE_1)
	v_cmp_le_i32_e32 vcc_lo, s13, v6
	s_or_b32 s19, vcc_lo, s19
	s_and_not1_b32 exec_lo, exec_lo, s19
	s_cbranch_execz .LBB152_12
.LBB152_9:                              ; =>This Loop Header: Depth=1
                                        ;     Child Loop BB152_11 Depth 2
	s_clause 0x1
	global_load_b64 v[8:9], v6, s[4:5] scale_offset
	global_load_b64 v[10:11], v6, s[14:15] scale_offset
	s_mov_b32 s20, exec_lo
	s_wait_loadcnt 0x1
	v_sub_nc_u64_e64 v[8:9], v[8:9], s[2:3]
	s_wait_loadcnt 0x0
	v_add_nc_u64_e32 v[10:11], v[10:11], v[4:5]
	s_wait_xcnt 0x0
	s_delay_alu instid0(VALU_DEP_1)
	v_cmpx_lt_i64_e64 v[10:11], v[8:9]
	s_cbranch_execz .LBB152_8
; %bb.10:                               ;   in Loop: Header=BB152_9 Depth=1
	v_ashrrev_i32_e32 v7, 31, v6
	s_mov_b32 s21, 0
	s_delay_alu instid0(VALU_DEP_1)
	v_add_nc_u64_e32 v[12:13], s[10:11], v[6:7]
	global_load_i8 v1, v[12:13], off
	s_wait_xcnt 0x0
	v_lshl_add_u64 v[12:13], v[10:11], 2, s[6:7]
	s_wait_loadcnt 0x0
	v_mul_lo_u32 v1, s18, v1
.LBB152_11:                             ;   Parent Loop BB152_9 Depth=1
                                        ; =>  This Inner Loop Header: Depth=2
	v_add_nc_u64_e32 v[14:15], s[8:9], v[10:11]
	v_add_nc_u64_e32 v[10:11], 32, v[10:11]
	global_load_i8 v3, v[14:15], off
	global_load_b32 v7, v[12:13], off
	v_cmp_ge_i64_e32 vcc_lo, v[10:11], v[8:9]
	s_wait_xcnt 0x0
	v_add_nc_u64_e32 v[12:13], 0x80, v[12:13]
	s_or_b32 s21, vcc_lo, s21
	s_wait_loadcnt 0x1
	v_mul_lo_u32 v3, v1, v3
	s_wait_loadcnt 0x0
	v_subrev_nc_u32_e32 v7, s2, v7
	global_atomic_add_u32 v7, v3, s[16:17] scale_offset scope:SCOPE_DEV
	s_wait_xcnt 0x0
	s_and_not1_b32 exec_lo, exec_lo, s21
	s_cbranch_execnz .LBB152_11
	s_branch .LBB152_8
.LBB152_12:
	s_or_b32 exec_lo, exec_lo, s12
	s_mov_b32 s3, 0
.LBB152_13:
	s_delay_alu instid0(SALU_CYCLE_1)
	s_and_not1_b32 vcc_lo, exec_lo, s3
	s_cbranch_vccnz .LBB152_22
; %bb.14:
	s_and_saveexec_b32 s3, s0
	s_cbranch_execz .LBB152_22
; %bb.15:
	v_mov_b32_e32 v1, 0
	s_mov_b32 s3, 0
	s_delay_alu instid0(SALU_CYCLE_1) | instskip(NEXT) | instid1(VALU_DEP_1)
	s_mov_b32 s0, s3
	v_sub_nc_u64_e64 v[0:1], v[0:1], s[2:3]
	s_branch .LBB152_17
.LBB152_16:                             ;   in Loop: Header=BB152_17 Depth=1
	s_or_b32 exec_lo, exec_lo, s12
	v_add_nc_u32_e32 v2, s1, v2
	s_delay_alu instid0(VALU_DEP_1) | instskip(SKIP_1) | instid1(SALU_CYCLE_1)
	v_cmp_le_i32_e32 vcc_lo, s13, v2
	s_or_b32 s0, vcc_lo, s0
	s_and_not1_b32 exec_lo, exec_lo, s0
	s_cbranch_execz .LBB152_22
.LBB152_17:                             ; =>This Loop Header: Depth=1
                                        ;     Child Loop BB152_20 Depth 2
	s_clause 0x1
	global_load_b64 v[4:5], v2, s[4:5] scale_offset
	global_load_b64 v[6:7], v2, s[14:15] scale_offset
	s_mov_b32 s12, exec_lo
	s_wait_loadcnt 0x1
	v_sub_nc_u64_e64 v[4:5], v[4:5], s[2:3]
	s_wait_loadcnt 0x0
	v_add_nc_u64_e32 v[6:7], v[6:7], v[0:1]
	s_wait_xcnt 0x0
	s_delay_alu instid0(VALU_DEP_1)
	v_cmpx_lt_i64_e64 v[6:7], v[4:5]
	s_cbranch_execz .LBB152_16
; %bb.18:                               ;   in Loop: Header=BB152_17 Depth=1
	v_ashrrev_i32_e32 v3, 31, v2
	s_mov_b32 s19, 0
	s_delay_alu instid0(VALU_DEP_1)
	v_add_nc_u64_e32 v[8:9], s[10:11], v[2:3]
	global_load_i8 v3, v[8:9], off
	s_wait_xcnt 0x0
	v_lshl_add_u64 v[8:9], v[6:7], 2, s[6:7]
	s_wait_loadcnt 0x0
	v_mul_lo_u32 v3, s18, v3
	s_branch .LBB152_20
.LBB152_19:                             ;   in Loop: Header=BB152_20 Depth=2
	s_wait_xcnt 0x0
	s_or_b32 exec_lo, exec_lo, s20
	v_add_nc_u64_e32 v[6:7], 32, v[6:7]
	v_add_nc_u64_e32 v[8:9], 0x80, v[8:9]
	s_delay_alu instid0(VALU_DEP_2) | instskip(SKIP_1) | instid1(SALU_CYCLE_1)
	v_cmp_ge_i64_e32 vcc_lo, v[6:7], v[4:5]
	s_or_b32 s19, vcc_lo, s19
	s_and_not1_b32 exec_lo, exec_lo, s19
	s_cbranch_execz .LBB152_16
.LBB152_20:                             ;   Parent Loop BB152_17 Depth=1
                                        ; =>  This Inner Loop Header: Depth=2
	global_load_b32 v10, v[8:9], off
	s_mov_b32 s20, exec_lo
	s_wait_loadcnt 0x0
	v_subrev_nc_u32_e32 v10, s2, v10
	s_wait_xcnt 0x0
	s_delay_alu instid0(VALU_DEP_1)
	v_cmpx_ne_u32_e64 v10, v2
	s_cbranch_execz .LBB152_19
; %bb.21:                               ;   in Loop: Header=BB152_20 Depth=2
	v_add_nc_u64_e32 v[12:13], s[8:9], v[6:7]
	global_load_i8 v11, v[12:13], off
	s_wait_loadcnt 0x0
	v_mul_lo_u32 v11, v3, v11
	s_wait_xcnt 0x0
	global_atomic_add_u32 v10, v11, s[16:17] scale_offset scope:SCOPE_DEV
	s_branch .LBB152_19
.LBB152_22:
	s_endpgm
	.section	.rodata,"a",@progbits
	.p2align	6, 0x0
	.amdhsa_kernel _ZN9rocsparseL21csrmvt_general_kernelILj256ELj32EliaaiiEEvbbT2_NS_24const_host_device_scalarIT6_EEPKT1_S7_PKS1_PKT3_PKT4_PT5_21rocsparse_index_base_b
		.amdhsa_group_segment_fixed_size 0
		.amdhsa_private_segment_fixed_size 0
		.amdhsa_kernarg_size 328
		.amdhsa_user_sgpr_count 2
		.amdhsa_user_sgpr_dispatch_ptr 0
		.amdhsa_user_sgpr_queue_ptr 0
		.amdhsa_user_sgpr_kernarg_segment_ptr 1
		.amdhsa_user_sgpr_dispatch_id 0
		.amdhsa_user_sgpr_kernarg_preload_length 0
		.amdhsa_user_sgpr_kernarg_preload_offset 0
		.amdhsa_user_sgpr_private_segment_size 0
		.amdhsa_wavefront_size32 1
		.amdhsa_uses_dynamic_stack 0
		.amdhsa_enable_private_segment 0
		.amdhsa_system_sgpr_workgroup_id_x 1
		.amdhsa_system_sgpr_workgroup_id_y 0
		.amdhsa_system_sgpr_workgroup_id_z 0
		.amdhsa_system_sgpr_workgroup_info 0
		.amdhsa_system_vgpr_workitem_id 0
		.amdhsa_next_free_vgpr 16
		.amdhsa_next_free_sgpr 22
		.amdhsa_named_barrier_count 0
		.amdhsa_reserve_vcc 1
		.amdhsa_float_round_mode_32 0
		.amdhsa_float_round_mode_16_64 0
		.amdhsa_float_denorm_mode_32 3
		.amdhsa_float_denorm_mode_16_64 3
		.amdhsa_fp16_overflow 0
		.amdhsa_memory_ordered 1
		.amdhsa_forward_progress 1
		.amdhsa_inst_pref_size 7
		.amdhsa_round_robin_scheduling 0
		.amdhsa_exception_fp_ieee_invalid_op 0
		.amdhsa_exception_fp_denorm_src 0
		.amdhsa_exception_fp_ieee_div_zero 0
		.amdhsa_exception_fp_ieee_overflow 0
		.amdhsa_exception_fp_ieee_underflow 0
		.amdhsa_exception_fp_ieee_inexact 0
		.amdhsa_exception_int_div_zero 0
	.end_amdhsa_kernel
	.section	.text._ZN9rocsparseL21csrmvt_general_kernelILj256ELj32EliaaiiEEvbbT2_NS_24const_host_device_scalarIT6_EEPKT1_S7_PKS1_PKT3_PKT4_PT5_21rocsparse_index_base_b,"axG",@progbits,_ZN9rocsparseL21csrmvt_general_kernelILj256ELj32EliaaiiEEvbbT2_NS_24const_host_device_scalarIT6_EEPKT1_S7_PKS1_PKT3_PKT4_PT5_21rocsparse_index_base_b,comdat
.Lfunc_end152:
	.size	_ZN9rocsparseL21csrmvt_general_kernelILj256ELj32EliaaiiEEvbbT2_NS_24const_host_device_scalarIT6_EEPKT1_S7_PKS1_PKT3_PKT4_PT5_21rocsparse_index_base_b, .Lfunc_end152-_ZN9rocsparseL21csrmvt_general_kernelILj256ELj32EliaaiiEEvbbT2_NS_24const_host_device_scalarIT6_EEPKT1_S7_PKS1_PKT3_PKT4_PT5_21rocsparse_index_base_b
                                        ; -- End function
	.set _ZN9rocsparseL21csrmvt_general_kernelILj256ELj32EliaaiiEEvbbT2_NS_24const_host_device_scalarIT6_EEPKT1_S7_PKS1_PKT3_PKT4_PT5_21rocsparse_index_base_b.num_vgpr, 16
	.set _ZN9rocsparseL21csrmvt_general_kernelILj256ELj32EliaaiiEEvbbT2_NS_24const_host_device_scalarIT6_EEPKT1_S7_PKS1_PKT3_PKT4_PT5_21rocsparse_index_base_b.num_agpr, 0
	.set _ZN9rocsparseL21csrmvt_general_kernelILj256ELj32EliaaiiEEvbbT2_NS_24const_host_device_scalarIT6_EEPKT1_S7_PKS1_PKT3_PKT4_PT5_21rocsparse_index_base_b.numbered_sgpr, 22
	.set _ZN9rocsparseL21csrmvt_general_kernelILj256ELj32EliaaiiEEvbbT2_NS_24const_host_device_scalarIT6_EEPKT1_S7_PKS1_PKT3_PKT4_PT5_21rocsparse_index_base_b.num_named_barrier, 0
	.set _ZN9rocsparseL21csrmvt_general_kernelILj256ELj32EliaaiiEEvbbT2_NS_24const_host_device_scalarIT6_EEPKT1_S7_PKS1_PKT3_PKT4_PT5_21rocsparse_index_base_b.private_seg_size, 0
	.set _ZN9rocsparseL21csrmvt_general_kernelILj256ELj32EliaaiiEEvbbT2_NS_24const_host_device_scalarIT6_EEPKT1_S7_PKS1_PKT3_PKT4_PT5_21rocsparse_index_base_b.uses_vcc, 1
	.set _ZN9rocsparseL21csrmvt_general_kernelILj256ELj32EliaaiiEEvbbT2_NS_24const_host_device_scalarIT6_EEPKT1_S7_PKS1_PKT3_PKT4_PT5_21rocsparse_index_base_b.uses_flat_scratch, 0
	.set _ZN9rocsparseL21csrmvt_general_kernelILj256ELj32EliaaiiEEvbbT2_NS_24const_host_device_scalarIT6_EEPKT1_S7_PKS1_PKT3_PKT4_PT5_21rocsparse_index_base_b.has_dyn_sized_stack, 0
	.set _ZN9rocsparseL21csrmvt_general_kernelILj256ELj32EliaaiiEEvbbT2_NS_24const_host_device_scalarIT6_EEPKT1_S7_PKS1_PKT3_PKT4_PT5_21rocsparse_index_base_b.has_recursion, 0
	.set _ZN9rocsparseL21csrmvt_general_kernelILj256ELj32EliaaiiEEvbbT2_NS_24const_host_device_scalarIT6_EEPKT1_S7_PKS1_PKT3_PKT4_PT5_21rocsparse_index_base_b.has_indirect_call, 0
	.section	.AMDGPU.csdata,"",@progbits
; Kernel info:
; codeLenInByte = 852
; TotalNumSgprs: 24
; NumVgprs: 16
; ScratchSize: 0
; MemoryBound: 0
; FloatMode: 240
; IeeeMode: 1
; LDSByteSize: 0 bytes/workgroup (compile time only)
; SGPRBlocks: 0
; VGPRBlocks: 0
; NumSGPRsForWavesPerEU: 24
; NumVGPRsForWavesPerEU: 16
; NamedBarCnt: 0
; Occupancy: 16
; WaveLimiterHint : 1
; COMPUTE_PGM_RSRC2:SCRATCH_EN: 0
; COMPUTE_PGM_RSRC2:USER_SGPR: 2
; COMPUTE_PGM_RSRC2:TRAP_HANDLER: 0
; COMPUTE_PGM_RSRC2:TGID_X_EN: 1
; COMPUTE_PGM_RSRC2:TGID_Y_EN: 0
; COMPUTE_PGM_RSRC2:TGID_Z_EN: 0
; COMPUTE_PGM_RSRC2:TIDIG_COMP_CNT: 0
	.section	.text._ZN9rocsparseL21csrmvt_general_kernelILj256ELj64EliaaiiEEvbbT2_NS_24const_host_device_scalarIT6_EEPKT1_S7_PKS1_PKT3_PKT4_PT5_21rocsparse_index_base_b,"axG",@progbits,_ZN9rocsparseL21csrmvt_general_kernelILj256ELj64EliaaiiEEvbbT2_NS_24const_host_device_scalarIT6_EEPKT1_S7_PKS1_PKT3_PKT4_PT5_21rocsparse_index_base_b,comdat
	.globl	_ZN9rocsparseL21csrmvt_general_kernelILj256ELj64EliaaiiEEvbbT2_NS_24const_host_device_scalarIT6_EEPKT1_S7_PKS1_PKT3_PKT4_PT5_21rocsparse_index_base_b ; -- Begin function _ZN9rocsparseL21csrmvt_general_kernelILj256ELj64EliaaiiEEvbbT2_NS_24const_host_device_scalarIT6_EEPKT1_S7_PKS1_PKT3_PKT4_PT5_21rocsparse_index_base_b
	.p2align	8
	.type	_ZN9rocsparseL21csrmvt_general_kernelILj256ELj64EliaaiiEEvbbT2_NS_24const_host_device_scalarIT6_EEPKT1_S7_PKS1_PKT3_PKT4_PT5_21rocsparse_index_base_b,@function
_ZN9rocsparseL21csrmvt_general_kernelILj256ELj64EliaaiiEEvbbT2_NS_24const_host_device_scalarIT6_EEPKT1_S7_PKS1_PKT3_PKT4_PT5_21rocsparse_index_base_b: ; @_ZN9rocsparseL21csrmvt_general_kernelILj256ELj64EliaaiiEEvbbT2_NS_24const_host_device_scalarIT6_EEPKT1_S7_PKS1_PKT3_PKT4_PT5_21rocsparse_index_base_b
; %bb.0:
	s_clause 0x1
	s_load_b64 s[2:3], s[0:1], 0x40
	s_load_b128 s[12:15], s[0:1], 0x8
	s_wait_kmcnt 0x0
	s_bitcmp0_b32 s3, 0
	s_mov_b32 s3, 0
	s_cbranch_scc0 .LBB153_2
; %bb.1:
	s_load_b32 s18, s[12:13], 0x0
	s_and_not1_b32 vcc_lo, exec_lo, s3
	s_cbranch_vccz .LBB153_3
	s_branch .LBB153_4
.LBB153_2:
                                        ; implicit-def: $sgpr18
.LBB153_3:
	s_wait_kmcnt 0x0
	s_mov_b32 s18, s12
.LBB153_4:
	s_wait_kmcnt 0x0
	s_cmp_eq_u32 s18, 0
	s_cbranch_scc1 .LBB153_22
; %bb.5:
	s_clause 0x3
	s_load_b64 s[12:13], s[0:1], 0x0
	s_load_b32 s3, s[0:1], 0x48
	s_load_b64 s[16:17], s[0:1], 0x38
	s_load_b256 s[4:11], s[0:1], 0x18
	s_wait_xcnt 0x0
	s_bfe_u32 s0, ttmp6, 0x4000c
	s_and_b32 s19, ttmp6, 15
	s_add_co_i32 s0, s0, 1
	s_getreg_b32 s20, hwreg(HW_REG_IB_STS2, 6, 4)
	s_mul_i32 s0, ttmp9, s0
	s_delay_alu instid0(SALU_CYCLE_1)
	s_add_co_i32 s19, s19, s0
	s_wait_kmcnt 0x0
	s_and_b32 s12, s12, 1
	s_lshl_b32 s1, s3, 2
	s_cmp_eq_u32 s20, 0
	s_mov_b32 s3, -1
	s_cselect_b32 s0, ttmp9, s19
	s_cmp_eq_u32 s12, 0
	v_lshl_or_b32 v1, s0, 8, v0
	s_delay_alu instid0(VALU_DEP_1) | instskip(NEXT) | instid1(VALU_DEP_1)
	v_dual_lshrrev_b32 v2, 6, v1 :: v_dual_bitop2_b32 v0, 63, v0 bitop3:0x40
	v_cmp_gt_i32_e64 s0, s13, v2
	s_cbranch_scc0 .LBB153_13
; %bb.6:
	s_and_saveexec_b32 s12, s0
	s_cbranch_execz .LBB153_12
; %bb.7:
	v_dual_mov_b32 v1, 0 :: v_dual_mov_b32 v6, v2
	s_mov_b32 s3, 0
	s_delay_alu instid0(SALU_CYCLE_1) | instskip(NEXT) | instid1(VALU_DEP_1)
	s_mov_b32 s19, s3
	v_sub_nc_u64_e64 v[4:5], v[0:1], s[2:3]
	s_branch .LBB153_9
.LBB153_8:                              ;   in Loop: Header=BB153_9 Depth=1
	s_or_b32 exec_lo, exec_lo, s20
	v_add_nc_u32_e32 v6, s1, v6
	s_delay_alu instid0(VALU_DEP_1) | instskip(SKIP_1) | instid1(SALU_CYCLE_1)
	v_cmp_le_i32_e32 vcc_lo, s13, v6
	s_or_b32 s19, vcc_lo, s19
	s_and_not1_b32 exec_lo, exec_lo, s19
	s_cbranch_execz .LBB153_12
.LBB153_9:                              ; =>This Loop Header: Depth=1
                                        ;     Child Loop BB153_11 Depth 2
	s_clause 0x1
	global_load_b64 v[8:9], v6, s[4:5] scale_offset
	global_load_b64 v[10:11], v6, s[14:15] scale_offset
	s_mov_b32 s20, exec_lo
	s_wait_loadcnt 0x1
	v_sub_nc_u64_e64 v[8:9], v[8:9], s[2:3]
	s_wait_loadcnt 0x0
	v_add_nc_u64_e32 v[10:11], v[10:11], v[4:5]
	s_wait_xcnt 0x0
	s_delay_alu instid0(VALU_DEP_1)
	v_cmpx_lt_i64_e64 v[10:11], v[8:9]
	s_cbranch_execz .LBB153_8
; %bb.10:                               ;   in Loop: Header=BB153_9 Depth=1
	v_ashrrev_i32_e32 v7, 31, v6
	s_mov_b32 s21, 0
	s_delay_alu instid0(VALU_DEP_1)
	v_add_nc_u64_e32 v[12:13], s[10:11], v[6:7]
	global_load_i8 v1, v[12:13], off
	s_wait_xcnt 0x0
	v_lshl_add_u64 v[12:13], v[10:11], 2, s[6:7]
	s_wait_loadcnt 0x0
	v_mul_lo_u32 v1, s18, v1
.LBB153_11:                             ;   Parent Loop BB153_9 Depth=1
                                        ; =>  This Inner Loop Header: Depth=2
	v_add_nc_u64_e32 v[14:15], s[8:9], v[10:11]
	v_add_nc_u64_e32 v[10:11], 64, v[10:11]
	global_load_i8 v3, v[14:15], off
	global_load_b32 v7, v[12:13], off
	v_cmp_ge_i64_e32 vcc_lo, v[10:11], v[8:9]
	s_wait_xcnt 0x0
	v_add_nc_u64_e32 v[12:13], 0x100, v[12:13]
	s_or_b32 s21, vcc_lo, s21
	s_wait_loadcnt 0x1
	v_mul_lo_u32 v3, v1, v3
	s_wait_loadcnt 0x0
	v_subrev_nc_u32_e32 v7, s2, v7
	global_atomic_add_u32 v7, v3, s[16:17] scale_offset scope:SCOPE_DEV
	s_wait_xcnt 0x0
	s_and_not1_b32 exec_lo, exec_lo, s21
	s_cbranch_execnz .LBB153_11
	s_branch .LBB153_8
.LBB153_12:
	s_or_b32 exec_lo, exec_lo, s12
	s_mov_b32 s3, 0
.LBB153_13:
	s_delay_alu instid0(SALU_CYCLE_1)
	s_and_not1_b32 vcc_lo, exec_lo, s3
	s_cbranch_vccnz .LBB153_22
; %bb.14:
	s_and_saveexec_b32 s3, s0
	s_cbranch_execz .LBB153_22
; %bb.15:
	v_mov_b32_e32 v1, 0
	s_mov_b32 s3, 0
	s_delay_alu instid0(SALU_CYCLE_1) | instskip(NEXT) | instid1(VALU_DEP_1)
	s_mov_b32 s0, s3
	v_sub_nc_u64_e64 v[0:1], v[0:1], s[2:3]
	s_branch .LBB153_17
.LBB153_16:                             ;   in Loop: Header=BB153_17 Depth=1
	s_or_b32 exec_lo, exec_lo, s12
	v_add_nc_u32_e32 v2, s1, v2
	s_delay_alu instid0(VALU_DEP_1) | instskip(SKIP_1) | instid1(SALU_CYCLE_1)
	v_cmp_le_i32_e32 vcc_lo, s13, v2
	s_or_b32 s0, vcc_lo, s0
	s_and_not1_b32 exec_lo, exec_lo, s0
	s_cbranch_execz .LBB153_22
.LBB153_17:                             ; =>This Loop Header: Depth=1
                                        ;     Child Loop BB153_20 Depth 2
	s_clause 0x1
	global_load_b64 v[4:5], v2, s[4:5] scale_offset
	global_load_b64 v[6:7], v2, s[14:15] scale_offset
	s_mov_b32 s12, exec_lo
	s_wait_loadcnt 0x1
	v_sub_nc_u64_e64 v[4:5], v[4:5], s[2:3]
	s_wait_loadcnt 0x0
	v_add_nc_u64_e32 v[6:7], v[6:7], v[0:1]
	s_wait_xcnt 0x0
	s_delay_alu instid0(VALU_DEP_1)
	v_cmpx_lt_i64_e64 v[6:7], v[4:5]
	s_cbranch_execz .LBB153_16
; %bb.18:                               ;   in Loop: Header=BB153_17 Depth=1
	v_ashrrev_i32_e32 v3, 31, v2
	s_mov_b32 s19, 0
	s_delay_alu instid0(VALU_DEP_1)
	v_add_nc_u64_e32 v[8:9], s[10:11], v[2:3]
	global_load_i8 v3, v[8:9], off
	s_wait_xcnt 0x0
	v_lshl_add_u64 v[8:9], v[6:7], 2, s[6:7]
	s_wait_loadcnt 0x0
	v_mul_lo_u32 v3, s18, v3
	s_branch .LBB153_20
.LBB153_19:                             ;   in Loop: Header=BB153_20 Depth=2
	s_wait_xcnt 0x0
	s_or_b32 exec_lo, exec_lo, s20
	v_add_nc_u64_e32 v[6:7], 64, v[6:7]
	v_add_nc_u64_e32 v[8:9], 0x100, v[8:9]
	s_delay_alu instid0(VALU_DEP_2) | instskip(SKIP_1) | instid1(SALU_CYCLE_1)
	v_cmp_ge_i64_e32 vcc_lo, v[6:7], v[4:5]
	s_or_b32 s19, vcc_lo, s19
	s_and_not1_b32 exec_lo, exec_lo, s19
	s_cbranch_execz .LBB153_16
.LBB153_20:                             ;   Parent Loop BB153_17 Depth=1
                                        ; =>  This Inner Loop Header: Depth=2
	global_load_b32 v10, v[8:9], off
	s_mov_b32 s20, exec_lo
	s_wait_loadcnt 0x0
	v_subrev_nc_u32_e32 v10, s2, v10
	s_wait_xcnt 0x0
	s_delay_alu instid0(VALU_DEP_1)
	v_cmpx_ne_u32_e64 v10, v2
	s_cbranch_execz .LBB153_19
; %bb.21:                               ;   in Loop: Header=BB153_20 Depth=2
	v_add_nc_u64_e32 v[12:13], s[8:9], v[6:7]
	global_load_i8 v11, v[12:13], off
	s_wait_loadcnt 0x0
	v_mul_lo_u32 v11, v3, v11
	s_wait_xcnt 0x0
	global_atomic_add_u32 v10, v11, s[16:17] scale_offset scope:SCOPE_DEV
	s_branch .LBB153_19
.LBB153_22:
	s_endpgm
	.section	.rodata,"a",@progbits
	.p2align	6, 0x0
	.amdhsa_kernel _ZN9rocsparseL21csrmvt_general_kernelILj256ELj64EliaaiiEEvbbT2_NS_24const_host_device_scalarIT6_EEPKT1_S7_PKS1_PKT3_PKT4_PT5_21rocsparse_index_base_b
		.amdhsa_group_segment_fixed_size 0
		.amdhsa_private_segment_fixed_size 0
		.amdhsa_kernarg_size 328
		.amdhsa_user_sgpr_count 2
		.amdhsa_user_sgpr_dispatch_ptr 0
		.amdhsa_user_sgpr_queue_ptr 0
		.amdhsa_user_sgpr_kernarg_segment_ptr 1
		.amdhsa_user_sgpr_dispatch_id 0
		.amdhsa_user_sgpr_kernarg_preload_length 0
		.amdhsa_user_sgpr_kernarg_preload_offset 0
		.amdhsa_user_sgpr_private_segment_size 0
		.amdhsa_wavefront_size32 1
		.amdhsa_uses_dynamic_stack 0
		.amdhsa_enable_private_segment 0
		.amdhsa_system_sgpr_workgroup_id_x 1
		.amdhsa_system_sgpr_workgroup_id_y 0
		.amdhsa_system_sgpr_workgroup_id_z 0
		.amdhsa_system_sgpr_workgroup_info 0
		.amdhsa_system_vgpr_workitem_id 0
		.amdhsa_next_free_vgpr 16
		.amdhsa_next_free_sgpr 22
		.amdhsa_named_barrier_count 0
		.amdhsa_reserve_vcc 1
		.amdhsa_float_round_mode_32 0
		.amdhsa_float_round_mode_16_64 0
		.amdhsa_float_denorm_mode_32 3
		.amdhsa_float_denorm_mode_16_64 3
		.amdhsa_fp16_overflow 0
		.amdhsa_memory_ordered 1
		.amdhsa_forward_progress 1
		.amdhsa_inst_pref_size 7
		.amdhsa_round_robin_scheduling 0
		.amdhsa_exception_fp_ieee_invalid_op 0
		.amdhsa_exception_fp_denorm_src 0
		.amdhsa_exception_fp_ieee_div_zero 0
		.amdhsa_exception_fp_ieee_overflow 0
		.amdhsa_exception_fp_ieee_underflow 0
		.amdhsa_exception_fp_ieee_inexact 0
		.amdhsa_exception_int_div_zero 0
	.end_amdhsa_kernel
	.section	.text._ZN9rocsparseL21csrmvt_general_kernelILj256ELj64EliaaiiEEvbbT2_NS_24const_host_device_scalarIT6_EEPKT1_S7_PKS1_PKT3_PKT4_PT5_21rocsparse_index_base_b,"axG",@progbits,_ZN9rocsparseL21csrmvt_general_kernelILj256ELj64EliaaiiEEvbbT2_NS_24const_host_device_scalarIT6_EEPKT1_S7_PKS1_PKT3_PKT4_PT5_21rocsparse_index_base_b,comdat
.Lfunc_end153:
	.size	_ZN9rocsparseL21csrmvt_general_kernelILj256ELj64EliaaiiEEvbbT2_NS_24const_host_device_scalarIT6_EEPKT1_S7_PKS1_PKT3_PKT4_PT5_21rocsparse_index_base_b, .Lfunc_end153-_ZN9rocsparseL21csrmvt_general_kernelILj256ELj64EliaaiiEEvbbT2_NS_24const_host_device_scalarIT6_EEPKT1_S7_PKS1_PKT3_PKT4_PT5_21rocsparse_index_base_b
                                        ; -- End function
	.set _ZN9rocsparseL21csrmvt_general_kernelILj256ELj64EliaaiiEEvbbT2_NS_24const_host_device_scalarIT6_EEPKT1_S7_PKS1_PKT3_PKT4_PT5_21rocsparse_index_base_b.num_vgpr, 16
	.set _ZN9rocsparseL21csrmvt_general_kernelILj256ELj64EliaaiiEEvbbT2_NS_24const_host_device_scalarIT6_EEPKT1_S7_PKS1_PKT3_PKT4_PT5_21rocsparse_index_base_b.num_agpr, 0
	.set _ZN9rocsparseL21csrmvt_general_kernelILj256ELj64EliaaiiEEvbbT2_NS_24const_host_device_scalarIT6_EEPKT1_S7_PKS1_PKT3_PKT4_PT5_21rocsparse_index_base_b.numbered_sgpr, 22
	.set _ZN9rocsparseL21csrmvt_general_kernelILj256ELj64EliaaiiEEvbbT2_NS_24const_host_device_scalarIT6_EEPKT1_S7_PKS1_PKT3_PKT4_PT5_21rocsparse_index_base_b.num_named_barrier, 0
	.set _ZN9rocsparseL21csrmvt_general_kernelILj256ELj64EliaaiiEEvbbT2_NS_24const_host_device_scalarIT6_EEPKT1_S7_PKS1_PKT3_PKT4_PT5_21rocsparse_index_base_b.private_seg_size, 0
	.set _ZN9rocsparseL21csrmvt_general_kernelILj256ELj64EliaaiiEEvbbT2_NS_24const_host_device_scalarIT6_EEPKT1_S7_PKS1_PKT3_PKT4_PT5_21rocsparse_index_base_b.uses_vcc, 1
	.set _ZN9rocsparseL21csrmvt_general_kernelILj256ELj64EliaaiiEEvbbT2_NS_24const_host_device_scalarIT6_EEPKT1_S7_PKS1_PKT3_PKT4_PT5_21rocsparse_index_base_b.uses_flat_scratch, 0
	.set _ZN9rocsparseL21csrmvt_general_kernelILj256ELj64EliaaiiEEvbbT2_NS_24const_host_device_scalarIT6_EEPKT1_S7_PKS1_PKT3_PKT4_PT5_21rocsparse_index_base_b.has_dyn_sized_stack, 0
	.set _ZN9rocsparseL21csrmvt_general_kernelILj256ELj64EliaaiiEEvbbT2_NS_24const_host_device_scalarIT6_EEPKT1_S7_PKS1_PKT3_PKT4_PT5_21rocsparse_index_base_b.has_recursion, 0
	.set _ZN9rocsparseL21csrmvt_general_kernelILj256ELj64EliaaiiEEvbbT2_NS_24const_host_device_scalarIT6_EEPKT1_S7_PKS1_PKT3_PKT4_PT5_21rocsparse_index_base_b.has_indirect_call, 0
	.section	.AMDGPU.csdata,"",@progbits
; Kernel info:
; codeLenInByte = 852
; TotalNumSgprs: 24
; NumVgprs: 16
; ScratchSize: 0
; MemoryBound: 0
; FloatMode: 240
; IeeeMode: 1
; LDSByteSize: 0 bytes/workgroup (compile time only)
; SGPRBlocks: 0
; VGPRBlocks: 0
; NumSGPRsForWavesPerEU: 24
; NumVGPRsForWavesPerEU: 16
; NamedBarCnt: 0
; Occupancy: 16
; WaveLimiterHint : 1
; COMPUTE_PGM_RSRC2:SCRATCH_EN: 0
; COMPUTE_PGM_RSRC2:USER_SGPR: 2
; COMPUTE_PGM_RSRC2:TRAP_HANDLER: 0
; COMPUTE_PGM_RSRC2:TGID_X_EN: 1
; COMPUTE_PGM_RSRC2:TGID_Y_EN: 0
; COMPUTE_PGM_RSRC2:TGID_Z_EN: 0
; COMPUTE_PGM_RSRC2:TIDIG_COMP_CNT: 0
	.section	.text._ZN9rocsparseL21csrmvn_general_kernelILj256ELj2EllaaiiEEvbT2_NS_24const_host_device_scalarIT6_EEPKT1_S7_PKS1_PKT3_PKT4_S4_PT5_21rocsparse_index_base_b,"axG",@progbits,_ZN9rocsparseL21csrmvn_general_kernelILj256ELj2EllaaiiEEvbT2_NS_24const_host_device_scalarIT6_EEPKT1_S7_PKS1_PKT3_PKT4_S4_PT5_21rocsparse_index_base_b,comdat
	.globl	_ZN9rocsparseL21csrmvn_general_kernelILj256ELj2EllaaiiEEvbT2_NS_24const_host_device_scalarIT6_EEPKT1_S7_PKS1_PKT3_PKT4_S4_PT5_21rocsparse_index_base_b ; -- Begin function _ZN9rocsparseL21csrmvn_general_kernelILj256ELj2EllaaiiEEvbT2_NS_24const_host_device_scalarIT6_EEPKT1_S7_PKS1_PKT3_PKT4_S4_PT5_21rocsparse_index_base_b
	.p2align	8
	.type	_ZN9rocsparseL21csrmvn_general_kernelILj256ELj2EllaaiiEEvbT2_NS_24const_host_device_scalarIT6_EEPKT1_S7_PKS1_PKT3_PKT4_S4_PT5_21rocsparse_index_base_b,@function
_ZN9rocsparseL21csrmvn_general_kernelILj256ELj2EllaaiiEEvbT2_NS_24const_host_device_scalarIT6_EEPKT1_S7_PKS1_PKT3_PKT4_S4_PT5_21rocsparse_index_base_b: ; @_ZN9rocsparseL21csrmvn_general_kernelILj256ELj2EllaaiiEEvbT2_NS_24const_host_device_scalarIT6_EEPKT1_S7_PKS1_PKT3_PKT4_S4_PT5_21rocsparse_index_base_b
; %bb.0:
	s_clause 0x1
	s_load_b64 s[2:3], s[0:1], 0x50
	s_load_b256 s[4:11], s[0:1], 0x8
	s_mov_b32 s14, -1
                                        ; implicit-def: $sgpr20
	s_wait_kmcnt 0x0
	s_bitcmp1_b32 s3, 0
	s_cselect_b32 s3, -1, 0
	s_delay_alu instid0(SALU_CYCLE_1) | instskip(NEXT) | instid1(SALU_CYCLE_1)
	s_xor_b32 s3, s3, -1
	s_and_b32 vcc_lo, exec_lo, s3
	s_cbranch_vccnz .LBB154_4
; %bb.1:
	s_load_b64 s[12:13], s[0:1], 0x40
	s_and_not1_b32 vcc_lo, exec_lo, s14
	s_cbranch_vccz .LBB154_5
.LBB154_2:
	s_and_b32 vcc_lo, exec_lo, s3
	s_cbranch_vccz .LBB154_6
.LBB154_3:
	s_wait_kmcnt 0x0
	s_load_b32 s21, s[12:13], 0x0
	s_cbranch_execz .LBB154_7
	s_branch .LBB154_8
.LBB154_4:
	s_load_b32 s20, s[6:7], 0x0
	s_load_b64 s[12:13], s[0:1], 0x40
	s_cbranch_execnz .LBB154_2
.LBB154_5:
	s_wait_kmcnt 0x0
	s_mov_b32 s20, s6
	s_and_b32 vcc_lo, exec_lo, s3
	s_cbranch_vccnz .LBB154_3
.LBB154_6:
                                        ; implicit-def: $sgpr21
.LBB154_7:
	s_wait_kmcnt 0x0
	s_mov_b32 s21, s12
.LBB154_8:
	s_wait_kmcnt 0x0
	s_cmp_lg_u32 s20, 0
	s_cselect_b32 s3, -1, 0
	s_cmp_lg_u32 s21, 1
	s_cselect_b32 s6, -1, 0
	s_delay_alu instid0(SALU_CYCLE_1) | instskip(NEXT) | instid1(SALU_CYCLE_1)
	s_or_b32 s3, s3, s6
	s_and_not1_b32 vcc_lo, exec_lo, s3
	s_cbranch_vccnz .LBB154_20
; %bb.9:
	s_bfe_u32 s3, ttmp6, 0x4000c
	s_and_b32 s6, ttmp6, 15
	s_add_co_i32 s3, s3, 1
	s_getreg_b32 s7, hwreg(HW_REG_IB_STS2, 6, 4)
	s_mul_i32 s3, ttmp9, s3
	v_mov_b32_e32 v3, 0
	s_add_co_i32 s6, s6, s3
	s_cmp_eq_u32 s7, 0
	s_cselect_b32 s3, ttmp9, s6
	s_delay_alu instid0(SALU_CYCLE_1) | instskip(SKIP_1) | instid1(VALU_DEP_1)
	v_lshl_or_b32 v1, s3, 8, v0
	s_mov_b32 s3, exec_lo
	v_lshrrev_b32_e32 v2, 1, v1
	s_delay_alu instid0(VALU_DEP_1)
	v_cmpx_gt_i64_e64 s[4:5], v[2:3]
	s_cbranch_execz .LBB154_20
; %bb.10:
	v_mbcnt_lo_u32_b32 v1, -1, 0
	s_clause 0x3
	s_load_b32 s16, s[0:1], 0x58
	s_load_b64 s[6:7], s[0:1], 0x48
	s_load_b64 s[18:19], s[0:1], 0x38
	s_load_b128 s[12:15], s[0:1], 0x28
	v_dual_mov_b32 v5, v3 :: v_dual_bitop2_b32 v4, 1, v0 bitop3:0x40
	v_xor_b32_e32 v0, 1, v1
	s_mov_b32 s17, 0
	s_wait_xcnt 0x0
	s_ashr_i32 s1, s2, 31
	s_mov_b32 s3, s17
	s_mov_b32 s0, s2
	v_cmp_gt_i32_e32 vcc_lo, 32, v0
	s_sub_nc_u64 s[22:23], 0, s[0:1]
	v_cmp_eq_u32_e64 s0, 1, v4
	v_cndmask_b32_e32 v6, v1, v0, vcc_lo
	v_sub_nc_u64_e64 v[0:1], v[4:5], s[2:3]
	s_wait_kmcnt 0x0
	s_lshl_b32 s16, s16, 7
	s_delay_alu instid0(VALU_DEP_2)
	v_lshlrev_b32_e32 v10, 2, v6
	s_cmp_lg_u32 s21, 0
	s_add_nc_u64 s[18:19], s[18:19], s[22:23]
	s_cselect_b32 s1, -1, 0
	s_mov_b32 s22, s17
	s_branch .LBB154_13
.LBB154_11:                             ;   in Loop: Header=BB154_13 Depth=1
	global_store_b32 v[4:5], v6, off
.LBB154_12:                             ;   in Loop: Header=BB154_13 Depth=1
	s_wait_xcnt 0x0
	s_or_b32 exec_lo, exec_lo, s23
	v_add_nc_u64_e32 v[2:3], s[16:17], v[2:3]
	s_delay_alu instid0(VALU_DEP_1) | instskip(SKIP_1) | instid1(SALU_CYCLE_1)
	v_cmp_le_i64_e32 vcc_lo, s[4:5], v[2:3]
	s_or_b32 s22, vcc_lo, s22
	s_and_not1_b32 exec_lo, exec_lo, s22
	s_cbranch_execz .LBB154_20
.LBB154_13:                             ; =>This Loop Header: Depth=1
                                        ;     Child Loop BB154_15 Depth 2
	s_wait_dscnt 0x0
	v_lshlrev_b64_e32 v[4:5], 3, v[2:3]
	v_mov_b32_e32 v11, 0
	s_mov_b32 s23, exec_lo
	s_delay_alu instid0(VALU_DEP_2)
	v_add_nc_u64_e32 v[6:7], s[10:11], v[4:5]
	v_add_nc_u64_e32 v[4:5], s[8:9], v[4:5]
	global_load_b64 v[8:9], v[6:7], off
	global_load_b64 v[12:13], v[4:5], off
	s_wait_loadcnt 0x1
	s_wait_xcnt 0x0
	v_sub_nc_u64_e64 v[4:5], v[8:9], s[2:3]
	s_wait_loadcnt 0x0
	v_add_nc_u64_e32 v[6:7], v[12:13], v[0:1]
	s_delay_alu instid0(VALU_DEP_1)
	v_cmpx_lt_i64_e64 v[6:7], v[4:5]
	s_cbranch_execz .LBB154_17
; %bb.14:                               ;   in Loop: Header=BB154_13 Depth=1
	v_lshl_add_u64 v[8:9], v[6:7], 3, s[12:13]
	v_mov_b32_e32 v11, 0
	s_mov_b32 s24, 0
.LBB154_15:                             ;   Parent Loop BB154_13 Depth=1
                                        ; =>  This Inner Loop Header: Depth=2
	global_load_b64 v[12:13], v[8:9], off
	v_add_nc_u64_e32 v[14:15], s[14:15], v[6:7]
	v_add_nc_u64_e32 v[6:7], 2, v[6:7]
	s_wait_xcnt 0x0
	v_add_nc_u64_e32 v[8:9], 16, v[8:9]
	global_load_i8 v14, v[14:15], off
	v_cmp_ge_i64_e32 vcc_lo, v[6:7], v[4:5]
	s_or_b32 s24, vcc_lo, s24
	s_wait_loadcnt 0x1
	v_add_nc_u64_e32 v[12:13], s[18:19], v[12:13]
	global_load_i8 v12, v[12:13], off
	s_wait_loadcnt 0x1
	s_wait_xcnt 0x0
	v_mul_lo_u32 v13, s20, v14
	s_wait_loadcnt 0x0
	s_delay_alu instid0(VALU_DEP_1)
	v_mad_u32 v11, v13, v12, v11
	s_and_not1_b32 exec_lo, exec_lo, s24
	s_cbranch_execnz .LBB154_15
; %bb.16:                               ;   in Loop: Header=BB154_13 Depth=1
	s_or_b32 exec_lo, exec_lo, s24
.LBB154_17:                             ;   in Loop: Header=BB154_13 Depth=1
	s_delay_alu instid0(SALU_CYCLE_1)
	s_or_b32 exec_lo, exec_lo, s23
	ds_bpermute_b32 v4, v10, v11
	s_and_saveexec_b32 s23, s0
	s_cbranch_execz .LBB154_12
; %bb.18:                               ;   in Loop: Header=BB154_13 Depth=1
	s_wait_dscnt 0x0
	v_add_nc_u32_e32 v6, v4, v11
	v_lshl_add_u64 v[4:5], v[2:3], 2, s[6:7]
	s_and_not1_b32 vcc_lo, exec_lo, s1
	s_cbranch_vccnz .LBB154_11
; %bb.19:                               ;   in Loop: Header=BB154_13 Depth=1
	global_load_b32 v7, v[4:5], off
	s_wait_loadcnt 0x0
	v_mad_u32 v6, v7, s21, v6
	s_branch .LBB154_11
.LBB154_20:
	s_endpgm
	.section	.rodata,"a",@progbits
	.p2align	6, 0x0
	.amdhsa_kernel _ZN9rocsparseL21csrmvn_general_kernelILj256ELj2EllaaiiEEvbT2_NS_24const_host_device_scalarIT6_EEPKT1_S7_PKS1_PKT3_PKT4_S4_PT5_21rocsparse_index_base_b
		.amdhsa_group_segment_fixed_size 0
		.amdhsa_private_segment_fixed_size 0
		.amdhsa_kernarg_size 344
		.amdhsa_user_sgpr_count 2
		.amdhsa_user_sgpr_dispatch_ptr 0
		.amdhsa_user_sgpr_queue_ptr 0
		.amdhsa_user_sgpr_kernarg_segment_ptr 1
		.amdhsa_user_sgpr_dispatch_id 0
		.amdhsa_user_sgpr_kernarg_preload_length 0
		.amdhsa_user_sgpr_kernarg_preload_offset 0
		.amdhsa_user_sgpr_private_segment_size 0
		.amdhsa_wavefront_size32 1
		.amdhsa_uses_dynamic_stack 0
		.amdhsa_enable_private_segment 0
		.amdhsa_system_sgpr_workgroup_id_x 1
		.amdhsa_system_sgpr_workgroup_id_y 0
		.amdhsa_system_sgpr_workgroup_id_z 0
		.amdhsa_system_sgpr_workgroup_info 0
		.amdhsa_system_vgpr_workitem_id 0
		.amdhsa_next_free_vgpr 16
		.amdhsa_next_free_sgpr 25
		.amdhsa_named_barrier_count 0
		.amdhsa_reserve_vcc 1
		.amdhsa_float_round_mode_32 0
		.amdhsa_float_round_mode_16_64 0
		.amdhsa_float_denorm_mode_32 3
		.amdhsa_float_denorm_mode_16_64 3
		.amdhsa_fp16_overflow 0
		.amdhsa_memory_ordered 1
		.amdhsa_forward_progress 1
		.amdhsa_inst_pref_size 6
		.amdhsa_round_robin_scheduling 0
		.amdhsa_exception_fp_ieee_invalid_op 0
		.amdhsa_exception_fp_denorm_src 0
		.amdhsa_exception_fp_ieee_div_zero 0
		.amdhsa_exception_fp_ieee_overflow 0
		.amdhsa_exception_fp_ieee_underflow 0
		.amdhsa_exception_fp_ieee_inexact 0
		.amdhsa_exception_int_div_zero 0
	.end_amdhsa_kernel
	.section	.text._ZN9rocsparseL21csrmvn_general_kernelILj256ELj2EllaaiiEEvbT2_NS_24const_host_device_scalarIT6_EEPKT1_S7_PKS1_PKT3_PKT4_S4_PT5_21rocsparse_index_base_b,"axG",@progbits,_ZN9rocsparseL21csrmvn_general_kernelILj256ELj2EllaaiiEEvbT2_NS_24const_host_device_scalarIT6_EEPKT1_S7_PKS1_PKT3_PKT4_S4_PT5_21rocsparse_index_base_b,comdat
.Lfunc_end154:
	.size	_ZN9rocsparseL21csrmvn_general_kernelILj256ELj2EllaaiiEEvbT2_NS_24const_host_device_scalarIT6_EEPKT1_S7_PKS1_PKT3_PKT4_S4_PT5_21rocsparse_index_base_b, .Lfunc_end154-_ZN9rocsparseL21csrmvn_general_kernelILj256ELj2EllaaiiEEvbT2_NS_24const_host_device_scalarIT6_EEPKT1_S7_PKS1_PKT3_PKT4_S4_PT5_21rocsparse_index_base_b
                                        ; -- End function
	.set _ZN9rocsparseL21csrmvn_general_kernelILj256ELj2EllaaiiEEvbT2_NS_24const_host_device_scalarIT6_EEPKT1_S7_PKS1_PKT3_PKT4_S4_PT5_21rocsparse_index_base_b.num_vgpr, 16
	.set _ZN9rocsparseL21csrmvn_general_kernelILj256ELj2EllaaiiEEvbT2_NS_24const_host_device_scalarIT6_EEPKT1_S7_PKS1_PKT3_PKT4_S4_PT5_21rocsparse_index_base_b.num_agpr, 0
	.set _ZN9rocsparseL21csrmvn_general_kernelILj256ELj2EllaaiiEEvbT2_NS_24const_host_device_scalarIT6_EEPKT1_S7_PKS1_PKT3_PKT4_S4_PT5_21rocsparse_index_base_b.numbered_sgpr, 25
	.set _ZN9rocsparseL21csrmvn_general_kernelILj256ELj2EllaaiiEEvbT2_NS_24const_host_device_scalarIT6_EEPKT1_S7_PKS1_PKT3_PKT4_S4_PT5_21rocsparse_index_base_b.num_named_barrier, 0
	.set _ZN9rocsparseL21csrmvn_general_kernelILj256ELj2EllaaiiEEvbT2_NS_24const_host_device_scalarIT6_EEPKT1_S7_PKS1_PKT3_PKT4_S4_PT5_21rocsparse_index_base_b.private_seg_size, 0
	.set _ZN9rocsparseL21csrmvn_general_kernelILj256ELj2EllaaiiEEvbT2_NS_24const_host_device_scalarIT6_EEPKT1_S7_PKS1_PKT3_PKT4_S4_PT5_21rocsparse_index_base_b.uses_vcc, 1
	.set _ZN9rocsparseL21csrmvn_general_kernelILj256ELj2EllaaiiEEvbT2_NS_24const_host_device_scalarIT6_EEPKT1_S7_PKS1_PKT3_PKT4_S4_PT5_21rocsparse_index_base_b.uses_flat_scratch, 0
	.set _ZN9rocsparseL21csrmvn_general_kernelILj256ELj2EllaaiiEEvbT2_NS_24const_host_device_scalarIT6_EEPKT1_S7_PKS1_PKT3_PKT4_S4_PT5_21rocsparse_index_base_b.has_dyn_sized_stack, 0
	.set _ZN9rocsparseL21csrmvn_general_kernelILj256ELj2EllaaiiEEvbT2_NS_24const_host_device_scalarIT6_EEPKT1_S7_PKS1_PKT3_PKT4_S4_PT5_21rocsparse_index_base_b.has_recursion, 0
	.set _ZN9rocsparseL21csrmvn_general_kernelILj256ELj2EllaaiiEEvbT2_NS_24const_host_device_scalarIT6_EEPKT1_S7_PKS1_PKT3_PKT4_S4_PT5_21rocsparse_index_base_b.has_indirect_call, 0
	.section	.AMDGPU.csdata,"",@progbits
; Kernel info:
; codeLenInByte = 740
; TotalNumSgprs: 27
; NumVgprs: 16
; ScratchSize: 0
; MemoryBound: 0
; FloatMode: 240
; IeeeMode: 1
; LDSByteSize: 0 bytes/workgroup (compile time only)
; SGPRBlocks: 0
; VGPRBlocks: 0
; NumSGPRsForWavesPerEU: 27
; NumVGPRsForWavesPerEU: 16
; NamedBarCnt: 0
; Occupancy: 16
; WaveLimiterHint : 1
; COMPUTE_PGM_RSRC2:SCRATCH_EN: 0
; COMPUTE_PGM_RSRC2:USER_SGPR: 2
; COMPUTE_PGM_RSRC2:TRAP_HANDLER: 0
; COMPUTE_PGM_RSRC2:TGID_X_EN: 1
; COMPUTE_PGM_RSRC2:TGID_Y_EN: 0
; COMPUTE_PGM_RSRC2:TGID_Z_EN: 0
; COMPUTE_PGM_RSRC2:TIDIG_COMP_CNT: 0
	.section	.text._ZN9rocsparseL21csrmvn_general_kernelILj256ELj4EllaaiiEEvbT2_NS_24const_host_device_scalarIT6_EEPKT1_S7_PKS1_PKT3_PKT4_S4_PT5_21rocsparse_index_base_b,"axG",@progbits,_ZN9rocsparseL21csrmvn_general_kernelILj256ELj4EllaaiiEEvbT2_NS_24const_host_device_scalarIT6_EEPKT1_S7_PKS1_PKT3_PKT4_S4_PT5_21rocsparse_index_base_b,comdat
	.globl	_ZN9rocsparseL21csrmvn_general_kernelILj256ELj4EllaaiiEEvbT2_NS_24const_host_device_scalarIT6_EEPKT1_S7_PKS1_PKT3_PKT4_S4_PT5_21rocsparse_index_base_b ; -- Begin function _ZN9rocsparseL21csrmvn_general_kernelILj256ELj4EllaaiiEEvbT2_NS_24const_host_device_scalarIT6_EEPKT1_S7_PKS1_PKT3_PKT4_S4_PT5_21rocsparse_index_base_b
	.p2align	8
	.type	_ZN9rocsparseL21csrmvn_general_kernelILj256ELj4EllaaiiEEvbT2_NS_24const_host_device_scalarIT6_EEPKT1_S7_PKS1_PKT3_PKT4_S4_PT5_21rocsparse_index_base_b,@function
_ZN9rocsparseL21csrmvn_general_kernelILj256ELj4EllaaiiEEvbT2_NS_24const_host_device_scalarIT6_EEPKT1_S7_PKS1_PKT3_PKT4_S4_PT5_21rocsparse_index_base_b: ; @_ZN9rocsparseL21csrmvn_general_kernelILj256ELj4EllaaiiEEvbT2_NS_24const_host_device_scalarIT6_EEPKT1_S7_PKS1_PKT3_PKT4_S4_PT5_21rocsparse_index_base_b
; %bb.0:
	s_clause 0x1
	s_load_b64 s[2:3], s[0:1], 0x50
	s_load_b256 s[4:11], s[0:1], 0x8
	s_mov_b32 s14, -1
                                        ; implicit-def: $sgpr20
	s_wait_kmcnt 0x0
	s_bitcmp1_b32 s3, 0
	s_cselect_b32 s3, -1, 0
	s_delay_alu instid0(SALU_CYCLE_1) | instskip(NEXT) | instid1(SALU_CYCLE_1)
	s_xor_b32 s3, s3, -1
	s_and_b32 vcc_lo, exec_lo, s3
	s_cbranch_vccnz .LBB155_4
; %bb.1:
	s_load_b64 s[12:13], s[0:1], 0x40
	s_and_not1_b32 vcc_lo, exec_lo, s14
	s_cbranch_vccz .LBB155_5
.LBB155_2:
	s_and_b32 vcc_lo, exec_lo, s3
	s_cbranch_vccz .LBB155_6
.LBB155_3:
	s_wait_kmcnt 0x0
	s_load_b32 s21, s[12:13], 0x0
	s_cbranch_execz .LBB155_7
	s_branch .LBB155_8
.LBB155_4:
	s_load_b32 s20, s[6:7], 0x0
	s_load_b64 s[12:13], s[0:1], 0x40
	s_cbranch_execnz .LBB155_2
.LBB155_5:
	s_wait_kmcnt 0x0
	s_mov_b32 s20, s6
	s_and_b32 vcc_lo, exec_lo, s3
	s_cbranch_vccnz .LBB155_3
.LBB155_6:
                                        ; implicit-def: $sgpr21
.LBB155_7:
	s_wait_kmcnt 0x0
	s_mov_b32 s21, s12
.LBB155_8:
	s_wait_kmcnt 0x0
	s_cmp_lg_u32 s20, 0
	s_cselect_b32 s3, -1, 0
	s_cmp_lg_u32 s21, 1
	s_cselect_b32 s6, -1, 0
	s_delay_alu instid0(SALU_CYCLE_1) | instskip(NEXT) | instid1(SALU_CYCLE_1)
	s_or_b32 s3, s3, s6
	s_and_not1_b32 vcc_lo, exec_lo, s3
	s_cbranch_vccnz .LBB155_20
; %bb.9:
	s_bfe_u32 s3, ttmp6, 0x4000c
	s_and_b32 s6, ttmp6, 15
	s_add_co_i32 s3, s3, 1
	s_getreg_b32 s7, hwreg(HW_REG_IB_STS2, 6, 4)
	s_mul_i32 s3, ttmp9, s3
	v_mov_b32_e32 v3, 0
	s_add_co_i32 s6, s6, s3
	s_cmp_eq_u32 s7, 0
	s_cselect_b32 s3, ttmp9, s6
	s_delay_alu instid0(SALU_CYCLE_1) | instskip(SKIP_1) | instid1(VALU_DEP_1)
	v_lshl_or_b32 v1, s3, 8, v0
	s_mov_b32 s3, exec_lo
	v_lshrrev_b32_e32 v2, 2, v1
	s_delay_alu instid0(VALU_DEP_1)
	v_cmpx_gt_i64_e64 s[4:5], v[2:3]
	s_cbranch_execz .LBB155_20
; %bb.10:
	v_mbcnt_lo_u32_b32 v1, -1, 0
	v_dual_mov_b32 v5, v3 :: v_dual_bitop2_b32 v4, 3, v0 bitop3:0x40
	s_clause 0x3
	s_load_b32 s16, s[0:1], 0x58
	s_load_b64 s[6:7], s[0:1], 0x48
	s_load_b128 s[12:15], s[0:1], 0x28
	s_load_b64 s[18:19], s[0:1], 0x38
	v_xor_b32_e32 v6, 1, v1
	v_xor_b32_e32 v0, 2, v1
	s_mov_b32 s17, 0
	s_wait_xcnt 0x0
	s_ashr_i32 s1, s2, 31
	s_mov_b32 s3, s17
	s_mov_b32 s0, s2
	v_cmp_gt_i32_e32 vcc_lo, 32, v0
	s_sub_nc_u64 s[22:23], 0, s[0:1]
	v_cmp_eq_u32_e64 s0, 3, v4
	v_cndmask_b32_e32 v7, v1, v0, vcc_lo
	v_cmp_gt_i32_e32 vcc_lo, 32, v6
	s_wait_kmcnt 0x0
	s_lshl_b32 s16, s16, 6
	v_cndmask_b32_e32 v6, v1, v6, vcc_lo
	v_sub_nc_u64_e64 v[0:1], v[4:5], s[2:3]
	v_lshlrev_b32_e32 v10, 2, v7
	s_cmp_lg_u32 s21, 0
	s_add_nc_u64 s[18:19], s[18:19], s[22:23]
	v_lshlrev_b32_e32 v11, 2, v6
	s_cselect_b32 s1, -1, 0
	s_mov_b32 s22, s17
	s_branch .LBB155_13
.LBB155_11:                             ;   in Loop: Header=BB155_13 Depth=1
	global_store_b32 v[4:5], v6, off
.LBB155_12:                             ;   in Loop: Header=BB155_13 Depth=1
	s_wait_xcnt 0x0
	s_or_b32 exec_lo, exec_lo, s23
	v_add_nc_u64_e32 v[2:3], s[16:17], v[2:3]
	s_delay_alu instid0(VALU_DEP_1) | instskip(SKIP_1) | instid1(SALU_CYCLE_1)
	v_cmp_le_i64_e32 vcc_lo, s[4:5], v[2:3]
	s_or_b32 s22, vcc_lo, s22
	s_and_not1_b32 exec_lo, exec_lo, s22
	s_cbranch_execz .LBB155_20
.LBB155_13:                             ; =>This Loop Header: Depth=1
                                        ;     Child Loop BB155_15 Depth 2
	s_wait_dscnt 0x0
	v_lshlrev_b64_e32 v[4:5], 3, v[2:3]
	s_mov_b32 s23, exec_lo
	s_delay_alu instid0(VALU_DEP_1)
	v_add_nc_u64_e32 v[6:7], s[10:11], v[4:5]
	v_add_nc_u64_e32 v[4:5], s[8:9], v[4:5]
	global_load_b64 v[8:9], v[6:7], off
	global_load_b64 v[12:13], v[4:5], off
	s_wait_loadcnt 0x1
	s_wait_xcnt 0x0
	v_sub_nc_u64_e64 v[4:5], v[8:9], s[2:3]
	s_wait_loadcnt 0x0
	v_add_nc_u64_e32 v[6:7], v[12:13], v[0:1]
	v_mov_b32_e32 v12, 0
	s_delay_alu instid0(VALU_DEP_2)
	v_cmpx_lt_i64_e64 v[6:7], v[4:5]
	s_cbranch_execz .LBB155_17
; %bb.14:                               ;   in Loop: Header=BB155_13 Depth=1
	v_lshl_add_u64 v[8:9], v[6:7], 3, s[12:13]
	v_mov_b32_e32 v12, 0
	s_mov_b32 s24, 0
.LBB155_15:                             ;   Parent Loop BB155_13 Depth=1
                                        ; =>  This Inner Loop Header: Depth=2
	global_load_b64 v[14:15], v[8:9], off
	v_add_nc_u64_e32 v[16:17], s[14:15], v[6:7]
	v_add_nc_u64_e32 v[6:7], 4, v[6:7]
	s_wait_xcnt 0x0
	v_add_nc_u64_e32 v[8:9], 32, v[8:9]
	global_load_i8 v13, v[16:17], off
	v_cmp_ge_i64_e32 vcc_lo, v[6:7], v[4:5]
	s_or_b32 s24, vcc_lo, s24
	s_wait_loadcnt 0x1
	v_add_nc_u64_e32 v[14:15], s[18:19], v[14:15]
	global_load_i8 v14, v[14:15], off
	s_wait_loadcnt 0x1
	v_mul_lo_u32 v13, s20, v13
	s_wait_loadcnt 0x0
	s_delay_alu instid0(VALU_DEP_1)
	v_mad_u32 v12, v13, v14, v12
	s_wait_xcnt 0x0
	s_and_not1_b32 exec_lo, exec_lo, s24
	s_cbranch_execnz .LBB155_15
; %bb.16:                               ;   in Loop: Header=BB155_13 Depth=1
	s_or_b32 exec_lo, exec_lo, s24
.LBB155_17:                             ;   in Loop: Header=BB155_13 Depth=1
	s_delay_alu instid0(SALU_CYCLE_1)
	s_or_b32 exec_lo, exec_lo, s23
	ds_bpermute_b32 v4, v10, v12
	s_wait_dscnt 0x0
	v_add_nc_u32_e32 v4, v4, v12
	ds_bpermute_b32 v5, v11, v4
	s_and_saveexec_b32 s23, s0
	s_cbranch_execz .LBB155_12
; %bb.18:                               ;   in Loop: Header=BB155_13 Depth=1
	s_wait_dscnt 0x0
	v_add_nc_u32_e32 v6, v5, v4
	v_lshl_add_u64 v[4:5], v[2:3], 2, s[6:7]
	s_and_not1_b32 vcc_lo, exec_lo, s1
	s_cbranch_vccnz .LBB155_11
; %bb.19:                               ;   in Loop: Header=BB155_13 Depth=1
	global_load_b32 v7, v[4:5], off
	s_wait_loadcnt 0x0
	v_mad_u32 v6, v7, s21, v6
	s_branch .LBB155_11
.LBB155_20:
	s_endpgm
	.section	.rodata,"a",@progbits
	.p2align	6, 0x0
	.amdhsa_kernel _ZN9rocsparseL21csrmvn_general_kernelILj256ELj4EllaaiiEEvbT2_NS_24const_host_device_scalarIT6_EEPKT1_S7_PKS1_PKT3_PKT4_S4_PT5_21rocsparse_index_base_b
		.amdhsa_group_segment_fixed_size 0
		.amdhsa_private_segment_fixed_size 0
		.amdhsa_kernarg_size 344
		.amdhsa_user_sgpr_count 2
		.amdhsa_user_sgpr_dispatch_ptr 0
		.amdhsa_user_sgpr_queue_ptr 0
		.amdhsa_user_sgpr_kernarg_segment_ptr 1
		.amdhsa_user_sgpr_dispatch_id 0
		.amdhsa_user_sgpr_kernarg_preload_length 0
		.amdhsa_user_sgpr_kernarg_preload_offset 0
		.amdhsa_user_sgpr_private_segment_size 0
		.amdhsa_wavefront_size32 1
		.amdhsa_uses_dynamic_stack 0
		.amdhsa_enable_private_segment 0
		.amdhsa_system_sgpr_workgroup_id_x 1
		.amdhsa_system_sgpr_workgroup_id_y 0
		.amdhsa_system_sgpr_workgroup_id_z 0
		.amdhsa_system_sgpr_workgroup_info 0
		.amdhsa_system_vgpr_workitem_id 0
		.amdhsa_next_free_vgpr 18
		.amdhsa_next_free_sgpr 25
		.amdhsa_named_barrier_count 0
		.amdhsa_reserve_vcc 1
		.amdhsa_float_round_mode_32 0
		.amdhsa_float_round_mode_16_64 0
		.amdhsa_float_denorm_mode_32 3
		.amdhsa_float_denorm_mode_16_64 3
		.amdhsa_fp16_overflow 0
		.amdhsa_memory_ordered 1
		.amdhsa_forward_progress 1
		.amdhsa_inst_pref_size 6
		.amdhsa_round_robin_scheduling 0
		.amdhsa_exception_fp_ieee_invalid_op 0
		.amdhsa_exception_fp_denorm_src 0
		.amdhsa_exception_fp_ieee_div_zero 0
		.amdhsa_exception_fp_ieee_overflow 0
		.amdhsa_exception_fp_ieee_underflow 0
		.amdhsa_exception_fp_ieee_inexact 0
		.amdhsa_exception_int_div_zero 0
	.end_amdhsa_kernel
	.section	.text._ZN9rocsparseL21csrmvn_general_kernelILj256ELj4EllaaiiEEvbT2_NS_24const_host_device_scalarIT6_EEPKT1_S7_PKS1_PKT3_PKT4_S4_PT5_21rocsparse_index_base_b,"axG",@progbits,_ZN9rocsparseL21csrmvn_general_kernelILj256ELj4EllaaiiEEvbT2_NS_24const_host_device_scalarIT6_EEPKT1_S7_PKS1_PKT3_PKT4_S4_PT5_21rocsparse_index_base_b,comdat
.Lfunc_end155:
	.size	_ZN9rocsparseL21csrmvn_general_kernelILj256ELj4EllaaiiEEvbT2_NS_24const_host_device_scalarIT6_EEPKT1_S7_PKS1_PKT3_PKT4_S4_PT5_21rocsparse_index_base_b, .Lfunc_end155-_ZN9rocsparseL21csrmvn_general_kernelILj256ELj4EllaaiiEEvbT2_NS_24const_host_device_scalarIT6_EEPKT1_S7_PKS1_PKT3_PKT4_S4_PT5_21rocsparse_index_base_b
                                        ; -- End function
	.set _ZN9rocsparseL21csrmvn_general_kernelILj256ELj4EllaaiiEEvbT2_NS_24const_host_device_scalarIT6_EEPKT1_S7_PKS1_PKT3_PKT4_S4_PT5_21rocsparse_index_base_b.num_vgpr, 18
	.set _ZN9rocsparseL21csrmvn_general_kernelILj256ELj4EllaaiiEEvbT2_NS_24const_host_device_scalarIT6_EEPKT1_S7_PKS1_PKT3_PKT4_S4_PT5_21rocsparse_index_base_b.num_agpr, 0
	.set _ZN9rocsparseL21csrmvn_general_kernelILj256ELj4EllaaiiEEvbT2_NS_24const_host_device_scalarIT6_EEPKT1_S7_PKS1_PKT3_PKT4_S4_PT5_21rocsparse_index_base_b.numbered_sgpr, 25
	.set _ZN9rocsparseL21csrmvn_general_kernelILj256ELj4EllaaiiEEvbT2_NS_24const_host_device_scalarIT6_EEPKT1_S7_PKS1_PKT3_PKT4_S4_PT5_21rocsparse_index_base_b.num_named_barrier, 0
	.set _ZN9rocsparseL21csrmvn_general_kernelILj256ELj4EllaaiiEEvbT2_NS_24const_host_device_scalarIT6_EEPKT1_S7_PKS1_PKT3_PKT4_S4_PT5_21rocsparse_index_base_b.private_seg_size, 0
	.set _ZN9rocsparseL21csrmvn_general_kernelILj256ELj4EllaaiiEEvbT2_NS_24const_host_device_scalarIT6_EEPKT1_S7_PKS1_PKT3_PKT4_S4_PT5_21rocsparse_index_base_b.uses_vcc, 1
	.set _ZN9rocsparseL21csrmvn_general_kernelILj256ELj4EllaaiiEEvbT2_NS_24const_host_device_scalarIT6_EEPKT1_S7_PKS1_PKT3_PKT4_S4_PT5_21rocsparse_index_base_b.uses_flat_scratch, 0
	.set _ZN9rocsparseL21csrmvn_general_kernelILj256ELj4EllaaiiEEvbT2_NS_24const_host_device_scalarIT6_EEPKT1_S7_PKS1_PKT3_PKT4_S4_PT5_21rocsparse_index_base_b.has_dyn_sized_stack, 0
	.set _ZN9rocsparseL21csrmvn_general_kernelILj256ELj4EllaaiiEEvbT2_NS_24const_host_device_scalarIT6_EEPKT1_S7_PKS1_PKT3_PKT4_S4_PT5_21rocsparse_index_base_b.has_recursion, 0
	.set _ZN9rocsparseL21csrmvn_general_kernelILj256ELj4EllaaiiEEvbT2_NS_24const_host_device_scalarIT6_EEPKT1_S7_PKS1_PKT3_PKT4_S4_PT5_21rocsparse_index_base_b.has_indirect_call, 0
	.section	.AMDGPU.csdata,"",@progbits
; Kernel info:
; codeLenInByte = 768
; TotalNumSgprs: 27
; NumVgprs: 18
; ScratchSize: 0
; MemoryBound: 0
; FloatMode: 240
; IeeeMode: 1
; LDSByteSize: 0 bytes/workgroup (compile time only)
; SGPRBlocks: 0
; VGPRBlocks: 1
; NumSGPRsForWavesPerEU: 27
; NumVGPRsForWavesPerEU: 18
; NamedBarCnt: 0
; Occupancy: 16
; WaveLimiterHint : 1
; COMPUTE_PGM_RSRC2:SCRATCH_EN: 0
; COMPUTE_PGM_RSRC2:USER_SGPR: 2
; COMPUTE_PGM_RSRC2:TRAP_HANDLER: 0
; COMPUTE_PGM_RSRC2:TGID_X_EN: 1
; COMPUTE_PGM_RSRC2:TGID_Y_EN: 0
; COMPUTE_PGM_RSRC2:TGID_Z_EN: 0
; COMPUTE_PGM_RSRC2:TIDIG_COMP_CNT: 0
	.section	.text._ZN9rocsparseL21csrmvn_general_kernelILj256ELj8EllaaiiEEvbT2_NS_24const_host_device_scalarIT6_EEPKT1_S7_PKS1_PKT3_PKT4_S4_PT5_21rocsparse_index_base_b,"axG",@progbits,_ZN9rocsparseL21csrmvn_general_kernelILj256ELj8EllaaiiEEvbT2_NS_24const_host_device_scalarIT6_EEPKT1_S7_PKS1_PKT3_PKT4_S4_PT5_21rocsparse_index_base_b,comdat
	.globl	_ZN9rocsparseL21csrmvn_general_kernelILj256ELj8EllaaiiEEvbT2_NS_24const_host_device_scalarIT6_EEPKT1_S7_PKS1_PKT3_PKT4_S4_PT5_21rocsparse_index_base_b ; -- Begin function _ZN9rocsparseL21csrmvn_general_kernelILj256ELj8EllaaiiEEvbT2_NS_24const_host_device_scalarIT6_EEPKT1_S7_PKS1_PKT3_PKT4_S4_PT5_21rocsparse_index_base_b
	.p2align	8
	.type	_ZN9rocsparseL21csrmvn_general_kernelILj256ELj8EllaaiiEEvbT2_NS_24const_host_device_scalarIT6_EEPKT1_S7_PKS1_PKT3_PKT4_S4_PT5_21rocsparse_index_base_b,@function
_ZN9rocsparseL21csrmvn_general_kernelILj256ELj8EllaaiiEEvbT2_NS_24const_host_device_scalarIT6_EEPKT1_S7_PKS1_PKT3_PKT4_S4_PT5_21rocsparse_index_base_b: ; @_ZN9rocsparseL21csrmvn_general_kernelILj256ELj8EllaaiiEEvbT2_NS_24const_host_device_scalarIT6_EEPKT1_S7_PKS1_PKT3_PKT4_S4_PT5_21rocsparse_index_base_b
; %bb.0:
	s_clause 0x1
	s_load_b64 s[2:3], s[0:1], 0x50
	s_load_b256 s[4:11], s[0:1], 0x8
	s_mov_b32 s14, -1
                                        ; implicit-def: $sgpr20
	s_wait_kmcnt 0x0
	s_bitcmp1_b32 s3, 0
	s_cselect_b32 s3, -1, 0
	s_delay_alu instid0(SALU_CYCLE_1) | instskip(NEXT) | instid1(SALU_CYCLE_1)
	s_xor_b32 s3, s3, -1
	s_and_b32 vcc_lo, exec_lo, s3
	s_cbranch_vccnz .LBB156_4
; %bb.1:
	s_load_b64 s[12:13], s[0:1], 0x40
	s_and_not1_b32 vcc_lo, exec_lo, s14
	s_cbranch_vccz .LBB156_5
.LBB156_2:
	s_and_b32 vcc_lo, exec_lo, s3
	s_cbranch_vccz .LBB156_6
.LBB156_3:
	s_wait_kmcnt 0x0
	s_load_b32 s21, s[12:13], 0x0
	s_cbranch_execz .LBB156_7
	s_branch .LBB156_8
.LBB156_4:
	s_load_b32 s20, s[6:7], 0x0
	s_load_b64 s[12:13], s[0:1], 0x40
	s_cbranch_execnz .LBB156_2
.LBB156_5:
	s_wait_kmcnt 0x0
	s_mov_b32 s20, s6
	s_and_b32 vcc_lo, exec_lo, s3
	s_cbranch_vccnz .LBB156_3
.LBB156_6:
                                        ; implicit-def: $sgpr21
.LBB156_7:
	s_wait_kmcnt 0x0
	s_mov_b32 s21, s12
.LBB156_8:
	s_wait_kmcnt 0x0
	s_cmp_lg_u32 s20, 0
	s_cselect_b32 s3, -1, 0
	s_cmp_lg_u32 s21, 1
	s_cselect_b32 s6, -1, 0
	s_delay_alu instid0(SALU_CYCLE_1) | instskip(NEXT) | instid1(SALU_CYCLE_1)
	s_or_b32 s3, s3, s6
	s_and_not1_b32 vcc_lo, exec_lo, s3
	s_cbranch_vccnz .LBB156_20
; %bb.9:
	s_bfe_u32 s3, ttmp6, 0x4000c
	s_and_b32 s6, ttmp6, 15
	s_add_co_i32 s3, s3, 1
	s_getreg_b32 s7, hwreg(HW_REG_IB_STS2, 6, 4)
	s_mul_i32 s3, ttmp9, s3
	v_mov_b32_e32 v3, 0
	s_add_co_i32 s6, s6, s3
	s_cmp_eq_u32 s7, 0
	s_cselect_b32 s3, ttmp9, s6
	s_delay_alu instid0(SALU_CYCLE_1) | instskip(SKIP_1) | instid1(VALU_DEP_1)
	v_lshl_or_b32 v1, s3, 8, v0
	s_mov_b32 s3, exec_lo
	v_lshrrev_b32_e32 v2, 3, v1
	s_delay_alu instid0(VALU_DEP_1)
	v_cmpx_gt_i64_e64 s[4:5], v[2:3]
	s_cbranch_execz .LBB156_20
; %bb.10:
	v_mbcnt_lo_u32_b32 v1, -1, 0
	v_dual_mov_b32 v5, v3 :: v_dual_bitop2_b32 v4, 7, v0 bitop3:0x40
	s_clause 0x3
	s_load_b32 s16, s[0:1], 0x58
	s_load_b64 s[6:7], s[0:1], 0x48
	s_load_b128 s[12:15], s[0:1], 0x28
	s_load_b64 s[18:19], s[0:1], 0x38
	s_mov_b32 s17, 0
	v_xor_b32_e32 v6, 2, v1
	v_xor_b32_e32 v0, 4, v1
	s_mov_b32 s3, s17
	s_wait_xcnt 0x0
	s_ashr_i32 s1, s2, 31
	s_mov_b32 s0, s2
	v_cmp_gt_i32_e32 vcc_lo, 32, v0
	s_sub_nc_u64 s[22:23], 0, s[0:1]
	v_cmp_eq_u32_e64 s0, 7, v4
	v_dual_cndmask_b32 v8, v1, v0, vcc_lo :: v_dual_bitop2_b32 v7, 1, v1 bitop3:0x14
	v_cmp_gt_i32_e32 vcc_lo, 32, v6
	s_wait_kmcnt 0x0
	s_lshl_b32 s16, s16, 5
	s_delay_alu instid0(VALU_DEP_2)
	v_lshlrev_b32_e32 v10, 2, v8
	s_cmp_lg_u32 s21, 0
	v_cndmask_b32_e32 v6, v1, v6, vcc_lo
	v_cmp_gt_i32_e32 vcc_lo, 32, v7
	s_cselect_b32 s1, -1, 0
	s_add_nc_u64 s[18:19], s[18:19], s[22:23]
	s_mov_b32 s22, s17
	v_dual_lshlrev_b32 v11, 2, v6 :: v_dual_cndmask_b32 v7, v1, v7, vcc_lo
	v_sub_nc_u64_e64 v[0:1], v[4:5], s[2:3]
	s_delay_alu instid0(VALU_DEP_2)
	v_lshlrev_b32_e32 v12, 2, v7
	s_branch .LBB156_13
.LBB156_11:                             ;   in Loop: Header=BB156_13 Depth=1
	global_store_b32 v[4:5], v6, off
.LBB156_12:                             ;   in Loop: Header=BB156_13 Depth=1
	s_wait_xcnt 0x0
	s_or_b32 exec_lo, exec_lo, s23
	v_add_nc_u64_e32 v[2:3], s[16:17], v[2:3]
	s_delay_alu instid0(VALU_DEP_1) | instskip(SKIP_1) | instid1(SALU_CYCLE_1)
	v_cmp_le_i64_e32 vcc_lo, s[4:5], v[2:3]
	s_or_b32 s22, vcc_lo, s22
	s_and_not1_b32 exec_lo, exec_lo, s22
	s_cbranch_execz .LBB156_20
.LBB156_13:                             ; =>This Loop Header: Depth=1
                                        ;     Child Loop BB156_15 Depth 2
	s_wait_dscnt 0x0
	v_lshlrev_b64_e32 v[4:5], 3, v[2:3]
	v_mov_b32_e32 v13, 0
	s_mov_b32 s23, exec_lo
	s_delay_alu instid0(VALU_DEP_2)
	v_add_nc_u64_e32 v[6:7], s[10:11], v[4:5]
	v_add_nc_u64_e32 v[4:5], s[8:9], v[4:5]
	global_load_b64 v[8:9], v[6:7], off
	global_load_b64 v[14:15], v[4:5], off
	s_wait_loadcnt 0x1
	s_wait_xcnt 0x0
	v_sub_nc_u64_e64 v[4:5], v[8:9], s[2:3]
	s_wait_loadcnt 0x0
	v_add_nc_u64_e32 v[6:7], v[14:15], v[0:1]
	s_delay_alu instid0(VALU_DEP_1)
	v_cmpx_lt_i64_e64 v[6:7], v[4:5]
	s_cbranch_execz .LBB156_17
; %bb.14:                               ;   in Loop: Header=BB156_13 Depth=1
	v_lshl_add_u64 v[8:9], v[6:7], 3, s[12:13]
	v_mov_b32_e32 v13, 0
	s_mov_b32 s24, 0
.LBB156_15:                             ;   Parent Loop BB156_13 Depth=1
                                        ; =>  This Inner Loop Header: Depth=2
	global_load_b64 v[14:15], v[8:9], off
	v_add_nc_u64_e32 v[16:17], s[14:15], v[6:7]
	v_add_nc_u64_e32 v[6:7], 8, v[6:7]
	s_wait_xcnt 0x0
	v_add_nc_u64_e32 v[8:9], 64, v[8:9]
	global_load_i8 v16, v[16:17], off
	v_cmp_ge_i64_e32 vcc_lo, v[6:7], v[4:5]
	s_or_b32 s24, vcc_lo, s24
	s_wait_loadcnt 0x1
	v_add_nc_u64_e32 v[14:15], s[18:19], v[14:15]
	global_load_i8 v14, v[14:15], off
	s_wait_loadcnt 0x1
	s_wait_xcnt 0x0
	v_mul_lo_u32 v15, s20, v16
	s_wait_loadcnt 0x0
	s_delay_alu instid0(VALU_DEP_1)
	v_mad_u32 v13, v15, v14, v13
	s_and_not1_b32 exec_lo, exec_lo, s24
	s_cbranch_execnz .LBB156_15
; %bb.16:                               ;   in Loop: Header=BB156_13 Depth=1
	s_or_b32 exec_lo, exec_lo, s24
.LBB156_17:                             ;   in Loop: Header=BB156_13 Depth=1
	s_delay_alu instid0(SALU_CYCLE_1)
	s_or_b32 exec_lo, exec_lo, s23
	ds_bpermute_b32 v4, v10, v13
	s_wait_dscnt 0x0
	v_add_nc_u32_e32 v4, v4, v13
	ds_bpermute_b32 v5, v11, v4
	s_wait_dscnt 0x0
	v_add_nc_u32_e32 v4, v5, v4
	ds_bpermute_b32 v5, v12, v4
	s_and_saveexec_b32 s23, s0
	s_cbranch_execz .LBB156_12
; %bb.18:                               ;   in Loop: Header=BB156_13 Depth=1
	s_wait_dscnt 0x0
	v_add_nc_u32_e32 v6, v5, v4
	v_lshl_add_u64 v[4:5], v[2:3], 2, s[6:7]
	s_and_not1_b32 vcc_lo, exec_lo, s1
	s_cbranch_vccnz .LBB156_11
; %bb.19:                               ;   in Loop: Header=BB156_13 Depth=1
	global_load_b32 v7, v[4:5], off
	s_wait_loadcnt 0x0
	v_mad_u32 v6, v7, s21, v6
	s_branch .LBB156_11
.LBB156_20:
	s_endpgm
	.section	.rodata,"a",@progbits
	.p2align	6, 0x0
	.amdhsa_kernel _ZN9rocsparseL21csrmvn_general_kernelILj256ELj8EllaaiiEEvbT2_NS_24const_host_device_scalarIT6_EEPKT1_S7_PKS1_PKT3_PKT4_S4_PT5_21rocsparse_index_base_b
		.amdhsa_group_segment_fixed_size 0
		.amdhsa_private_segment_fixed_size 0
		.amdhsa_kernarg_size 344
		.amdhsa_user_sgpr_count 2
		.amdhsa_user_sgpr_dispatch_ptr 0
		.amdhsa_user_sgpr_queue_ptr 0
		.amdhsa_user_sgpr_kernarg_segment_ptr 1
		.amdhsa_user_sgpr_dispatch_id 0
		.amdhsa_user_sgpr_kernarg_preload_length 0
		.amdhsa_user_sgpr_kernarg_preload_offset 0
		.amdhsa_user_sgpr_private_segment_size 0
		.amdhsa_wavefront_size32 1
		.amdhsa_uses_dynamic_stack 0
		.amdhsa_enable_private_segment 0
		.amdhsa_system_sgpr_workgroup_id_x 1
		.amdhsa_system_sgpr_workgroup_id_y 0
		.amdhsa_system_sgpr_workgroup_id_z 0
		.amdhsa_system_sgpr_workgroup_info 0
		.amdhsa_system_vgpr_workitem_id 0
		.amdhsa_next_free_vgpr 18
		.amdhsa_next_free_sgpr 25
		.amdhsa_named_barrier_count 0
		.amdhsa_reserve_vcc 1
		.amdhsa_float_round_mode_32 0
		.amdhsa_float_round_mode_16_64 0
		.amdhsa_float_denorm_mode_32 3
		.amdhsa_float_denorm_mode_16_64 3
		.amdhsa_fp16_overflow 0
		.amdhsa_memory_ordered 1
		.amdhsa_forward_progress 1
		.amdhsa_inst_pref_size 7
		.amdhsa_round_robin_scheduling 0
		.amdhsa_exception_fp_ieee_invalid_op 0
		.amdhsa_exception_fp_denorm_src 0
		.amdhsa_exception_fp_ieee_div_zero 0
		.amdhsa_exception_fp_ieee_overflow 0
		.amdhsa_exception_fp_ieee_underflow 0
		.amdhsa_exception_fp_ieee_inexact 0
		.amdhsa_exception_int_div_zero 0
	.end_amdhsa_kernel
	.section	.text._ZN9rocsparseL21csrmvn_general_kernelILj256ELj8EllaaiiEEvbT2_NS_24const_host_device_scalarIT6_EEPKT1_S7_PKS1_PKT3_PKT4_S4_PT5_21rocsparse_index_base_b,"axG",@progbits,_ZN9rocsparseL21csrmvn_general_kernelILj256ELj8EllaaiiEEvbT2_NS_24const_host_device_scalarIT6_EEPKT1_S7_PKS1_PKT3_PKT4_S4_PT5_21rocsparse_index_base_b,comdat
.Lfunc_end156:
	.size	_ZN9rocsparseL21csrmvn_general_kernelILj256ELj8EllaaiiEEvbT2_NS_24const_host_device_scalarIT6_EEPKT1_S7_PKS1_PKT3_PKT4_S4_PT5_21rocsparse_index_base_b, .Lfunc_end156-_ZN9rocsparseL21csrmvn_general_kernelILj256ELj8EllaaiiEEvbT2_NS_24const_host_device_scalarIT6_EEPKT1_S7_PKS1_PKT3_PKT4_S4_PT5_21rocsparse_index_base_b
                                        ; -- End function
	.set _ZN9rocsparseL21csrmvn_general_kernelILj256ELj8EllaaiiEEvbT2_NS_24const_host_device_scalarIT6_EEPKT1_S7_PKS1_PKT3_PKT4_S4_PT5_21rocsparse_index_base_b.num_vgpr, 18
	.set _ZN9rocsparseL21csrmvn_general_kernelILj256ELj8EllaaiiEEvbT2_NS_24const_host_device_scalarIT6_EEPKT1_S7_PKS1_PKT3_PKT4_S4_PT5_21rocsparse_index_base_b.num_agpr, 0
	.set _ZN9rocsparseL21csrmvn_general_kernelILj256ELj8EllaaiiEEvbT2_NS_24const_host_device_scalarIT6_EEPKT1_S7_PKS1_PKT3_PKT4_S4_PT5_21rocsparse_index_base_b.numbered_sgpr, 25
	.set _ZN9rocsparseL21csrmvn_general_kernelILj256ELj8EllaaiiEEvbT2_NS_24const_host_device_scalarIT6_EEPKT1_S7_PKS1_PKT3_PKT4_S4_PT5_21rocsparse_index_base_b.num_named_barrier, 0
	.set _ZN9rocsparseL21csrmvn_general_kernelILj256ELj8EllaaiiEEvbT2_NS_24const_host_device_scalarIT6_EEPKT1_S7_PKS1_PKT3_PKT4_S4_PT5_21rocsparse_index_base_b.private_seg_size, 0
	.set _ZN9rocsparseL21csrmvn_general_kernelILj256ELj8EllaaiiEEvbT2_NS_24const_host_device_scalarIT6_EEPKT1_S7_PKS1_PKT3_PKT4_S4_PT5_21rocsparse_index_base_b.uses_vcc, 1
	.set _ZN9rocsparseL21csrmvn_general_kernelILj256ELj8EllaaiiEEvbT2_NS_24const_host_device_scalarIT6_EEPKT1_S7_PKS1_PKT3_PKT4_S4_PT5_21rocsparse_index_base_b.uses_flat_scratch, 0
	.set _ZN9rocsparseL21csrmvn_general_kernelILj256ELj8EllaaiiEEvbT2_NS_24const_host_device_scalarIT6_EEPKT1_S7_PKS1_PKT3_PKT4_S4_PT5_21rocsparse_index_base_b.has_dyn_sized_stack, 0
	.set _ZN9rocsparseL21csrmvn_general_kernelILj256ELj8EllaaiiEEvbT2_NS_24const_host_device_scalarIT6_EEPKT1_S7_PKS1_PKT3_PKT4_S4_PT5_21rocsparse_index_base_b.has_recursion, 0
	.set _ZN9rocsparseL21csrmvn_general_kernelILj256ELj8EllaaiiEEvbT2_NS_24const_host_device_scalarIT6_EEPKT1_S7_PKS1_PKT3_PKT4_S4_PT5_21rocsparse_index_base_b.has_indirect_call, 0
	.section	.AMDGPU.csdata,"",@progbits
; Kernel info:
; codeLenInByte = 816
; TotalNumSgprs: 27
; NumVgprs: 18
; ScratchSize: 0
; MemoryBound: 0
; FloatMode: 240
; IeeeMode: 1
; LDSByteSize: 0 bytes/workgroup (compile time only)
; SGPRBlocks: 0
; VGPRBlocks: 1
; NumSGPRsForWavesPerEU: 27
; NumVGPRsForWavesPerEU: 18
; NamedBarCnt: 0
; Occupancy: 16
; WaveLimiterHint : 1
; COMPUTE_PGM_RSRC2:SCRATCH_EN: 0
; COMPUTE_PGM_RSRC2:USER_SGPR: 2
; COMPUTE_PGM_RSRC2:TRAP_HANDLER: 0
; COMPUTE_PGM_RSRC2:TGID_X_EN: 1
; COMPUTE_PGM_RSRC2:TGID_Y_EN: 0
; COMPUTE_PGM_RSRC2:TGID_Z_EN: 0
; COMPUTE_PGM_RSRC2:TIDIG_COMP_CNT: 0
	.section	.text._ZN9rocsparseL21csrmvn_general_kernelILj256ELj16EllaaiiEEvbT2_NS_24const_host_device_scalarIT6_EEPKT1_S7_PKS1_PKT3_PKT4_S4_PT5_21rocsparse_index_base_b,"axG",@progbits,_ZN9rocsparseL21csrmvn_general_kernelILj256ELj16EllaaiiEEvbT2_NS_24const_host_device_scalarIT6_EEPKT1_S7_PKS1_PKT3_PKT4_S4_PT5_21rocsparse_index_base_b,comdat
	.globl	_ZN9rocsparseL21csrmvn_general_kernelILj256ELj16EllaaiiEEvbT2_NS_24const_host_device_scalarIT6_EEPKT1_S7_PKS1_PKT3_PKT4_S4_PT5_21rocsparse_index_base_b ; -- Begin function _ZN9rocsparseL21csrmvn_general_kernelILj256ELj16EllaaiiEEvbT2_NS_24const_host_device_scalarIT6_EEPKT1_S7_PKS1_PKT3_PKT4_S4_PT5_21rocsparse_index_base_b
	.p2align	8
	.type	_ZN9rocsparseL21csrmvn_general_kernelILj256ELj16EllaaiiEEvbT2_NS_24const_host_device_scalarIT6_EEPKT1_S7_PKS1_PKT3_PKT4_S4_PT5_21rocsparse_index_base_b,@function
_ZN9rocsparseL21csrmvn_general_kernelILj256ELj16EllaaiiEEvbT2_NS_24const_host_device_scalarIT6_EEPKT1_S7_PKS1_PKT3_PKT4_S4_PT5_21rocsparse_index_base_b: ; @_ZN9rocsparseL21csrmvn_general_kernelILj256ELj16EllaaiiEEvbT2_NS_24const_host_device_scalarIT6_EEPKT1_S7_PKS1_PKT3_PKT4_S4_PT5_21rocsparse_index_base_b
; %bb.0:
	s_clause 0x1
	s_load_b64 s[2:3], s[0:1], 0x50
	s_load_b256 s[4:11], s[0:1], 0x8
	s_mov_b32 s14, -1
                                        ; implicit-def: $sgpr20
	s_wait_kmcnt 0x0
	s_bitcmp1_b32 s3, 0
	s_cselect_b32 s3, -1, 0
	s_delay_alu instid0(SALU_CYCLE_1) | instskip(NEXT) | instid1(SALU_CYCLE_1)
	s_xor_b32 s3, s3, -1
	s_and_b32 vcc_lo, exec_lo, s3
	s_cbranch_vccnz .LBB157_4
; %bb.1:
	s_load_b64 s[12:13], s[0:1], 0x40
	s_and_not1_b32 vcc_lo, exec_lo, s14
	s_cbranch_vccz .LBB157_5
.LBB157_2:
	s_and_b32 vcc_lo, exec_lo, s3
	s_cbranch_vccz .LBB157_6
.LBB157_3:
	s_wait_kmcnt 0x0
	s_load_b32 s21, s[12:13], 0x0
	s_cbranch_execz .LBB157_7
	s_branch .LBB157_8
.LBB157_4:
	s_load_b32 s20, s[6:7], 0x0
	s_load_b64 s[12:13], s[0:1], 0x40
	s_cbranch_execnz .LBB157_2
.LBB157_5:
	s_wait_kmcnt 0x0
	s_mov_b32 s20, s6
	s_and_b32 vcc_lo, exec_lo, s3
	s_cbranch_vccnz .LBB157_3
.LBB157_6:
                                        ; implicit-def: $sgpr21
.LBB157_7:
	s_wait_kmcnt 0x0
	s_mov_b32 s21, s12
.LBB157_8:
	s_wait_kmcnt 0x0
	s_cmp_lg_u32 s20, 0
	s_cselect_b32 s3, -1, 0
	s_cmp_lg_u32 s21, 1
	s_cselect_b32 s6, -1, 0
	s_delay_alu instid0(SALU_CYCLE_1) | instskip(NEXT) | instid1(SALU_CYCLE_1)
	s_or_b32 s3, s3, s6
	s_and_not1_b32 vcc_lo, exec_lo, s3
	s_cbranch_vccnz .LBB157_20
; %bb.9:
	s_bfe_u32 s3, ttmp6, 0x4000c
	s_and_b32 s6, ttmp6, 15
	s_add_co_i32 s3, s3, 1
	s_getreg_b32 s7, hwreg(HW_REG_IB_STS2, 6, 4)
	s_mul_i32 s3, ttmp9, s3
	v_mov_b32_e32 v3, 0
	s_add_co_i32 s6, s6, s3
	s_cmp_eq_u32 s7, 0
	s_cselect_b32 s3, ttmp9, s6
	s_delay_alu instid0(SALU_CYCLE_1) | instskip(SKIP_1) | instid1(VALU_DEP_1)
	v_lshl_or_b32 v1, s3, 8, v0
	s_mov_b32 s3, exec_lo
	v_lshrrev_b32_e32 v2, 4, v1
	s_delay_alu instid0(VALU_DEP_1)
	v_cmpx_gt_i64_e64 s[4:5], v[2:3]
	s_cbranch_execz .LBB157_20
; %bb.10:
	v_dual_mov_b32 v5, v3 :: v_dual_bitop2_b32 v4, 15, v0 bitop3:0x40
	v_mbcnt_lo_u32_b32 v6, -1, 0
	s_mov_b32 s17, 0
	s_clause 0x3
	s_load_b32 s16, s[0:1], 0x58
	s_load_b64 s[6:7], s[0:1], 0x48
	s_load_b128 s[12:15], s[0:1], 0x28
	s_load_b64 s[18:19], s[0:1], 0x38
	s_mov_b32 s3, s17
	s_wait_xcnt 0x0
	s_ashr_i32 s1, s2, 31
	v_sub_nc_u64_e64 v[0:1], v[4:5], s[2:3]
	v_xor_b32_e32 v5, 4, v6
	v_xor_b32_e32 v7, 8, v6
	v_xor_b32_e32 v9, 1, v6
	v_xor_b32_e32 v8, 2, v6
	s_mov_b32 s0, s2
	s_delay_alu instid0(VALU_DEP_3)
	v_cmp_gt_i32_e32 vcc_lo, 32, v7
	s_sub_nc_u64 s[22:23], 0, s[0:1]
	v_cmp_eq_u32_e64 s0, 15, v4
	v_cndmask_b32_e32 v7, v6, v7, vcc_lo
	v_cmp_gt_i32_e32 vcc_lo, 32, v5
	s_wait_kmcnt 0x0
	s_lshl_b32 s16, s16, 4
	s_cmp_lg_u32 s21, 0
	s_cselect_b32 s1, -1, 0
	v_cndmask_b32_e32 v5, v6, v5, vcc_lo
	v_cmp_gt_i32_e32 vcc_lo, 32, v8
	v_lshlrev_b32_e32 v10, 2, v7
	s_add_nc_u64 s[18:19], s[18:19], s[22:23]
	s_mov_b32 s22, s17
	v_dual_cndmask_b32 v8, v6, v8 :: v_dual_lshlrev_b32 v11, 2, v5
	v_cmp_gt_i32_e32 vcc_lo, 32, v9
	s_delay_alu instid0(VALU_DEP_2) | instskip(NEXT) | instid1(VALU_DEP_1)
	v_dual_cndmask_b32 v6, v6, v9, vcc_lo :: v_dual_lshlrev_b32 v12, 2, v8
	v_lshlrev_b32_e32 v13, 2, v6
	s_branch .LBB157_13
.LBB157_11:                             ;   in Loop: Header=BB157_13 Depth=1
	global_store_b32 v[4:5], v6, off
.LBB157_12:                             ;   in Loop: Header=BB157_13 Depth=1
	s_wait_xcnt 0x0
	s_or_b32 exec_lo, exec_lo, s23
	v_add_nc_u64_e32 v[2:3], s[16:17], v[2:3]
	s_delay_alu instid0(VALU_DEP_1) | instskip(SKIP_1) | instid1(SALU_CYCLE_1)
	v_cmp_le_i64_e32 vcc_lo, s[4:5], v[2:3]
	s_or_b32 s22, vcc_lo, s22
	s_and_not1_b32 exec_lo, exec_lo, s22
	s_cbranch_execz .LBB157_20
.LBB157_13:                             ; =>This Loop Header: Depth=1
                                        ;     Child Loop BB157_15 Depth 2
	s_wait_dscnt 0x0
	v_lshlrev_b64_e32 v[4:5], 3, v[2:3]
	s_mov_b32 s23, exec_lo
	s_delay_alu instid0(VALU_DEP_1)
	v_add_nc_u64_e32 v[6:7], s[10:11], v[4:5]
	v_add_nc_u64_e32 v[4:5], s[8:9], v[4:5]
	global_load_b64 v[8:9], v[6:7], off
	global_load_b64 v[14:15], v[4:5], off
	s_wait_loadcnt 0x1
	s_wait_xcnt 0x0
	v_sub_nc_u64_e64 v[4:5], v[8:9], s[2:3]
	s_wait_loadcnt 0x0
	v_add_nc_u64_e32 v[6:7], v[14:15], v[0:1]
	v_mov_b32_e32 v14, 0
	s_delay_alu instid0(VALU_DEP_2)
	v_cmpx_lt_i64_e64 v[6:7], v[4:5]
	s_cbranch_execz .LBB157_17
; %bb.14:                               ;   in Loop: Header=BB157_13 Depth=1
	v_lshl_add_u64 v[8:9], v[6:7], 3, s[12:13]
	v_mov_b32_e32 v14, 0
	s_mov_b32 s24, 0
.LBB157_15:                             ;   Parent Loop BB157_13 Depth=1
                                        ; =>  This Inner Loop Header: Depth=2
	global_load_b64 v[16:17], v[8:9], off
	v_add_nc_u64_e32 v[18:19], s[14:15], v[6:7]
	v_add_nc_u64_e32 v[6:7], 16, v[6:7]
	s_wait_xcnt 0x0
	v_add_nc_u64_e32 v[8:9], 0x80, v[8:9]
	global_load_i8 v15, v[18:19], off
	v_cmp_ge_i64_e32 vcc_lo, v[6:7], v[4:5]
	s_or_b32 s24, vcc_lo, s24
	s_wait_loadcnt 0x1
	v_add_nc_u64_e32 v[16:17], s[18:19], v[16:17]
	global_load_i8 v16, v[16:17], off
	s_wait_loadcnt 0x1
	v_mul_lo_u32 v15, s20, v15
	s_wait_loadcnt 0x0
	s_delay_alu instid0(VALU_DEP_1)
	v_mad_u32 v14, v15, v16, v14
	s_wait_xcnt 0x0
	s_and_not1_b32 exec_lo, exec_lo, s24
	s_cbranch_execnz .LBB157_15
; %bb.16:                               ;   in Loop: Header=BB157_13 Depth=1
	s_or_b32 exec_lo, exec_lo, s24
.LBB157_17:                             ;   in Loop: Header=BB157_13 Depth=1
	s_delay_alu instid0(SALU_CYCLE_1)
	s_or_b32 exec_lo, exec_lo, s23
	ds_bpermute_b32 v4, v10, v14
	s_wait_dscnt 0x0
	v_add_nc_u32_e32 v4, v4, v14
	ds_bpermute_b32 v5, v11, v4
	s_wait_dscnt 0x0
	v_add_nc_u32_e32 v4, v5, v4
	;; [unrolled: 3-line block ×3, first 2 shown]
	ds_bpermute_b32 v5, v13, v4
	s_and_saveexec_b32 s23, s0
	s_cbranch_execz .LBB157_12
; %bb.18:                               ;   in Loop: Header=BB157_13 Depth=1
	s_wait_dscnt 0x0
	v_add_nc_u32_e32 v6, v5, v4
	v_lshl_add_u64 v[4:5], v[2:3], 2, s[6:7]
	s_and_not1_b32 vcc_lo, exec_lo, s1
	s_cbranch_vccnz .LBB157_11
; %bb.19:                               ;   in Loop: Header=BB157_13 Depth=1
	global_load_b32 v7, v[4:5], off
	s_wait_loadcnt 0x0
	v_mad_u32 v6, v7, s21, v6
	s_branch .LBB157_11
.LBB157_20:
	s_endpgm
	.section	.rodata,"a",@progbits
	.p2align	6, 0x0
	.amdhsa_kernel _ZN9rocsparseL21csrmvn_general_kernelILj256ELj16EllaaiiEEvbT2_NS_24const_host_device_scalarIT6_EEPKT1_S7_PKS1_PKT3_PKT4_S4_PT5_21rocsparse_index_base_b
		.amdhsa_group_segment_fixed_size 0
		.amdhsa_private_segment_fixed_size 0
		.amdhsa_kernarg_size 344
		.amdhsa_user_sgpr_count 2
		.amdhsa_user_sgpr_dispatch_ptr 0
		.amdhsa_user_sgpr_queue_ptr 0
		.amdhsa_user_sgpr_kernarg_segment_ptr 1
		.amdhsa_user_sgpr_dispatch_id 0
		.amdhsa_user_sgpr_kernarg_preload_length 0
		.amdhsa_user_sgpr_kernarg_preload_offset 0
		.amdhsa_user_sgpr_private_segment_size 0
		.amdhsa_wavefront_size32 1
		.amdhsa_uses_dynamic_stack 0
		.amdhsa_enable_private_segment 0
		.amdhsa_system_sgpr_workgroup_id_x 1
		.amdhsa_system_sgpr_workgroup_id_y 0
		.amdhsa_system_sgpr_workgroup_id_z 0
		.amdhsa_system_sgpr_workgroup_info 0
		.amdhsa_system_vgpr_workitem_id 0
		.amdhsa_next_free_vgpr 20
		.amdhsa_next_free_sgpr 25
		.amdhsa_named_barrier_count 0
		.amdhsa_reserve_vcc 1
		.amdhsa_float_round_mode_32 0
		.amdhsa_float_round_mode_16_64 0
		.amdhsa_float_denorm_mode_32 3
		.amdhsa_float_denorm_mode_16_64 3
		.amdhsa_fp16_overflow 0
		.amdhsa_memory_ordered 1
		.amdhsa_forward_progress 1
		.amdhsa_inst_pref_size 7
		.amdhsa_round_robin_scheduling 0
		.amdhsa_exception_fp_ieee_invalid_op 0
		.amdhsa_exception_fp_denorm_src 0
		.amdhsa_exception_fp_ieee_div_zero 0
		.amdhsa_exception_fp_ieee_overflow 0
		.amdhsa_exception_fp_ieee_underflow 0
		.amdhsa_exception_fp_ieee_inexact 0
		.amdhsa_exception_int_div_zero 0
	.end_amdhsa_kernel
	.section	.text._ZN9rocsparseL21csrmvn_general_kernelILj256ELj16EllaaiiEEvbT2_NS_24const_host_device_scalarIT6_EEPKT1_S7_PKS1_PKT3_PKT4_S4_PT5_21rocsparse_index_base_b,"axG",@progbits,_ZN9rocsparseL21csrmvn_general_kernelILj256ELj16EllaaiiEEvbT2_NS_24const_host_device_scalarIT6_EEPKT1_S7_PKS1_PKT3_PKT4_S4_PT5_21rocsparse_index_base_b,comdat
.Lfunc_end157:
	.size	_ZN9rocsparseL21csrmvn_general_kernelILj256ELj16EllaaiiEEvbT2_NS_24const_host_device_scalarIT6_EEPKT1_S7_PKS1_PKT3_PKT4_S4_PT5_21rocsparse_index_base_b, .Lfunc_end157-_ZN9rocsparseL21csrmvn_general_kernelILj256ELj16EllaaiiEEvbT2_NS_24const_host_device_scalarIT6_EEPKT1_S7_PKS1_PKT3_PKT4_S4_PT5_21rocsparse_index_base_b
                                        ; -- End function
	.set _ZN9rocsparseL21csrmvn_general_kernelILj256ELj16EllaaiiEEvbT2_NS_24const_host_device_scalarIT6_EEPKT1_S7_PKS1_PKT3_PKT4_S4_PT5_21rocsparse_index_base_b.num_vgpr, 20
	.set _ZN9rocsparseL21csrmvn_general_kernelILj256ELj16EllaaiiEEvbT2_NS_24const_host_device_scalarIT6_EEPKT1_S7_PKS1_PKT3_PKT4_S4_PT5_21rocsparse_index_base_b.num_agpr, 0
	.set _ZN9rocsparseL21csrmvn_general_kernelILj256ELj16EllaaiiEEvbT2_NS_24const_host_device_scalarIT6_EEPKT1_S7_PKS1_PKT3_PKT4_S4_PT5_21rocsparse_index_base_b.numbered_sgpr, 25
	.set _ZN9rocsparseL21csrmvn_general_kernelILj256ELj16EllaaiiEEvbT2_NS_24const_host_device_scalarIT6_EEPKT1_S7_PKS1_PKT3_PKT4_S4_PT5_21rocsparse_index_base_b.num_named_barrier, 0
	.set _ZN9rocsparseL21csrmvn_general_kernelILj256ELj16EllaaiiEEvbT2_NS_24const_host_device_scalarIT6_EEPKT1_S7_PKS1_PKT3_PKT4_S4_PT5_21rocsparse_index_base_b.private_seg_size, 0
	.set _ZN9rocsparseL21csrmvn_general_kernelILj256ELj16EllaaiiEEvbT2_NS_24const_host_device_scalarIT6_EEPKT1_S7_PKS1_PKT3_PKT4_S4_PT5_21rocsparse_index_base_b.uses_vcc, 1
	.set _ZN9rocsparseL21csrmvn_general_kernelILj256ELj16EllaaiiEEvbT2_NS_24const_host_device_scalarIT6_EEPKT1_S7_PKS1_PKT3_PKT4_S4_PT5_21rocsparse_index_base_b.uses_flat_scratch, 0
	.set _ZN9rocsparseL21csrmvn_general_kernelILj256ELj16EllaaiiEEvbT2_NS_24const_host_device_scalarIT6_EEPKT1_S7_PKS1_PKT3_PKT4_S4_PT5_21rocsparse_index_base_b.has_dyn_sized_stack, 0
	.set _ZN9rocsparseL21csrmvn_general_kernelILj256ELj16EllaaiiEEvbT2_NS_24const_host_device_scalarIT6_EEPKT1_S7_PKS1_PKT3_PKT4_S4_PT5_21rocsparse_index_base_b.has_recursion, 0
	.set _ZN9rocsparseL21csrmvn_general_kernelILj256ELj16EllaaiiEEvbT2_NS_24const_host_device_scalarIT6_EEPKT1_S7_PKS1_PKT3_PKT4_S4_PT5_21rocsparse_index_base_b.has_indirect_call, 0
	.section	.AMDGPU.csdata,"",@progbits
; Kernel info:
; codeLenInByte = 848
; TotalNumSgprs: 27
; NumVgprs: 20
; ScratchSize: 0
; MemoryBound: 0
; FloatMode: 240
; IeeeMode: 1
; LDSByteSize: 0 bytes/workgroup (compile time only)
; SGPRBlocks: 0
; VGPRBlocks: 1
; NumSGPRsForWavesPerEU: 27
; NumVGPRsForWavesPerEU: 20
; NamedBarCnt: 0
; Occupancy: 16
; WaveLimiterHint : 1
; COMPUTE_PGM_RSRC2:SCRATCH_EN: 0
; COMPUTE_PGM_RSRC2:USER_SGPR: 2
; COMPUTE_PGM_RSRC2:TRAP_HANDLER: 0
; COMPUTE_PGM_RSRC2:TGID_X_EN: 1
; COMPUTE_PGM_RSRC2:TGID_Y_EN: 0
; COMPUTE_PGM_RSRC2:TGID_Z_EN: 0
; COMPUTE_PGM_RSRC2:TIDIG_COMP_CNT: 0
	.section	.text._ZN9rocsparseL21csrmvn_general_kernelILj256ELj32EllaaiiEEvbT2_NS_24const_host_device_scalarIT6_EEPKT1_S7_PKS1_PKT3_PKT4_S4_PT5_21rocsparse_index_base_b,"axG",@progbits,_ZN9rocsparseL21csrmvn_general_kernelILj256ELj32EllaaiiEEvbT2_NS_24const_host_device_scalarIT6_EEPKT1_S7_PKS1_PKT3_PKT4_S4_PT5_21rocsparse_index_base_b,comdat
	.globl	_ZN9rocsparseL21csrmvn_general_kernelILj256ELj32EllaaiiEEvbT2_NS_24const_host_device_scalarIT6_EEPKT1_S7_PKS1_PKT3_PKT4_S4_PT5_21rocsparse_index_base_b ; -- Begin function _ZN9rocsparseL21csrmvn_general_kernelILj256ELj32EllaaiiEEvbT2_NS_24const_host_device_scalarIT6_EEPKT1_S7_PKS1_PKT3_PKT4_S4_PT5_21rocsparse_index_base_b
	.p2align	8
	.type	_ZN9rocsparseL21csrmvn_general_kernelILj256ELj32EllaaiiEEvbT2_NS_24const_host_device_scalarIT6_EEPKT1_S7_PKS1_PKT3_PKT4_S4_PT5_21rocsparse_index_base_b,@function
_ZN9rocsparseL21csrmvn_general_kernelILj256ELj32EllaaiiEEvbT2_NS_24const_host_device_scalarIT6_EEPKT1_S7_PKS1_PKT3_PKT4_S4_PT5_21rocsparse_index_base_b: ; @_ZN9rocsparseL21csrmvn_general_kernelILj256ELj32EllaaiiEEvbT2_NS_24const_host_device_scalarIT6_EEPKT1_S7_PKS1_PKT3_PKT4_S4_PT5_21rocsparse_index_base_b
; %bb.0:
	s_clause 0x1
	s_load_b64 s[2:3], s[0:1], 0x50
	s_load_b256 s[4:11], s[0:1], 0x8
	s_mov_b32 s14, -1
                                        ; implicit-def: $sgpr20
	s_wait_kmcnt 0x0
	s_bitcmp1_b32 s3, 0
	s_cselect_b32 s3, -1, 0
	s_delay_alu instid0(SALU_CYCLE_1) | instskip(NEXT) | instid1(SALU_CYCLE_1)
	s_xor_b32 s3, s3, -1
	s_and_b32 vcc_lo, exec_lo, s3
	s_cbranch_vccnz .LBB158_4
; %bb.1:
	s_load_b64 s[12:13], s[0:1], 0x40
	s_and_not1_b32 vcc_lo, exec_lo, s14
	s_cbranch_vccz .LBB158_5
.LBB158_2:
	s_and_b32 vcc_lo, exec_lo, s3
	s_cbranch_vccz .LBB158_6
.LBB158_3:
	s_wait_kmcnt 0x0
	s_load_b32 s21, s[12:13], 0x0
	s_cbranch_execz .LBB158_7
	s_branch .LBB158_8
.LBB158_4:
	s_load_b32 s20, s[6:7], 0x0
	s_load_b64 s[12:13], s[0:1], 0x40
	s_cbranch_execnz .LBB158_2
.LBB158_5:
	s_wait_kmcnt 0x0
	s_mov_b32 s20, s6
	s_and_b32 vcc_lo, exec_lo, s3
	s_cbranch_vccnz .LBB158_3
.LBB158_6:
                                        ; implicit-def: $sgpr21
.LBB158_7:
	s_wait_kmcnt 0x0
	s_mov_b32 s21, s12
.LBB158_8:
	s_wait_kmcnt 0x0
	s_cmp_lg_u32 s20, 0
	s_cselect_b32 s3, -1, 0
	s_cmp_lg_u32 s21, 1
	s_cselect_b32 s6, -1, 0
	s_delay_alu instid0(SALU_CYCLE_1) | instskip(NEXT) | instid1(SALU_CYCLE_1)
	s_or_b32 s3, s3, s6
	s_and_not1_b32 vcc_lo, exec_lo, s3
	s_cbranch_vccnz .LBB158_20
; %bb.9:
	s_bfe_u32 s3, ttmp6, 0x4000c
	s_and_b32 s6, ttmp6, 15
	s_add_co_i32 s3, s3, 1
	s_getreg_b32 s7, hwreg(HW_REG_IB_STS2, 6, 4)
	s_mul_i32 s3, ttmp9, s3
	v_mov_b32_e32 v3, 0
	s_add_co_i32 s6, s6, s3
	s_cmp_eq_u32 s7, 0
	s_cselect_b32 s3, ttmp9, s6
	s_delay_alu instid0(SALU_CYCLE_1) | instskip(SKIP_1) | instid1(VALU_DEP_1)
	v_lshl_or_b32 v1, s3, 8, v0
	s_mov_b32 s3, exec_lo
	v_lshrrev_b32_e32 v2, 5, v1
	s_delay_alu instid0(VALU_DEP_1)
	v_cmpx_gt_i64_e64 s[4:5], v[2:3]
	s_cbranch_execz .LBB158_20
; %bb.10:
	v_dual_mov_b32 v5, v3 :: v_dual_bitop2_b32 v4, 31, v0 bitop3:0x40
	v_mbcnt_lo_u32_b32 v6, -1, 0
	s_mov_b32 s17, 0
	s_clause 0x3
	s_load_b32 s16, s[0:1], 0x58
	s_load_b64 s[6:7], s[0:1], 0x48
	s_load_b128 s[12:15], s[0:1], 0x28
	s_load_b64 s[18:19], s[0:1], 0x38
	s_mov_b32 s3, s17
	s_wait_xcnt 0x0
	s_ashr_i32 s1, s2, 31
	v_sub_nc_u64_e64 v[0:1], v[4:5], s[2:3]
	v_xor_b32_e32 v5, 8, v6
	v_xor_b32_e32 v7, 16, v6
	;; [unrolled: 1-line block ×4, first 2 shown]
	s_mov_b32 s0, s2
	s_delay_alu instid0(VALU_DEP_3)
	v_cmp_gt_i32_e32 vcc_lo, 32, v7
	s_sub_nc_u64 s[22:23], 0, s[0:1]
	v_cmp_eq_u32_e64 s0, 31, v4
	v_cndmask_b32_e32 v7, v6, v7, vcc_lo
	v_cmp_gt_i32_e32 vcc_lo, 32, v5
	s_wait_kmcnt 0x0
	s_lshl_b32 s16, s16, 3
	s_cmp_lg_u32 s21, 0
	s_cselect_b32 s1, -1, 0
	v_cndmask_b32_e32 v5, v6, v5, vcc_lo
	v_cmp_gt_i32_e32 vcc_lo, 32, v8
	v_xor_b32_e32 v10, 1, v6
	s_add_nc_u64 s[18:19], s[18:19], s[22:23]
	s_mov_b32 s22, s17
	v_dual_cndmask_b32 v8, v6, v8 :: v_dual_lshlrev_b32 v11, 2, v5
	v_cmp_gt_i32_e32 vcc_lo, 32, v9
	v_cndmask_b32_e32 v9, v6, v9, vcc_lo
	v_cmp_gt_i32_e32 vcc_lo, 32, v10
	s_delay_alu instid0(VALU_DEP_2) | instskip(SKIP_1) | instid1(VALU_DEP_1)
	v_dual_lshlrev_b32 v12, 2, v8 :: v_dual_lshlrev_b32 v13, 2, v9
	v_dual_cndmask_b32 v6, v6, v10, vcc_lo :: v_dual_lshlrev_b32 v10, 2, v7
	v_lshlrev_b32_e32 v14, 2, v6
	s_branch .LBB158_13
.LBB158_11:                             ;   in Loop: Header=BB158_13 Depth=1
	global_store_b32 v[4:5], v6, off
.LBB158_12:                             ;   in Loop: Header=BB158_13 Depth=1
	s_wait_xcnt 0x0
	s_or_b32 exec_lo, exec_lo, s23
	v_add_nc_u64_e32 v[2:3], s[16:17], v[2:3]
	s_delay_alu instid0(VALU_DEP_1) | instskip(SKIP_1) | instid1(SALU_CYCLE_1)
	v_cmp_le_i64_e32 vcc_lo, s[4:5], v[2:3]
	s_or_b32 s22, vcc_lo, s22
	s_and_not1_b32 exec_lo, exec_lo, s22
	s_cbranch_execz .LBB158_20
.LBB158_13:                             ; =>This Loop Header: Depth=1
                                        ;     Child Loop BB158_15 Depth 2
	s_wait_dscnt 0x0
	v_lshlrev_b64_e32 v[4:5], 3, v[2:3]
	v_mov_b32_e32 v15, 0
	s_mov_b32 s23, exec_lo
	s_delay_alu instid0(VALU_DEP_2)
	v_add_nc_u64_e32 v[6:7], s[10:11], v[4:5]
	v_add_nc_u64_e32 v[4:5], s[8:9], v[4:5]
	global_load_b64 v[8:9], v[6:7], off
	global_load_b64 v[16:17], v[4:5], off
	s_wait_loadcnt 0x1
	s_wait_xcnt 0x0
	v_sub_nc_u64_e64 v[4:5], v[8:9], s[2:3]
	s_wait_loadcnt 0x0
	v_add_nc_u64_e32 v[6:7], v[16:17], v[0:1]
	s_delay_alu instid0(VALU_DEP_1)
	v_cmpx_lt_i64_e64 v[6:7], v[4:5]
	s_cbranch_execz .LBB158_17
; %bb.14:                               ;   in Loop: Header=BB158_13 Depth=1
	v_lshl_add_u64 v[8:9], v[6:7], 3, s[12:13]
	v_mov_b32_e32 v15, 0
	s_mov_b32 s24, 0
.LBB158_15:                             ;   Parent Loop BB158_13 Depth=1
                                        ; =>  This Inner Loop Header: Depth=2
	global_load_b64 v[16:17], v[8:9], off
	v_add_nc_u64_e32 v[18:19], s[14:15], v[6:7]
	v_add_nc_u64_e32 v[6:7], 32, v[6:7]
	s_wait_xcnt 0x0
	v_add_nc_u64_e32 v[8:9], 0x100, v[8:9]
	global_load_i8 v18, v[18:19], off
	v_cmp_ge_i64_e32 vcc_lo, v[6:7], v[4:5]
	s_or_b32 s24, vcc_lo, s24
	s_wait_loadcnt 0x1
	v_add_nc_u64_e32 v[16:17], s[18:19], v[16:17]
	global_load_i8 v16, v[16:17], off
	s_wait_loadcnt 0x1
	s_wait_xcnt 0x0
	v_mul_lo_u32 v17, s20, v18
	s_wait_loadcnt 0x0
	s_delay_alu instid0(VALU_DEP_1)
	v_mad_u32 v15, v17, v16, v15
	s_and_not1_b32 exec_lo, exec_lo, s24
	s_cbranch_execnz .LBB158_15
; %bb.16:                               ;   in Loop: Header=BB158_13 Depth=1
	s_or_b32 exec_lo, exec_lo, s24
.LBB158_17:                             ;   in Loop: Header=BB158_13 Depth=1
	s_delay_alu instid0(SALU_CYCLE_1)
	s_or_b32 exec_lo, exec_lo, s23
	ds_bpermute_b32 v4, v10, v15
	s_wait_dscnt 0x0
	v_add_nc_u32_e32 v4, v4, v15
	ds_bpermute_b32 v5, v11, v4
	s_wait_dscnt 0x0
	v_add_nc_u32_e32 v4, v5, v4
	;; [unrolled: 3-line block ×4, first 2 shown]
	ds_bpermute_b32 v5, v14, v4
	s_and_saveexec_b32 s23, s0
	s_cbranch_execz .LBB158_12
; %bb.18:                               ;   in Loop: Header=BB158_13 Depth=1
	s_wait_dscnt 0x0
	v_add_nc_u32_e32 v6, v5, v4
	v_lshl_add_u64 v[4:5], v[2:3], 2, s[6:7]
	s_and_not1_b32 vcc_lo, exec_lo, s1
	s_cbranch_vccnz .LBB158_11
; %bb.19:                               ;   in Loop: Header=BB158_13 Depth=1
	global_load_b32 v7, v[4:5], off
	s_wait_loadcnt 0x0
	v_mad_u32 v6, v7, s21, v6
	s_branch .LBB158_11
.LBB158_20:
	s_endpgm
	.section	.rodata,"a",@progbits
	.p2align	6, 0x0
	.amdhsa_kernel _ZN9rocsparseL21csrmvn_general_kernelILj256ELj32EllaaiiEEvbT2_NS_24const_host_device_scalarIT6_EEPKT1_S7_PKS1_PKT3_PKT4_S4_PT5_21rocsparse_index_base_b
		.amdhsa_group_segment_fixed_size 0
		.amdhsa_private_segment_fixed_size 0
		.amdhsa_kernarg_size 344
		.amdhsa_user_sgpr_count 2
		.amdhsa_user_sgpr_dispatch_ptr 0
		.amdhsa_user_sgpr_queue_ptr 0
		.amdhsa_user_sgpr_kernarg_segment_ptr 1
		.amdhsa_user_sgpr_dispatch_id 0
		.amdhsa_user_sgpr_kernarg_preload_length 0
		.amdhsa_user_sgpr_kernarg_preload_offset 0
		.amdhsa_user_sgpr_private_segment_size 0
		.amdhsa_wavefront_size32 1
		.amdhsa_uses_dynamic_stack 0
		.amdhsa_enable_private_segment 0
		.amdhsa_system_sgpr_workgroup_id_x 1
		.amdhsa_system_sgpr_workgroup_id_y 0
		.amdhsa_system_sgpr_workgroup_id_z 0
		.amdhsa_system_sgpr_workgroup_info 0
		.amdhsa_system_vgpr_workitem_id 0
		.amdhsa_next_free_vgpr 20
		.amdhsa_next_free_sgpr 25
		.amdhsa_named_barrier_count 0
		.amdhsa_reserve_vcc 1
		.amdhsa_float_round_mode_32 0
		.amdhsa_float_round_mode_16_64 0
		.amdhsa_float_denorm_mode_32 3
		.amdhsa_float_denorm_mode_16_64 3
		.amdhsa_fp16_overflow 0
		.amdhsa_memory_ordered 1
		.amdhsa_forward_progress 1
		.amdhsa_inst_pref_size 7
		.amdhsa_round_robin_scheduling 0
		.amdhsa_exception_fp_ieee_invalid_op 0
		.amdhsa_exception_fp_denorm_src 0
		.amdhsa_exception_fp_ieee_div_zero 0
		.amdhsa_exception_fp_ieee_overflow 0
		.amdhsa_exception_fp_ieee_underflow 0
		.amdhsa_exception_fp_ieee_inexact 0
		.amdhsa_exception_int_div_zero 0
	.end_amdhsa_kernel
	.section	.text._ZN9rocsparseL21csrmvn_general_kernelILj256ELj32EllaaiiEEvbT2_NS_24const_host_device_scalarIT6_EEPKT1_S7_PKS1_PKT3_PKT4_S4_PT5_21rocsparse_index_base_b,"axG",@progbits,_ZN9rocsparseL21csrmvn_general_kernelILj256ELj32EllaaiiEEvbT2_NS_24const_host_device_scalarIT6_EEPKT1_S7_PKS1_PKT3_PKT4_S4_PT5_21rocsparse_index_base_b,comdat
.Lfunc_end158:
	.size	_ZN9rocsparseL21csrmvn_general_kernelILj256ELj32EllaaiiEEvbT2_NS_24const_host_device_scalarIT6_EEPKT1_S7_PKS1_PKT3_PKT4_S4_PT5_21rocsparse_index_base_b, .Lfunc_end158-_ZN9rocsparseL21csrmvn_general_kernelILj256ELj32EllaaiiEEvbT2_NS_24const_host_device_scalarIT6_EEPKT1_S7_PKS1_PKT3_PKT4_S4_PT5_21rocsparse_index_base_b
                                        ; -- End function
	.set _ZN9rocsparseL21csrmvn_general_kernelILj256ELj32EllaaiiEEvbT2_NS_24const_host_device_scalarIT6_EEPKT1_S7_PKS1_PKT3_PKT4_S4_PT5_21rocsparse_index_base_b.num_vgpr, 20
	.set _ZN9rocsparseL21csrmvn_general_kernelILj256ELj32EllaaiiEEvbT2_NS_24const_host_device_scalarIT6_EEPKT1_S7_PKS1_PKT3_PKT4_S4_PT5_21rocsparse_index_base_b.num_agpr, 0
	.set _ZN9rocsparseL21csrmvn_general_kernelILj256ELj32EllaaiiEEvbT2_NS_24const_host_device_scalarIT6_EEPKT1_S7_PKS1_PKT3_PKT4_S4_PT5_21rocsparse_index_base_b.numbered_sgpr, 25
	.set _ZN9rocsparseL21csrmvn_general_kernelILj256ELj32EllaaiiEEvbT2_NS_24const_host_device_scalarIT6_EEPKT1_S7_PKS1_PKT3_PKT4_S4_PT5_21rocsparse_index_base_b.num_named_barrier, 0
	.set _ZN9rocsparseL21csrmvn_general_kernelILj256ELj32EllaaiiEEvbT2_NS_24const_host_device_scalarIT6_EEPKT1_S7_PKS1_PKT3_PKT4_S4_PT5_21rocsparse_index_base_b.private_seg_size, 0
	.set _ZN9rocsparseL21csrmvn_general_kernelILj256ELj32EllaaiiEEvbT2_NS_24const_host_device_scalarIT6_EEPKT1_S7_PKS1_PKT3_PKT4_S4_PT5_21rocsparse_index_base_b.uses_vcc, 1
	.set _ZN9rocsparseL21csrmvn_general_kernelILj256ELj32EllaaiiEEvbT2_NS_24const_host_device_scalarIT6_EEPKT1_S7_PKS1_PKT3_PKT4_S4_PT5_21rocsparse_index_base_b.uses_flat_scratch, 0
	.set _ZN9rocsparseL21csrmvn_general_kernelILj256ELj32EllaaiiEEvbT2_NS_24const_host_device_scalarIT6_EEPKT1_S7_PKS1_PKT3_PKT4_S4_PT5_21rocsparse_index_base_b.has_dyn_sized_stack, 0
	.set _ZN9rocsparseL21csrmvn_general_kernelILj256ELj32EllaaiiEEvbT2_NS_24const_host_device_scalarIT6_EEPKT1_S7_PKS1_PKT3_PKT4_S4_PT5_21rocsparse_index_base_b.has_recursion, 0
	.set _ZN9rocsparseL21csrmvn_general_kernelILj256ELj32EllaaiiEEvbT2_NS_24const_host_device_scalarIT6_EEPKT1_S7_PKS1_PKT3_PKT4_S4_PT5_21rocsparse_index_base_b.has_indirect_call, 0
	.section	.AMDGPU.csdata,"",@progbits
; Kernel info:
; codeLenInByte = 884
; TotalNumSgprs: 27
; NumVgprs: 20
; ScratchSize: 0
; MemoryBound: 0
; FloatMode: 240
; IeeeMode: 1
; LDSByteSize: 0 bytes/workgroup (compile time only)
; SGPRBlocks: 0
; VGPRBlocks: 1
; NumSGPRsForWavesPerEU: 27
; NumVGPRsForWavesPerEU: 20
; NamedBarCnt: 0
; Occupancy: 16
; WaveLimiterHint : 1
; COMPUTE_PGM_RSRC2:SCRATCH_EN: 0
; COMPUTE_PGM_RSRC2:USER_SGPR: 2
; COMPUTE_PGM_RSRC2:TRAP_HANDLER: 0
; COMPUTE_PGM_RSRC2:TGID_X_EN: 1
; COMPUTE_PGM_RSRC2:TGID_Y_EN: 0
; COMPUTE_PGM_RSRC2:TGID_Z_EN: 0
; COMPUTE_PGM_RSRC2:TIDIG_COMP_CNT: 0
	.section	.text._ZN9rocsparseL21csrmvn_general_kernelILj256ELj64EllaaiiEEvbT2_NS_24const_host_device_scalarIT6_EEPKT1_S7_PKS1_PKT3_PKT4_S4_PT5_21rocsparse_index_base_b,"axG",@progbits,_ZN9rocsparseL21csrmvn_general_kernelILj256ELj64EllaaiiEEvbT2_NS_24const_host_device_scalarIT6_EEPKT1_S7_PKS1_PKT3_PKT4_S4_PT5_21rocsparse_index_base_b,comdat
	.globl	_ZN9rocsparseL21csrmvn_general_kernelILj256ELj64EllaaiiEEvbT2_NS_24const_host_device_scalarIT6_EEPKT1_S7_PKS1_PKT3_PKT4_S4_PT5_21rocsparse_index_base_b ; -- Begin function _ZN9rocsparseL21csrmvn_general_kernelILj256ELj64EllaaiiEEvbT2_NS_24const_host_device_scalarIT6_EEPKT1_S7_PKS1_PKT3_PKT4_S4_PT5_21rocsparse_index_base_b
	.p2align	8
	.type	_ZN9rocsparseL21csrmvn_general_kernelILj256ELj64EllaaiiEEvbT2_NS_24const_host_device_scalarIT6_EEPKT1_S7_PKS1_PKT3_PKT4_S4_PT5_21rocsparse_index_base_b,@function
_ZN9rocsparseL21csrmvn_general_kernelILj256ELj64EllaaiiEEvbT2_NS_24const_host_device_scalarIT6_EEPKT1_S7_PKS1_PKT3_PKT4_S4_PT5_21rocsparse_index_base_b: ; @_ZN9rocsparseL21csrmvn_general_kernelILj256ELj64EllaaiiEEvbT2_NS_24const_host_device_scalarIT6_EEPKT1_S7_PKS1_PKT3_PKT4_S4_PT5_21rocsparse_index_base_b
; %bb.0:
	s_clause 0x1
	s_load_b64 s[2:3], s[0:1], 0x50
	s_load_b256 s[4:11], s[0:1], 0x8
	s_mov_b32 s14, -1
                                        ; implicit-def: $sgpr20
	s_wait_kmcnt 0x0
	s_bitcmp1_b32 s3, 0
	s_cselect_b32 s3, -1, 0
	s_delay_alu instid0(SALU_CYCLE_1) | instskip(NEXT) | instid1(SALU_CYCLE_1)
	s_xor_b32 s3, s3, -1
	s_and_b32 vcc_lo, exec_lo, s3
	s_cbranch_vccnz .LBB159_4
; %bb.1:
	s_load_b64 s[12:13], s[0:1], 0x40
	s_and_not1_b32 vcc_lo, exec_lo, s14
	s_cbranch_vccz .LBB159_5
.LBB159_2:
	s_and_b32 vcc_lo, exec_lo, s3
	s_cbranch_vccz .LBB159_6
.LBB159_3:
	s_wait_kmcnt 0x0
	s_load_b32 s21, s[12:13], 0x0
	s_cbranch_execz .LBB159_7
	s_branch .LBB159_8
.LBB159_4:
	s_load_b32 s20, s[6:7], 0x0
	s_load_b64 s[12:13], s[0:1], 0x40
	s_cbranch_execnz .LBB159_2
.LBB159_5:
	s_wait_kmcnt 0x0
	s_mov_b32 s20, s6
	s_and_b32 vcc_lo, exec_lo, s3
	s_cbranch_vccnz .LBB159_3
.LBB159_6:
                                        ; implicit-def: $sgpr21
.LBB159_7:
	s_wait_kmcnt 0x0
	s_mov_b32 s21, s12
.LBB159_8:
	s_wait_kmcnt 0x0
	s_cmp_lg_u32 s20, 0
	s_cselect_b32 s3, -1, 0
	s_cmp_lg_u32 s21, 1
	s_cselect_b32 s6, -1, 0
	s_delay_alu instid0(SALU_CYCLE_1) | instskip(NEXT) | instid1(SALU_CYCLE_1)
	s_or_b32 s3, s3, s6
	s_and_not1_b32 vcc_lo, exec_lo, s3
	s_cbranch_vccnz .LBB159_20
; %bb.9:
	s_bfe_u32 s3, ttmp6, 0x4000c
	s_and_b32 s6, ttmp6, 15
	s_add_co_i32 s3, s3, 1
	s_getreg_b32 s7, hwreg(HW_REG_IB_STS2, 6, 4)
	s_mul_i32 s3, ttmp9, s3
	v_mov_b32_e32 v3, 0
	s_add_co_i32 s6, s6, s3
	s_cmp_eq_u32 s7, 0
	s_cselect_b32 s3, ttmp9, s6
	s_delay_alu instid0(SALU_CYCLE_1) | instskip(SKIP_1) | instid1(VALU_DEP_1)
	v_lshl_or_b32 v1, s3, 8, v0
	s_mov_b32 s3, exec_lo
	v_lshrrev_b32_e32 v2, 6, v1
	s_delay_alu instid0(VALU_DEP_1)
	v_cmpx_gt_i64_e64 s[4:5], v[2:3]
	s_cbranch_execz .LBB159_20
; %bb.10:
	v_mbcnt_lo_u32_b32 v6, -1, 0
	v_dual_mov_b32 v5, v3 :: v_dual_bitop2_b32 v4, 63, v0 bitop3:0x40
	s_mov_b32 s17, 0
	s_clause 0x1
	s_load_b32 s16, s[0:1], 0x58
	s_load_b64 s[6:7], s[0:1], 0x48
	v_or_b32_e32 v0, 32, v6
	s_mov_b32 s3, s17
	s_clause 0x1
	s_load_b128 s[12:15], s[0:1], 0x28
	s_load_b64 s[18:19], s[0:1], 0x38
	s_wait_xcnt 0x0
	s_ashr_i32 s1, s2, 31
	s_mov_b32 s0, s2
	v_cmp_gt_i32_e32 vcc_lo, 32, v0
	s_sub_nc_u64 s[22:23], 0, s[0:1]
	v_cmp_eq_u32_e64 s0, 63, v4
	v_dual_cndmask_b32 v7, v6, v0, vcc_lo :: v_dual_bitop2_b32 v8, 16, v6 bitop3:0x14
	v_sub_nc_u64_e64 v[0:1], v[4:5], s[2:3]
	s_delay_alu instid0(VALU_DEP_2) | instskip(NEXT) | instid1(VALU_DEP_3)
	v_cmp_gt_i32_e32 vcc_lo, 32, v8
	v_dual_lshlrev_b32 v10, 2, v7 :: v_dual_bitop2_b32 v5, 8, v6 bitop3:0x14
	s_wait_kmcnt 0x0
	s_lshl_b32 s16, s16, 2
	s_cmp_lg_u32 s21, 0
	v_cndmask_b32_e32 v7, v6, v8, vcc_lo
	v_cmp_gt_i32_e32 vcc_lo, 32, v5
	v_xor_b32_e32 v8, 4, v6
	s_cselect_b32 s1, -1, 0
	s_add_nc_u64 s[18:19], s[18:19], s[22:23]
	s_mov_b32 s22, s17
	v_cndmask_b32_e32 v5, v6, v5, vcc_lo
	v_cmp_gt_i32_e32 vcc_lo, 32, v8
	s_delay_alu instid0(VALU_DEP_2) | instskip(SKIP_1) | instid1(VALU_DEP_2)
	v_dual_lshlrev_b32 v12, 2, v5 :: v_dual_bitop2_b32 v9, 2, v6 bitop3:0x14
	v_cndmask_b32_e32 v8, v6, v8, vcc_lo
	v_cmp_gt_i32_e32 vcc_lo, 32, v9
	s_delay_alu instid0(VALU_DEP_2) | instskip(SKIP_1) | instid1(VALU_DEP_2)
	v_dual_lshlrev_b32 v13, 2, v8 :: v_dual_bitop2_b32 v11, 1, v6 bitop3:0x14
	v_cndmask_b32_e32 v9, v6, v9, vcc_lo
	v_cmp_gt_i32_e32 vcc_lo, 32, v11
	v_cndmask_b32_e32 v6, v6, v11, vcc_lo
	s_delay_alu instid0(VALU_DEP_3) | instskip(NEXT) | instid1(VALU_DEP_2)
	v_dual_lshlrev_b32 v11, 2, v7 :: v_dual_lshlrev_b32 v14, 2, v9
	v_lshlrev_b32_e32 v15, 2, v6
	s_branch .LBB159_13
.LBB159_11:                             ;   in Loop: Header=BB159_13 Depth=1
	global_store_b32 v[4:5], v6, off
.LBB159_12:                             ;   in Loop: Header=BB159_13 Depth=1
	s_wait_xcnt 0x0
	s_or_b32 exec_lo, exec_lo, s23
	v_add_nc_u64_e32 v[2:3], s[16:17], v[2:3]
	s_delay_alu instid0(VALU_DEP_1) | instskip(SKIP_1) | instid1(SALU_CYCLE_1)
	v_cmp_le_i64_e32 vcc_lo, s[4:5], v[2:3]
	s_or_b32 s22, vcc_lo, s22
	s_and_not1_b32 exec_lo, exec_lo, s22
	s_cbranch_execz .LBB159_20
.LBB159_13:                             ; =>This Loop Header: Depth=1
                                        ;     Child Loop BB159_15 Depth 2
	s_wait_dscnt 0x0
	v_lshlrev_b64_e32 v[4:5], 3, v[2:3]
	s_mov_b32 s23, exec_lo
	s_delay_alu instid0(VALU_DEP_1)
	v_add_nc_u64_e32 v[6:7], s[10:11], v[4:5]
	v_add_nc_u64_e32 v[4:5], s[8:9], v[4:5]
	global_load_b64 v[8:9], v[6:7], off
	global_load_b64 v[16:17], v[4:5], off
	s_wait_loadcnt 0x1
	s_wait_xcnt 0x0
	v_sub_nc_u64_e64 v[4:5], v[8:9], s[2:3]
	s_wait_loadcnt 0x0
	v_add_nc_u64_e32 v[6:7], v[16:17], v[0:1]
	v_mov_b32_e32 v16, 0
	s_delay_alu instid0(VALU_DEP_2)
	v_cmpx_lt_i64_e64 v[6:7], v[4:5]
	s_cbranch_execz .LBB159_17
; %bb.14:                               ;   in Loop: Header=BB159_13 Depth=1
	v_lshl_add_u64 v[8:9], v[6:7], 3, s[12:13]
	v_mov_b32_e32 v16, 0
	s_mov_b32 s24, 0
.LBB159_15:                             ;   Parent Loop BB159_13 Depth=1
                                        ; =>  This Inner Loop Header: Depth=2
	global_load_b64 v[18:19], v[8:9], off
	v_add_nc_u64_e32 v[20:21], s[14:15], v[6:7]
	v_add_nc_u64_e32 v[6:7], 64, v[6:7]
	s_wait_xcnt 0x0
	v_add_nc_u64_e32 v[8:9], 0x200, v[8:9]
	global_load_i8 v17, v[20:21], off
	v_cmp_ge_i64_e32 vcc_lo, v[6:7], v[4:5]
	s_or_b32 s24, vcc_lo, s24
	s_wait_loadcnt 0x1
	v_add_nc_u64_e32 v[18:19], s[18:19], v[18:19]
	global_load_i8 v18, v[18:19], off
	s_wait_loadcnt 0x1
	v_mul_lo_u32 v17, s20, v17
	s_wait_loadcnt 0x0
	s_delay_alu instid0(VALU_DEP_1)
	v_mad_u32 v16, v17, v18, v16
	s_wait_xcnt 0x0
	s_and_not1_b32 exec_lo, exec_lo, s24
	s_cbranch_execnz .LBB159_15
; %bb.16:                               ;   in Loop: Header=BB159_13 Depth=1
	s_or_b32 exec_lo, exec_lo, s24
.LBB159_17:                             ;   in Loop: Header=BB159_13 Depth=1
	s_delay_alu instid0(SALU_CYCLE_1)
	s_or_b32 exec_lo, exec_lo, s23
	ds_bpermute_b32 v4, v10, v16
	s_wait_dscnt 0x0
	v_add_nc_u32_e32 v4, v4, v16
	ds_bpermute_b32 v5, v11, v4
	s_wait_dscnt 0x0
	v_add_nc_u32_e32 v4, v5, v4
	;; [unrolled: 3-line block ×5, first 2 shown]
	ds_bpermute_b32 v5, v15, v4
	s_and_saveexec_b32 s23, s0
	s_cbranch_execz .LBB159_12
; %bb.18:                               ;   in Loop: Header=BB159_13 Depth=1
	s_wait_dscnt 0x0
	v_add_nc_u32_e32 v6, v5, v4
	v_lshl_add_u64 v[4:5], v[2:3], 2, s[6:7]
	s_and_not1_b32 vcc_lo, exec_lo, s1
	s_cbranch_vccnz .LBB159_11
; %bb.19:                               ;   in Loop: Header=BB159_13 Depth=1
	global_load_b32 v7, v[4:5], off
	s_wait_loadcnt 0x0
	v_mad_u32 v6, v7, s21, v6
	s_branch .LBB159_11
.LBB159_20:
	s_endpgm
	.section	.rodata,"a",@progbits
	.p2align	6, 0x0
	.amdhsa_kernel _ZN9rocsparseL21csrmvn_general_kernelILj256ELj64EllaaiiEEvbT2_NS_24const_host_device_scalarIT6_EEPKT1_S7_PKS1_PKT3_PKT4_S4_PT5_21rocsparse_index_base_b
		.amdhsa_group_segment_fixed_size 0
		.amdhsa_private_segment_fixed_size 0
		.amdhsa_kernarg_size 344
		.amdhsa_user_sgpr_count 2
		.amdhsa_user_sgpr_dispatch_ptr 0
		.amdhsa_user_sgpr_queue_ptr 0
		.amdhsa_user_sgpr_kernarg_segment_ptr 1
		.amdhsa_user_sgpr_dispatch_id 0
		.amdhsa_user_sgpr_kernarg_preload_length 0
		.amdhsa_user_sgpr_kernarg_preload_offset 0
		.amdhsa_user_sgpr_private_segment_size 0
		.amdhsa_wavefront_size32 1
		.amdhsa_uses_dynamic_stack 0
		.amdhsa_enable_private_segment 0
		.amdhsa_system_sgpr_workgroup_id_x 1
		.amdhsa_system_sgpr_workgroup_id_y 0
		.amdhsa_system_sgpr_workgroup_id_z 0
		.amdhsa_system_sgpr_workgroup_info 0
		.amdhsa_system_vgpr_workitem_id 0
		.amdhsa_next_free_vgpr 22
		.amdhsa_next_free_sgpr 25
		.amdhsa_named_barrier_count 0
		.amdhsa_reserve_vcc 1
		.amdhsa_float_round_mode_32 0
		.amdhsa_float_round_mode_16_64 0
		.amdhsa_float_denorm_mode_32 3
		.amdhsa_float_denorm_mode_16_64 3
		.amdhsa_fp16_overflow 0
		.amdhsa_memory_ordered 1
		.amdhsa_forward_progress 1
		.amdhsa_inst_pref_size 8
		.amdhsa_round_robin_scheduling 0
		.amdhsa_exception_fp_ieee_invalid_op 0
		.amdhsa_exception_fp_denorm_src 0
		.amdhsa_exception_fp_ieee_div_zero 0
		.amdhsa_exception_fp_ieee_overflow 0
		.amdhsa_exception_fp_ieee_underflow 0
		.amdhsa_exception_fp_ieee_inexact 0
		.amdhsa_exception_int_div_zero 0
	.end_amdhsa_kernel
	.section	.text._ZN9rocsparseL21csrmvn_general_kernelILj256ELj64EllaaiiEEvbT2_NS_24const_host_device_scalarIT6_EEPKT1_S7_PKS1_PKT3_PKT4_S4_PT5_21rocsparse_index_base_b,"axG",@progbits,_ZN9rocsparseL21csrmvn_general_kernelILj256ELj64EllaaiiEEvbT2_NS_24const_host_device_scalarIT6_EEPKT1_S7_PKS1_PKT3_PKT4_S4_PT5_21rocsparse_index_base_b,comdat
.Lfunc_end159:
	.size	_ZN9rocsparseL21csrmvn_general_kernelILj256ELj64EllaaiiEEvbT2_NS_24const_host_device_scalarIT6_EEPKT1_S7_PKS1_PKT3_PKT4_S4_PT5_21rocsparse_index_base_b, .Lfunc_end159-_ZN9rocsparseL21csrmvn_general_kernelILj256ELj64EllaaiiEEvbT2_NS_24const_host_device_scalarIT6_EEPKT1_S7_PKS1_PKT3_PKT4_S4_PT5_21rocsparse_index_base_b
                                        ; -- End function
	.set _ZN9rocsparseL21csrmvn_general_kernelILj256ELj64EllaaiiEEvbT2_NS_24const_host_device_scalarIT6_EEPKT1_S7_PKS1_PKT3_PKT4_S4_PT5_21rocsparse_index_base_b.num_vgpr, 22
	.set _ZN9rocsparseL21csrmvn_general_kernelILj256ELj64EllaaiiEEvbT2_NS_24const_host_device_scalarIT6_EEPKT1_S7_PKS1_PKT3_PKT4_S4_PT5_21rocsparse_index_base_b.num_agpr, 0
	.set _ZN9rocsparseL21csrmvn_general_kernelILj256ELj64EllaaiiEEvbT2_NS_24const_host_device_scalarIT6_EEPKT1_S7_PKS1_PKT3_PKT4_S4_PT5_21rocsparse_index_base_b.numbered_sgpr, 25
	.set _ZN9rocsparseL21csrmvn_general_kernelILj256ELj64EllaaiiEEvbT2_NS_24const_host_device_scalarIT6_EEPKT1_S7_PKS1_PKT3_PKT4_S4_PT5_21rocsparse_index_base_b.num_named_barrier, 0
	.set _ZN9rocsparseL21csrmvn_general_kernelILj256ELj64EllaaiiEEvbT2_NS_24const_host_device_scalarIT6_EEPKT1_S7_PKS1_PKT3_PKT4_S4_PT5_21rocsparse_index_base_b.private_seg_size, 0
	.set _ZN9rocsparseL21csrmvn_general_kernelILj256ELj64EllaaiiEEvbT2_NS_24const_host_device_scalarIT6_EEPKT1_S7_PKS1_PKT3_PKT4_S4_PT5_21rocsparse_index_base_b.uses_vcc, 1
	.set _ZN9rocsparseL21csrmvn_general_kernelILj256ELj64EllaaiiEEvbT2_NS_24const_host_device_scalarIT6_EEPKT1_S7_PKS1_PKT3_PKT4_S4_PT5_21rocsparse_index_base_b.uses_flat_scratch, 0
	.set _ZN9rocsparseL21csrmvn_general_kernelILj256ELj64EllaaiiEEvbT2_NS_24const_host_device_scalarIT6_EEPKT1_S7_PKS1_PKT3_PKT4_S4_PT5_21rocsparse_index_base_b.has_dyn_sized_stack, 0
	.set _ZN9rocsparseL21csrmvn_general_kernelILj256ELj64EllaaiiEEvbT2_NS_24const_host_device_scalarIT6_EEPKT1_S7_PKS1_PKT3_PKT4_S4_PT5_21rocsparse_index_base_b.has_recursion, 0
	.set _ZN9rocsparseL21csrmvn_general_kernelILj256ELj64EllaaiiEEvbT2_NS_24const_host_device_scalarIT6_EEPKT1_S7_PKS1_PKT3_PKT4_S4_PT5_21rocsparse_index_base_b.has_indirect_call, 0
	.section	.AMDGPU.csdata,"",@progbits
; Kernel info:
; codeLenInByte = 940
; TotalNumSgprs: 27
; NumVgprs: 22
; ScratchSize: 0
; MemoryBound: 0
; FloatMode: 240
; IeeeMode: 1
; LDSByteSize: 0 bytes/workgroup (compile time only)
; SGPRBlocks: 0
; VGPRBlocks: 1
; NumSGPRsForWavesPerEU: 27
; NumVGPRsForWavesPerEU: 22
; NamedBarCnt: 0
; Occupancy: 16
; WaveLimiterHint : 1
; COMPUTE_PGM_RSRC2:SCRATCH_EN: 0
; COMPUTE_PGM_RSRC2:USER_SGPR: 2
; COMPUTE_PGM_RSRC2:TRAP_HANDLER: 0
; COMPUTE_PGM_RSRC2:TGID_X_EN: 1
; COMPUTE_PGM_RSRC2:TGID_Y_EN: 0
; COMPUTE_PGM_RSRC2:TGID_Z_EN: 0
; COMPUTE_PGM_RSRC2:TIDIG_COMP_CNT: 0
	.section	.text._ZN9rocsparseL21csrmvt_general_kernelILj256ELj4EllaaiiEEvbbT2_NS_24const_host_device_scalarIT6_EEPKT1_S7_PKS1_PKT3_PKT4_PT5_21rocsparse_index_base_b,"axG",@progbits,_ZN9rocsparseL21csrmvt_general_kernelILj256ELj4EllaaiiEEvbbT2_NS_24const_host_device_scalarIT6_EEPKT1_S7_PKS1_PKT3_PKT4_PT5_21rocsparse_index_base_b,comdat
	.globl	_ZN9rocsparseL21csrmvt_general_kernelILj256ELj4EllaaiiEEvbbT2_NS_24const_host_device_scalarIT6_EEPKT1_S7_PKS1_PKT3_PKT4_PT5_21rocsparse_index_base_b ; -- Begin function _ZN9rocsparseL21csrmvt_general_kernelILj256ELj4EllaaiiEEvbbT2_NS_24const_host_device_scalarIT6_EEPKT1_S7_PKS1_PKT3_PKT4_PT5_21rocsparse_index_base_b
	.p2align	8
	.type	_ZN9rocsparseL21csrmvt_general_kernelILj256ELj4EllaaiiEEvbbT2_NS_24const_host_device_scalarIT6_EEPKT1_S7_PKS1_PKT3_PKT4_PT5_21rocsparse_index_base_b,@function
_ZN9rocsparseL21csrmvt_general_kernelILj256ELj4EllaaiiEEvbbT2_NS_24const_host_device_scalarIT6_EEPKT1_S7_PKS1_PKT3_PKT4_PT5_21rocsparse_index_base_b: ; @_ZN9rocsparseL21csrmvt_general_kernelILj256ELj4EllaaiiEEvbbT2_NS_24const_host_device_scalarIT6_EEPKT1_S7_PKS1_PKT3_PKT4_PT5_21rocsparse_index_base_b
; %bb.0:
	s_clause 0x1
	s_load_b64 s[2:3], s[0:1], 0x48
	s_load_b256 s[4:11], s[0:1], 0x8
	s_wait_kmcnt 0x0
	s_bitcmp0_b32 s3, 0
	s_mov_b32 s3, 0
	s_cbranch_scc0 .LBB160_2
; %bb.1:
	s_load_b32 s20, s[6:7], 0x0
	s_and_not1_b32 vcc_lo, exec_lo, s3
	s_cbranch_vccz .LBB160_3
	s_branch .LBB160_4
.LBB160_2:
                                        ; implicit-def: $sgpr20
.LBB160_3:
	s_wait_kmcnt 0x0
	s_mov_b32 s20, s6
.LBB160_4:
	s_wait_kmcnt 0x0
	s_cmp_eq_u32 s20, 0
	s_mov_b32 s7, 0
	s_cbranch_scc1 .LBB160_22
; %bb.5:
	s_clause 0x1
	s_load_b32 s3, s[0:1], 0x0
	s_load_b32 s6, s[0:1], 0x50
	s_bfe_u32 s12, ttmp6, 0x4000c
	s_and_b32 s13, ttmp6, 15
	s_add_co_i32 s12, s12, 1
	s_getreg_b32 s14, hwreg(HW_REG_IB_STS2, 6, 4)
	s_mul_i32 s12, ttmp9, s12
	v_mov_b32_e32 v3, 0
	s_add_co_i32 s21, s13, s12
	s_wait_kmcnt 0x0
	s_and_b32 s3, s3, 1
	s_lshl_b32 s6, s6, 6
	s_cmp_eq_u32 s14, 0
	s_load_b256 s[12:19], s[0:1], 0x28
	s_wait_xcnt 0x0
	s_cselect_b32 s0, ttmp9, s21
	s_cmp_eq_u32 s3, 0
	v_lshl_or_b32 v1, s0, 8, v0
	v_and_b32_e32 v0, 3, v0
	s_mov_b32 s1, -1
	s_delay_alu instid0(VALU_DEP_2) | instskip(NEXT) | instid1(VALU_DEP_1)
	v_lshrrev_b32_e32 v2, 2, v1
	v_cmp_gt_i64_e64 s0, s[4:5], v[2:3]
	s_cbranch_scc0 .LBB160_13
; %bb.6:
	s_and_saveexec_b32 s1, s0
	s_cbranch_execz .LBB160_12
; %bb.7:
	v_mov_b32_e32 v1, 0
	s_mov_b32 s3, 0
	v_mov_b64_e32 v[6:7], v[2:3]
	s_mov_b32 s21, s3
	s_delay_alu instid0(VALU_DEP_2)
	v_sub_nc_u64_e64 v[4:5], v[0:1], s[2:3]
	s_branch .LBB160_9
.LBB160_8:                              ;   in Loop: Header=BB160_9 Depth=1
	s_or_b32 exec_lo, exec_lo, s22
	v_add_nc_u64_e32 v[6:7], s[6:7], v[6:7]
	s_delay_alu instid0(VALU_DEP_1) | instskip(SKIP_1) | instid1(SALU_CYCLE_1)
	v_cmp_le_i64_e32 vcc_lo, s[4:5], v[6:7]
	s_or_b32 s21, vcc_lo, s21
	s_and_not1_b32 exec_lo, exec_lo, s21
	s_cbranch_execz .LBB160_12
.LBB160_9:                              ; =>This Loop Header: Depth=1
                                        ;     Child Loop BB160_11 Depth 2
	s_delay_alu instid0(VALU_DEP_2) | instskip(SKIP_1) | instid1(VALU_DEP_1)
	v_lshlrev_b64_e32 v[8:9], 3, v[6:7]
	s_mov_b32 s22, exec_lo
	v_add_nc_u64_e32 v[10:11], s[10:11], v[8:9]
	v_add_nc_u64_e32 v[8:9], s[8:9], v[8:9]
	global_load_b64 v[12:13], v[10:11], off
	global_load_b64 v[14:15], v[8:9], off
	s_wait_loadcnt 0x1
	s_wait_xcnt 0x0
	v_sub_nc_u64_e64 v[8:9], v[12:13], s[2:3]
	s_wait_loadcnt 0x0
	v_add_nc_u64_e32 v[10:11], v[14:15], v[4:5]
	s_delay_alu instid0(VALU_DEP_1)
	v_cmpx_lt_i64_e64 v[10:11], v[8:9]
	s_cbranch_execz .LBB160_8
; %bb.10:                               ;   in Loop: Header=BB160_9 Depth=1
	s_wait_kmcnt 0x0
	v_add_nc_u64_e32 v[12:13], s[16:17], v[6:7]
	s_mov_b32 s23, 0
	global_load_i8 v1, v[12:13], off
	s_wait_xcnt 0x0
	v_lshl_add_u64 v[12:13], v[10:11], 3, s[12:13]
	s_wait_loadcnt 0x0
	v_mul_lo_u32 v1, s20, v1
.LBB160_11:                             ;   Parent Loop BB160_9 Depth=1
                                        ; =>  This Inner Loop Header: Depth=2
	v_add_nc_u64_e32 v[14:15], s[14:15], v[10:11]
	v_add_nc_u64_e32 v[10:11], 4, v[10:11]
	global_load_b64 v[16:17], v[12:13], off
	global_load_i8 v18, v[14:15], off
	s_wait_xcnt 0x1
	v_add_nc_u64_e32 v[12:13], 32, v[12:13]
	v_cmp_ge_i64_e32 vcc_lo, v[10:11], v[8:9]
	s_or_b32 s23, vcc_lo, s23
	s_wait_loadcnt 0x1
	s_wait_xcnt 0x0
	v_sub_nc_u64_e64 v[14:15], v[16:17], s[2:3]
	s_wait_loadcnt 0x0
	v_mul_lo_u32 v16, v1, v18
	s_delay_alu instid0(VALU_DEP_2)
	v_lshl_add_u64 v[14:15], v[14:15], 2, s[18:19]
	global_atomic_add_u32 v[14:15], v16, off scope:SCOPE_DEV
	s_wait_xcnt 0x0
	s_and_not1_b32 exec_lo, exec_lo, s23
	s_cbranch_execnz .LBB160_11
	s_branch .LBB160_8
.LBB160_12:
	s_or_b32 exec_lo, exec_lo, s1
	s_mov_b32 s1, 0
.LBB160_13:
	s_delay_alu instid0(SALU_CYCLE_1)
	s_and_not1_b32 vcc_lo, exec_lo, s1
	s_cbranch_vccnz .LBB160_22
; %bb.14:
	s_and_saveexec_b32 s1, s0
	s_cbranch_execz .LBB160_22
; %bb.15:
	v_mov_b32_e32 v1, 0
	s_mov_b32 s3, 0
	s_delay_alu instid0(SALU_CYCLE_1) | instskip(NEXT) | instid1(VALU_DEP_1)
	s_mov_b32 s0, s3
	v_sub_nc_u64_e64 v[0:1], v[0:1], s[2:3]
	s_branch .LBB160_17
.LBB160_16:                             ;   in Loop: Header=BB160_17 Depth=1
	s_or_b32 exec_lo, exec_lo, s1
	v_add_nc_u64_e32 v[2:3], s[6:7], v[2:3]
	s_delay_alu instid0(VALU_DEP_1) | instskip(SKIP_1) | instid1(SALU_CYCLE_1)
	v_cmp_le_i64_e32 vcc_lo, s[4:5], v[2:3]
	s_or_b32 s0, vcc_lo, s0
	s_and_not1_b32 exec_lo, exec_lo, s0
	s_cbranch_execz .LBB160_22
.LBB160_17:                             ; =>This Loop Header: Depth=1
                                        ;     Child Loop BB160_20 Depth 2
	v_lshlrev_b64_e32 v[4:5], 3, v[2:3]
	s_mov_b32 s1, exec_lo
	s_delay_alu instid0(VALU_DEP_1)
	v_add_nc_u64_e32 v[6:7], s[10:11], v[4:5]
	v_add_nc_u64_e32 v[4:5], s[8:9], v[4:5]
	global_load_b64 v[8:9], v[6:7], off
	global_load_b64 v[10:11], v[4:5], off
	s_wait_loadcnt 0x1
	s_wait_xcnt 0x0
	v_sub_nc_u64_e64 v[4:5], v[8:9], s[2:3]
	s_wait_loadcnt 0x0
	v_add_nc_u64_e32 v[6:7], v[10:11], v[0:1]
	s_delay_alu instid0(VALU_DEP_1)
	v_cmpx_lt_i64_e64 v[6:7], v[4:5]
	s_cbranch_execz .LBB160_16
; %bb.18:                               ;   in Loop: Header=BB160_17 Depth=1
	s_wait_kmcnt 0x0
	v_add_nc_u64_e32 v[8:9], s[16:17], v[2:3]
	s_mov_b32 s21, 0
	global_load_i8 v8, v[8:9], off
	s_wait_loadcnt 0x0
	v_mul_lo_u32 v12, s20, v8
	s_wait_xcnt 0x0
	v_lshl_add_u64 v[8:9], v[6:7], 3, s[12:13]
	s_branch .LBB160_20
.LBB160_19:                             ;   in Loop: Header=BB160_20 Depth=2
	s_wait_xcnt 0x0
	s_or_b32 exec_lo, exec_lo, s22
	v_add_nc_u64_e32 v[6:7], 4, v[6:7]
	v_add_nc_u64_e32 v[8:9], 32, v[8:9]
	s_delay_alu instid0(VALU_DEP_2) | instskip(SKIP_1) | instid1(SALU_CYCLE_1)
	v_cmp_ge_i64_e32 vcc_lo, v[6:7], v[4:5]
	s_or_b32 s21, vcc_lo, s21
	s_and_not1_b32 exec_lo, exec_lo, s21
	s_cbranch_execz .LBB160_16
.LBB160_20:                             ;   Parent Loop BB160_17 Depth=1
                                        ; =>  This Inner Loop Header: Depth=2
	global_load_b64 v[10:11], v[8:9], off
	s_mov_b32 s22, exec_lo
	s_wait_loadcnt 0x0
	v_sub_nc_u64_e64 v[10:11], v[10:11], s[2:3]
	s_wait_xcnt 0x0
	s_delay_alu instid0(VALU_DEP_1)
	v_cmpx_ne_u64_e64 v[10:11], v[2:3]
	s_cbranch_execz .LBB160_19
; %bb.21:                               ;   in Loop: Header=BB160_20 Depth=2
	v_add_nc_u64_e32 v[14:15], s[14:15], v[6:7]
	v_lshl_add_u64 v[10:11], v[10:11], 2, s[18:19]
	global_load_i8 v13, v[14:15], off
	s_wait_loadcnt 0x0
	v_mul_lo_u32 v13, v12, v13
	s_wait_xcnt 0x0
	global_atomic_add_u32 v[10:11], v13, off scope:SCOPE_DEV
	s_branch .LBB160_19
.LBB160_22:
	s_endpgm
	.section	.rodata,"a",@progbits
	.p2align	6, 0x0
	.amdhsa_kernel _ZN9rocsparseL21csrmvt_general_kernelILj256ELj4EllaaiiEEvbbT2_NS_24const_host_device_scalarIT6_EEPKT1_S7_PKS1_PKT3_PKT4_PT5_21rocsparse_index_base_b
		.amdhsa_group_segment_fixed_size 0
		.amdhsa_private_segment_fixed_size 0
		.amdhsa_kernarg_size 336
		.amdhsa_user_sgpr_count 2
		.amdhsa_user_sgpr_dispatch_ptr 0
		.amdhsa_user_sgpr_queue_ptr 0
		.amdhsa_user_sgpr_kernarg_segment_ptr 1
		.amdhsa_user_sgpr_dispatch_id 0
		.amdhsa_user_sgpr_kernarg_preload_length 0
		.amdhsa_user_sgpr_kernarg_preload_offset 0
		.amdhsa_user_sgpr_private_segment_size 0
		.amdhsa_wavefront_size32 1
		.amdhsa_uses_dynamic_stack 0
		.amdhsa_enable_private_segment 0
		.amdhsa_system_sgpr_workgroup_id_x 1
		.amdhsa_system_sgpr_workgroup_id_y 0
		.amdhsa_system_sgpr_workgroup_id_z 0
		.amdhsa_system_sgpr_workgroup_info 0
		.amdhsa_system_vgpr_workitem_id 0
		.amdhsa_next_free_vgpr 19
		.amdhsa_next_free_sgpr 24
		.amdhsa_named_barrier_count 0
		.amdhsa_reserve_vcc 1
		.amdhsa_float_round_mode_32 0
		.amdhsa_float_round_mode_16_64 0
		.amdhsa_float_denorm_mode_32 3
		.amdhsa_float_denorm_mode_16_64 3
		.amdhsa_fp16_overflow 0
		.amdhsa_memory_ordered 1
		.amdhsa_forward_progress 1
		.amdhsa_inst_pref_size 7
		.amdhsa_round_robin_scheduling 0
		.amdhsa_exception_fp_ieee_invalid_op 0
		.amdhsa_exception_fp_denorm_src 0
		.amdhsa_exception_fp_ieee_div_zero 0
		.amdhsa_exception_fp_ieee_overflow 0
		.amdhsa_exception_fp_ieee_underflow 0
		.amdhsa_exception_fp_ieee_inexact 0
		.amdhsa_exception_int_div_zero 0
	.end_amdhsa_kernel
	.section	.text._ZN9rocsparseL21csrmvt_general_kernelILj256ELj4EllaaiiEEvbbT2_NS_24const_host_device_scalarIT6_EEPKT1_S7_PKS1_PKT3_PKT4_PT5_21rocsparse_index_base_b,"axG",@progbits,_ZN9rocsparseL21csrmvt_general_kernelILj256ELj4EllaaiiEEvbbT2_NS_24const_host_device_scalarIT6_EEPKT1_S7_PKS1_PKT3_PKT4_PT5_21rocsparse_index_base_b,comdat
.Lfunc_end160:
	.size	_ZN9rocsparseL21csrmvt_general_kernelILj256ELj4EllaaiiEEvbbT2_NS_24const_host_device_scalarIT6_EEPKT1_S7_PKS1_PKT3_PKT4_PT5_21rocsparse_index_base_b, .Lfunc_end160-_ZN9rocsparseL21csrmvt_general_kernelILj256ELj4EllaaiiEEvbbT2_NS_24const_host_device_scalarIT6_EEPKT1_S7_PKS1_PKT3_PKT4_PT5_21rocsparse_index_base_b
                                        ; -- End function
	.set _ZN9rocsparseL21csrmvt_general_kernelILj256ELj4EllaaiiEEvbbT2_NS_24const_host_device_scalarIT6_EEPKT1_S7_PKS1_PKT3_PKT4_PT5_21rocsparse_index_base_b.num_vgpr, 19
	.set _ZN9rocsparseL21csrmvt_general_kernelILj256ELj4EllaaiiEEvbbT2_NS_24const_host_device_scalarIT6_EEPKT1_S7_PKS1_PKT3_PKT4_PT5_21rocsparse_index_base_b.num_agpr, 0
	.set _ZN9rocsparseL21csrmvt_general_kernelILj256ELj4EllaaiiEEvbbT2_NS_24const_host_device_scalarIT6_EEPKT1_S7_PKS1_PKT3_PKT4_PT5_21rocsparse_index_base_b.numbered_sgpr, 24
	.set _ZN9rocsparseL21csrmvt_general_kernelILj256ELj4EllaaiiEEvbbT2_NS_24const_host_device_scalarIT6_EEPKT1_S7_PKS1_PKT3_PKT4_PT5_21rocsparse_index_base_b.num_named_barrier, 0
	.set _ZN9rocsparseL21csrmvt_general_kernelILj256ELj4EllaaiiEEvbbT2_NS_24const_host_device_scalarIT6_EEPKT1_S7_PKS1_PKT3_PKT4_PT5_21rocsparse_index_base_b.private_seg_size, 0
	.set _ZN9rocsparseL21csrmvt_general_kernelILj256ELj4EllaaiiEEvbbT2_NS_24const_host_device_scalarIT6_EEPKT1_S7_PKS1_PKT3_PKT4_PT5_21rocsparse_index_base_b.uses_vcc, 1
	.set _ZN9rocsparseL21csrmvt_general_kernelILj256ELj4EllaaiiEEvbbT2_NS_24const_host_device_scalarIT6_EEPKT1_S7_PKS1_PKT3_PKT4_PT5_21rocsparse_index_base_b.uses_flat_scratch, 0
	.set _ZN9rocsparseL21csrmvt_general_kernelILj256ELj4EllaaiiEEvbbT2_NS_24const_host_device_scalarIT6_EEPKT1_S7_PKS1_PKT3_PKT4_PT5_21rocsparse_index_base_b.has_dyn_sized_stack, 0
	.set _ZN9rocsparseL21csrmvt_general_kernelILj256ELj4EllaaiiEEvbbT2_NS_24const_host_device_scalarIT6_EEPKT1_S7_PKS1_PKT3_PKT4_PT5_21rocsparse_index_base_b.has_recursion, 0
	.set _ZN9rocsparseL21csrmvt_general_kernelILj256ELj4EllaaiiEEvbbT2_NS_24const_host_device_scalarIT6_EEPKT1_S7_PKS1_PKT3_PKT4_PT5_21rocsparse_index_base_b.has_indirect_call, 0
	.section	.AMDGPU.csdata,"",@progbits
; Kernel info:
; codeLenInByte = 884
; TotalNumSgprs: 26
; NumVgprs: 19
; ScratchSize: 0
; MemoryBound: 0
; FloatMode: 240
; IeeeMode: 1
; LDSByteSize: 0 bytes/workgroup (compile time only)
; SGPRBlocks: 0
; VGPRBlocks: 1
; NumSGPRsForWavesPerEU: 26
; NumVGPRsForWavesPerEU: 19
; NamedBarCnt: 0
; Occupancy: 16
; WaveLimiterHint : 1
; COMPUTE_PGM_RSRC2:SCRATCH_EN: 0
; COMPUTE_PGM_RSRC2:USER_SGPR: 2
; COMPUTE_PGM_RSRC2:TRAP_HANDLER: 0
; COMPUTE_PGM_RSRC2:TGID_X_EN: 1
; COMPUTE_PGM_RSRC2:TGID_Y_EN: 0
; COMPUTE_PGM_RSRC2:TGID_Z_EN: 0
; COMPUTE_PGM_RSRC2:TIDIG_COMP_CNT: 0
	.section	.text._ZN9rocsparseL21csrmvt_general_kernelILj256ELj8EllaaiiEEvbbT2_NS_24const_host_device_scalarIT6_EEPKT1_S7_PKS1_PKT3_PKT4_PT5_21rocsparse_index_base_b,"axG",@progbits,_ZN9rocsparseL21csrmvt_general_kernelILj256ELj8EllaaiiEEvbbT2_NS_24const_host_device_scalarIT6_EEPKT1_S7_PKS1_PKT3_PKT4_PT5_21rocsparse_index_base_b,comdat
	.globl	_ZN9rocsparseL21csrmvt_general_kernelILj256ELj8EllaaiiEEvbbT2_NS_24const_host_device_scalarIT6_EEPKT1_S7_PKS1_PKT3_PKT4_PT5_21rocsparse_index_base_b ; -- Begin function _ZN9rocsparseL21csrmvt_general_kernelILj256ELj8EllaaiiEEvbbT2_NS_24const_host_device_scalarIT6_EEPKT1_S7_PKS1_PKT3_PKT4_PT5_21rocsparse_index_base_b
	.p2align	8
	.type	_ZN9rocsparseL21csrmvt_general_kernelILj256ELj8EllaaiiEEvbbT2_NS_24const_host_device_scalarIT6_EEPKT1_S7_PKS1_PKT3_PKT4_PT5_21rocsparse_index_base_b,@function
_ZN9rocsparseL21csrmvt_general_kernelILj256ELj8EllaaiiEEvbbT2_NS_24const_host_device_scalarIT6_EEPKT1_S7_PKS1_PKT3_PKT4_PT5_21rocsparse_index_base_b: ; @_ZN9rocsparseL21csrmvt_general_kernelILj256ELj8EllaaiiEEvbbT2_NS_24const_host_device_scalarIT6_EEPKT1_S7_PKS1_PKT3_PKT4_PT5_21rocsparse_index_base_b
; %bb.0:
	s_clause 0x1
	s_load_b64 s[2:3], s[0:1], 0x48
	s_load_b256 s[4:11], s[0:1], 0x8
	s_wait_kmcnt 0x0
	s_bitcmp0_b32 s3, 0
	s_mov_b32 s3, 0
	s_cbranch_scc0 .LBB161_2
; %bb.1:
	s_load_b32 s20, s[6:7], 0x0
	s_and_not1_b32 vcc_lo, exec_lo, s3
	s_cbranch_vccz .LBB161_3
	s_branch .LBB161_4
.LBB161_2:
                                        ; implicit-def: $sgpr20
.LBB161_3:
	s_wait_kmcnt 0x0
	s_mov_b32 s20, s6
.LBB161_4:
	s_wait_kmcnt 0x0
	s_cmp_eq_u32 s20, 0
	s_mov_b32 s7, 0
	s_cbranch_scc1 .LBB161_22
; %bb.5:
	s_clause 0x1
	s_load_b32 s3, s[0:1], 0x0
	s_load_b32 s6, s[0:1], 0x50
	s_bfe_u32 s12, ttmp6, 0x4000c
	s_and_b32 s13, ttmp6, 15
	s_add_co_i32 s12, s12, 1
	s_getreg_b32 s14, hwreg(HW_REG_IB_STS2, 6, 4)
	s_mul_i32 s12, ttmp9, s12
	v_mov_b32_e32 v3, 0
	s_add_co_i32 s21, s13, s12
	s_wait_kmcnt 0x0
	s_and_b32 s3, s3, 1
	s_lshl_b32 s6, s6, 5
	s_cmp_eq_u32 s14, 0
	s_load_b256 s[12:19], s[0:1], 0x28
	s_wait_xcnt 0x0
	s_cselect_b32 s0, ttmp9, s21
	s_cmp_eq_u32 s3, 0
	v_lshl_or_b32 v1, s0, 8, v0
	v_and_b32_e32 v0, 7, v0
	s_mov_b32 s1, -1
	s_delay_alu instid0(VALU_DEP_2) | instskip(NEXT) | instid1(VALU_DEP_1)
	v_lshrrev_b32_e32 v2, 3, v1
	v_cmp_gt_i64_e64 s0, s[4:5], v[2:3]
	s_cbranch_scc0 .LBB161_13
; %bb.6:
	s_and_saveexec_b32 s1, s0
	s_cbranch_execz .LBB161_12
; %bb.7:
	v_mov_b32_e32 v1, 0
	s_mov_b32 s3, 0
	v_mov_b64_e32 v[6:7], v[2:3]
	s_mov_b32 s21, s3
	s_delay_alu instid0(VALU_DEP_2)
	v_sub_nc_u64_e64 v[4:5], v[0:1], s[2:3]
	s_branch .LBB161_9
.LBB161_8:                              ;   in Loop: Header=BB161_9 Depth=1
	s_or_b32 exec_lo, exec_lo, s22
	v_add_nc_u64_e32 v[6:7], s[6:7], v[6:7]
	s_delay_alu instid0(VALU_DEP_1) | instskip(SKIP_1) | instid1(SALU_CYCLE_1)
	v_cmp_le_i64_e32 vcc_lo, s[4:5], v[6:7]
	s_or_b32 s21, vcc_lo, s21
	s_and_not1_b32 exec_lo, exec_lo, s21
	s_cbranch_execz .LBB161_12
.LBB161_9:                              ; =>This Loop Header: Depth=1
                                        ;     Child Loop BB161_11 Depth 2
	s_delay_alu instid0(VALU_DEP_2) | instskip(SKIP_1) | instid1(VALU_DEP_1)
	v_lshlrev_b64_e32 v[8:9], 3, v[6:7]
	s_mov_b32 s22, exec_lo
	v_add_nc_u64_e32 v[10:11], s[10:11], v[8:9]
	v_add_nc_u64_e32 v[8:9], s[8:9], v[8:9]
	global_load_b64 v[12:13], v[10:11], off
	global_load_b64 v[14:15], v[8:9], off
	s_wait_loadcnt 0x1
	s_wait_xcnt 0x0
	v_sub_nc_u64_e64 v[8:9], v[12:13], s[2:3]
	s_wait_loadcnt 0x0
	v_add_nc_u64_e32 v[10:11], v[14:15], v[4:5]
	s_delay_alu instid0(VALU_DEP_1)
	v_cmpx_lt_i64_e64 v[10:11], v[8:9]
	s_cbranch_execz .LBB161_8
; %bb.10:                               ;   in Loop: Header=BB161_9 Depth=1
	s_wait_kmcnt 0x0
	v_add_nc_u64_e32 v[12:13], s[16:17], v[6:7]
	s_mov_b32 s23, 0
	global_load_i8 v1, v[12:13], off
	s_wait_xcnt 0x0
	v_lshl_add_u64 v[12:13], v[10:11], 3, s[12:13]
	s_wait_loadcnt 0x0
	v_mul_lo_u32 v1, s20, v1
.LBB161_11:                             ;   Parent Loop BB161_9 Depth=1
                                        ; =>  This Inner Loop Header: Depth=2
	v_add_nc_u64_e32 v[14:15], s[14:15], v[10:11]
	v_add_nc_u64_e32 v[10:11], 8, v[10:11]
	global_load_b64 v[16:17], v[12:13], off
	global_load_i8 v18, v[14:15], off
	s_wait_xcnt 0x1
	v_add_nc_u64_e32 v[12:13], 64, v[12:13]
	v_cmp_ge_i64_e32 vcc_lo, v[10:11], v[8:9]
	s_or_b32 s23, vcc_lo, s23
	s_wait_loadcnt 0x1
	s_wait_xcnt 0x0
	v_sub_nc_u64_e64 v[14:15], v[16:17], s[2:3]
	s_wait_loadcnt 0x0
	v_mul_lo_u32 v16, v1, v18
	s_delay_alu instid0(VALU_DEP_2)
	v_lshl_add_u64 v[14:15], v[14:15], 2, s[18:19]
	global_atomic_add_u32 v[14:15], v16, off scope:SCOPE_DEV
	s_wait_xcnt 0x0
	s_and_not1_b32 exec_lo, exec_lo, s23
	s_cbranch_execnz .LBB161_11
	s_branch .LBB161_8
.LBB161_12:
	s_or_b32 exec_lo, exec_lo, s1
	s_mov_b32 s1, 0
.LBB161_13:
	s_delay_alu instid0(SALU_CYCLE_1)
	s_and_not1_b32 vcc_lo, exec_lo, s1
	s_cbranch_vccnz .LBB161_22
; %bb.14:
	s_and_saveexec_b32 s1, s0
	s_cbranch_execz .LBB161_22
; %bb.15:
	v_mov_b32_e32 v1, 0
	s_mov_b32 s3, 0
	s_delay_alu instid0(SALU_CYCLE_1) | instskip(NEXT) | instid1(VALU_DEP_1)
	s_mov_b32 s0, s3
	v_sub_nc_u64_e64 v[0:1], v[0:1], s[2:3]
	s_branch .LBB161_17
.LBB161_16:                             ;   in Loop: Header=BB161_17 Depth=1
	s_or_b32 exec_lo, exec_lo, s1
	v_add_nc_u64_e32 v[2:3], s[6:7], v[2:3]
	s_delay_alu instid0(VALU_DEP_1) | instskip(SKIP_1) | instid1(SALU_CYCLE_1)
	v_cmp_le_i64_e32 vcc_lo, s[4:5], v[2:3]
	s_or_b32 s0, vcc_lo, s0
	s_and_not1_b32 exec_lo, exec_lo, s0
	s_cbranch_execz .LBB161_22
.LBB161_17:                             ; =>This Loop Header: Depth=1
                                        ;     Child Loop BB161_20 Depth 2
	v_lshlrev_b64_e32 v[4:5], 3, v[2:3]
	s_mov_b32 s1, exec_lo
	s_delay_alu instid0(VALU_DEP_1)
	v_add_nc_u64_e32 v[6:7], s[10:11], v[4:5]
	v_add_nc_u64_e32 v[4:5], s[8:9], v[4:5]
	global_load_b64 v[8:9], v[6:7], off
	global_load_b64 v[10:11], v[4:5], off
	s_wait_loadcnt 0x1
	s_wait_xcnt 0x0
	v_sub_nc_u64_e64 v[4:5], v[8:9], s[2:3]
	s_wait_loadcnt 0x0
	v_add_nc_u64_e32 v[6:7], v[10:11], v[0:1]
	s_delay_alu instid0(VALU_DEP_1)
	v_cmpx_lt_i64_e64 v[6:7], v[4:5]
	s_cbranch_execz .LBB161_16
; %bb.18:                               ;   in Loop: Header=BB161_17 Depth=1
	s_wait_kmcnt 0x0
	v_add_nc_u64_e32 v[8:9], s[16:17], v[2:3]
	s_mov_b32 s21, 0
	global_load_i8 v8, v[8:9], off
	s_wait_loadcnt 0x0
	v_mul_lo_u32 v12, s20, v8
	s_wait_xcnt 0x0
	v_lshl_add_u64 v[8:9], v[6:7], 3, s[12:13]
	s_branch .LBB161_20
.LBB161_19:                             ;   in Loop: Header=BB161_20 Depth=2
	s_wait_xcnt 0x0
	s_or_b32 exec_lo, exec_lo, s22
	v_add_nc_u64_e32 v[6:7], 8, v[6:7]
	v_add_nc_u64_e32 v[8:9], 64, v[8:9]
	s_delay_alu instid0(VALU_DEP_2) | instskip(SKIP_1) | instid1(SALU_CYCLE_1)
	v_cmp_ge_i64_e32 vcc_lo, v[6:7], v[4:5]
	s_or_b32 s21, vcc_lo, s21
	s_and_not1_b32 exec_lo, exec_lo, s21
	s_cbranch_execz .LBB161_16
.LBB161_20:                             ;   Parent Loop BB161_17 Depth=1
                                        ; =>  This Inner Loop Header: Depth=2
	global_load_b64 v[10:11], v[8:9], off
	s_mov_b32 s22, exec_lo
	s_wait_loadcnt 0x0
	v_sub_nc_u64_e64 v[10:11], v[10:11], s[2:3]
	s_wait_xcnt 0x0
	s_delay_alu instid0(VALU_DEP_1)
	v_cmpx_ne_u64_e64 v[10:11], v[2:3]
	s_cbranch_execz .LBB161_19
; %bb.21:                               ;   in Loop: Header=BB161_20 Depth=2
	v_add_nc_u64_e32 v[14:15], s[14:15], v[6:7]
	v_lshl_add_u64 v[10:11], v[10:11], 2, s[18:19]
	global_load_i8 v13, v[14:15], off
	s_wait_loadcnt 0x0
	v_mul_lo_u32 v13, v12, v13
	s_wait_xcnt 0x0
	global_atomic_add_u32 v[10:11], v13, off scope:SCOPE_DEV
	s_branch .LBB161_19
.LBB161_22:
	s_endpgm
	.section	.rodata,"a",@progbits
	.p2align	6, 0x0
	.amdhsa_kernel _ZN9rocsparseL21csrmvt_general_kernelILj256ELj8EllaaiiEEvbbT2_NS_24const_host_device_scalarIT6_EEPKT1_S7_PKS1_PKT3_PKT4_PT5_21rocsparse_index_base_b
		.amdhsa_group_segment_fixed_size 0
		.amdhsa_private_segment_fixed_size 0
		.amdhsa_kernarg_size 336
		.amdhsa_user_sgpr_count 2
		.amdhsa_user_sgpr_dispatch_ptr 0
		.amdhsa_user_sgpr_queue_ptr 0
		.amdhsa_user_sgpr_kernarg_segment_ptr 1
		.amdhsa_user_sgpr_dispatch_id 0
		.amdhsa_user_sgpr_kernarg_preload_length 0
		.amdhsa_user_sgpr_kernarg_preload_offset 0
		.amdhsa_user_sgpr_private_segment_size 0
		.amdhsa_wavefront_size32 1
		.amdhsa_uses_dynamic_stack 0
		.amdhsa_enable_private_segment 0
		.amdhsa_system_sgpr_workgroup_id_x 1
		.amdhsa_system_sgpr_workgroup_id_y 0
		.amdhsa_system_sgpr_workgroup_id_z 0
		.amdhsa_system_sgpr_workgroup_info 0
		.amdhsa_system_vgpr_workitem_id 0
		.amdhsa_next_free_vgpr 19
		.amdhsa_next_free_sgpr 24
		.amdhsa_named_barrier_count 0
		.amdhsa_reserve_vcc 1
		.amdhsa_float_round_mode_32 0
		.amdhsa_float_round_mode_16_64 0
		.amdhsa_float_denorm_mode_32 3
		.amdhsa_float_denorm_mode_16_64 3
		.amdhsa_fp16_overflow 0
		.amdhsa_memory_ordered 1
		.amdhsa_forward_progress 1
		.amdhsa_inst_pref_size 7
		.amdhsa_round_robin_scheduling 0
		.amdhsa_exception_fp_ieee_invalid_op 0
		.amdhsa_exception_fp_denorm_src 0
		.amdhsa_exception_fp_ieee_div_zero 0
		.amdhsa_exception_fp_ieee_overflow 0
		.amdhsa_exception_fp_ieee_underflow 0
		.amdhsa_exception_fp_ieee_inexact 0
		.amdhsa_exception_int_div_zero 0
	.end_amdhsa_kernel
	.section	.text._ZN9rocsparseL21csrmvt_general_kernelILj256ELj8EllaaiiEEvbbT2_NS_24const_host_device_scalarIT6_EEPKT1_S7_PKS1_PKT3_PKT4_PT5_21rocsparse_index_base_b,"axG",@progbits,_ZN9rocsparseL21csrmvt_general_kernelILj256ELj8EllaaiiEEvbbT2_NS_24const_host_device_scalarIT6_EEPKT1_S7_PKS1_PKT3_PKT4_PT5_21rocsparse_index_base_b,comdat
.Lfunc_end161:
	.size	_ZN9rocsparseL21csrmvt_general_kernelILj256ELj8EllaaiiEEvbbT2_NS_24const_host_device_scalarIT6_EEPKT1_S7_PKS1_PKT3_PKT4_PT5_21rocsparse_index_base_b, .Lfunc_end161-_ZN9rocsparseL21csrmvt_general_kernelILj256ELj8EllaaiiEEvbbT2_NS_24const_host_device_scalarIT6_EEPKT1_S7_PKS1_PKT3_PKT4_PT5_21rocsparse_index_base_b
                                        ; -- End function
	.set _ZN9rocsparseL21csrmvt_general_kernelILj256ELj8EllaaiiEEvbbT2_NS_24const_host_device_scalarIT6_EEPKT1_S7_PKS1_PKT3_PKT4_PT5_21rocsparse_index_base_b.num_vgpr, 19
	.set _ZN9rocsparseL21csrmvt_general_kernelILj256ELj8EllaaiiEEvbbT2_NS_24const_host_device_scalarIT6_EEPKT1_S7_PKS1_PKT3_PKT4_PT5_21rocsparse_index_base_b.num_agpr, 0
	.set _ZN9rocsparseL21csrmvt_general_kernelILj256ELj8EllaaiiEEvbbT2_NS_24const_host_device_scalarIT6_EEPKT1_S7_PKS1_PKT3_PKT4_PT5_21rocsparse_index_base_b.numbered_sgpr, 24
	.set _ZN9rocsparseL21csrmvt_general_kernelILj256ELj8EllaaiiEEvbbT2_NS_24const_host_device_scalarIT6_EEPKT1_S7_PKS1_PKT3_PKT4_PT5_21rocsparse_index_base_b.num_named_barrier, 0
	.set _ZN9rocsparseL21csrmvt_general_kernelILj256ELj8EllaaiiEEvbbT2_NS_24const_host_device_scalarIT6_EEPKT1_S7_PKS1_PKT3_PKT4_PT5_21rocsparse_index_base_b.private_seg_size, 0
	.set _ZN9rocsparseL21csrmvt_general_kernelILj256ELj8EllaaiiEEvbbT2_NS_24const_host_device_scalarIT6_EEPKT1_S7_PKS1_PKT3_PKT4_PT5_21rocsparse_index_base_b.uses_vcc, 1
	.set _ZN9rocsparseL21csrmvt_general_kernelILj256ELj8EllaaiiEEvbbT2_NS_24const_host_device_scalarIT6_EEPKT1_S7_PKS1_PKT3_PKT4_PT5_21rocsparse_index_base_b.uses_flat_scratch, 0
	.set _ZN9rocsparseL21csrmvt_general_kernelILj256ELj8EllaaiiEEvbbT2_NS_24const_host_device_scalarIT6_EEPKT1_S7_PKS1_PKT3_PKT4_PT5_21rocsparse_index_base_b.has_dyn_sized_stack, 0
	.set _ZN9rocsparseL21csrmvt_general_kernelILj256ELj8EllaaiiEEvbbT2_NS_24const_host_device_scalarIT6_EEPKT1_S7_PKS1_PKT3_PKT4_PT5_21rocsparse_index_base_b.has_recursion, 0
	.set _ZN9rocsparseL21csrmvt_general_kernelILj256ELj8EllaaiiEEvbbT2_NS_24const_host_device_scalarIT6_EEPKT1_S7_PKS1_PKT3_PKT4_PT5_21rocsparse_index_base_b.has_indirect_call, 0
	.section	.AMDGPU.csdata,"",@progbits
; Kernel info:
; codeLenInByte = 884
; TotalNumSgprs: 26
; NumVgprs: 19
; ScratchSize: 0
; MemoryBound: 0
; FloatMode: 240
; IeeeMode: 1
; LDSByteSize: 0 bytes/workgroup (compile time only)
; SGPRBlocks: 0
; VGPRBlocks: 1
; NumSGPRsForWavesPerEU: 26
; NumVGPRsForWavesPerEU: 19
; NamedBarCnt: 0
; Occupancy: 16
; WaveLimiterHint : 1
; COMPUTE_PGM_RSRC2:SCRATCH_EN: 0
; COMPUTE_PGM_RSRC2:USER_SGPR: 2
; COMPUTE_PGM_RSRC2:TRAP_HANDLER: 0
; COMPUTE_PGM_RSRC2:TGID_X_EN: 1
; COMPUTE_PGM_RSRC2:TGID_Y_EN: 0
; COMPUTE_PGM_RSRC2:TGID_Z_EN: 0
; COMPUTE_PGM_RSRC2:TIDIG_COMP_CNT: 0
	.section	.text._ZN9rocsparseL21csrmvt_general_kernelILj256ELj16EllaaiiEEvbbT2_NS_24const_host_device_scalarIT6_EEPKT1_S7_PKS1_PKT3_PKT4_PT5_21rocsparse_index_base_b,"axG",@progbits,_ZN9rocsparseL21csrmvt_general_kernelILj256ELj16EllaaiiEEvbbT2_NS_24const_host_device_scalarIT6_EEPKT1_S7_PKS1_PKT3_PKT4_PT5_21rocsparse_index_base_b,comdat
	.globl	_ZN9rocsparseL21csrmvt_general_kernelILj256ELj16EllaaiiEEvbbT2_NS_24const_host_device_scalarIT6_EEPKT1_S7_PKS1_PKT3_PKT4_PT5_21rocsparse_index_base_b ; -- Begin function _ZN9rocsparseL21csrmvt_general_kernelILj256ELj16EllaaiiEEvbbT2_NS_24const_host_device_scalarIT6_EEPKT1_S7_PKS1_PKT3_PKT4_PT5_21rocsparse_index_base_b
	.p2align	8
	.type	_ZN9rocsparseL21csrmvt_general_kernelILj256ELj16EllaaiiEEvbbT2_NS_24const_host_device_scalarIT6_EEPKT1_S7_PKS1_PKT3_PKT4_PT5_21rocsparse_index_base_b,@function
_ZN9rocsparseL21csrmvt_general_kernelILj256ELj16EllaaiiEEvbbT2_NS_24const_host_device_scalarIT6_EEPKT1_S7_PKS1_PKT3_PKT4_PT5_21rocsparse_index_base_b: ; @_ZN9rocsparseL21csrmvt_general_kernelILj256ELj16EllaaiiEEvbbT2_NS_24const_host_device_scalarIT6_EEPKT1_S7_PKS1_PKT3_PKT4_PT5_21rocsparse_index_base_b
; %bb.0:
	s_clause 0x1
	s_load_b64 s[2:3], s[0:1], 0x48
	s_load_b256 s[4:11], s[0:1], 0x8
	s_wait_kmcnt 0x0
	s_bitcmp0_b32 s3, 0
	s_mov_b32 s3, 0
	s_cbranch_scc0 .LBB162_2
; %bb.1:
	s_load_b32 s20, s[6:7], 0x0
	s_and_not1_b32 vcc_lo, exec_lo, s3
	s_cbranch_vccz .LBB162_3
	s_branch .LBB162_4
.LBB162_2:
                                        ; implicit-def: $sgpr20
.LBB162_3:
	s_wait_kmcnt 0x0
	s_mov_b32 s20, s6
.LBB162_4:
	s_wait_kmcnt 0x0
	s_cmp_eq_u32 s20, 0
	s_mov_b32 s7, 0
	s_cbranch_scc1 .LBB162_22
; %bb.5:
	s_clause 0x1
	s_load_b32 s3, s[0:1], 0x0
	s_load_b32 s6, s[0:1], 0x50
	s_bfe_u32 s12, ttmp6, 0x4000c
	s_and_b32 s13, ttmp6, 15
	s_add_co_i32 s12, s12, 1
	s_getreg_b32 s14, hwreg(HW_REG_IB_STS2, 6, 4)
	s_mul_i32 s12, ttmp9, s12
	v_mov_b32_e32 v3, 0
	s_add_co_i32 s21, s13, s12
	s_wait_kmcnt 0x0
	s_and_b32 s3, s3, 1
	s_lshl_b32 s6, s6, 4
	s_cmp_eq_u32 s14, 0
	s_load_b256 s[12:19], s[0:1], 0x28
	s_wait_xcnt 0x0
	s_cselect_b32 s0, ttmp9, s21
	s_cmp_eq_u32 s3, 0
	v_lshl_or_b32 v1, s0, 8, v0
	v_and_b32_e32 v0, 15, v0
	s_mov_b32 s1, -1
	s_delay_alu instid0(VALU_DEP_2) | instskip(NEXT) | instid1(VALU_DEP_1)
	v_lshrrev_b32_e32 v2, 4, v1
	v_cmp_gt_i64_e64 s0, s[4:5], v[2:3]
	s_cbranch_scc0 .LBB162_13
; %bb.6:
	s_and_saveexec_b32 s1, s0
	s_cbranch_execz .LBB162_12
; %bb.7:
	v_mov_b32_e32 v1, 0
	s_mov_b32 s3, 0
	v_mov_b64_e32 v[6:7], v[2:3]
	s_mov_b32 s21, s3
	s_delay_alu instid0(VALU_DEP_2)
	v_sub_nc_u64_e64 v[4:5], v[0:1], s[2:3]
	s_branch .LBB162_9
.LBB162_8:                              ;   in Loop: Header=BB162_9 Depth=1
	s_or_b32 exec_lo, exec_lo, s22
	v_add_nc_u64_e32 v[6:7], s[6:7], v[6:7]
	s_delay_alu instid0(VALU_DEP_1) | instskip(SKIP_1) | instid1(SALU_CYCLE_1)
	v_cmp_le_i64_e32 vcc_lo, s[4:5], v[6:7]
	s_or_b32 s21, vcc_lo, s21
	s_and_not1_b32 exec_lo, exec_lo, s21
	s_cbranch_execz .LBB162_12
.LBB162_9:                              ; =>This Loop Header: Depth=1
                                        ;     Child Loop BB162_11 Depth 2
	s_delay_alu instid0(VALU_DEP_2) | instskip(SKIP_1) | instid1(VALU_DEP_1)
	v_lshlrev_b64_e32 v[8:9], 3, v[6:7]
	s_mov_b32 s22, exec_lo
	v_add_nc_u64_e32 v[10:11], s[10:11], v[8:9]
	v_add_nc_u64_e32 v[8:9], s[8:9], v[8:9]
	global_load_b64 v[12:13], v[10:11], off
	global_load_b64 v[14:15], v[8:9], off
	s_wait_loadcnt 0x1
	s_wait_xcnt 0x0
	v_sub_nc_u64_e64 v[8:9], v[12:13], s[2:3]
	s_wait_loadcnt 0x0
	v_add_nc_u64_e32 v[10:11], v[14:15], v[4:5]
	s_delay_alu instid0(VALU_DEP_1)
	v_cmpx_lt_i64_e64 v[10:11], v[8:9]
	s_cbranch_execz .LBB162_8
; %bb.10:                               ;   in Loop: Header=BB162_9 Depth=1
	s_wait_kmcnt 0x0
	v_add_nc_u64_e32 v[12:13], s[16:17], v[6:7]
	s_mov_b32 s23, 0
	global_load_i8 v1, v[12:13], off
	s_wait_xcnt 0x0
	v_lshl_add_u64 v[12:13], v[10:11], 3, s[12:13]
	s_wait_loadcnt 0x0
	v_mul_lo_u32 v1, s20, v1
.LBB162_11:                             ;   Parent Loop BB162_9 Depth=1
                                        ; =>  This Inner Loop Header: Depth=2
	v_add_nc_u64_e32 v[14:15], s[14:15], v[10:11]
	v_add_nc_u64_e32 v[10:11], 16, v[10:11]
	global_load_b64 v[16:17], v[12:13], off
	global_load_i8 v18, v[14:15], off
	s_wait_xcnt 0x1
	v_add_nc_u64_e32 v[12:13], 0x80, v[12:13]
	v_cmp_ge_i64_e32 vcc_lo, v[10:11], v[8:9]
	s_or_b32 s23, vcc_lo, s23
	s_wait_loadcnt 0x1
	s_wait_xcnt 0x0
	v_sub_nc_u64_e64 v[14:15], v[16:17], s[2:3]
	s_wait_loadcnt 0x0
	v_mul_lo_u32 v16, v1, v18
	s_delay_alu instid0(VALU_DEP_2)
	v_lshl_add_u64 v[14:15], v[14:15], 2, s[18:19]
	global_atomic_add_u32 v[14:15], v16, off scope:SCOPE_DEV
	s_wait_xcnt 0x0
	s_and_not1_b32 exec_lo, exec_lo, s23
	s_cbranch_execnz .LBB162_11
	s_branch .LBB162_8
.LBB162_12:
	s_or_b32 exec_lo, exec_lo, s1
	s_mov_b32 s1, 0
.LBB162_13:
	s_delay_alu instid0(SALU_CYCLE_1)
	s_and_not1_b32 vcc_lo, exec_lo, s1
	s_cbranch_vccnz .LBB162_22
; %bb.14:
	s_and_saveexec_b32 s1, s0
	s_cbranch_execz .LBB162_22
; %bb.15:
	v_mov_b32_e32 v1, 0
	s_mov_b32 s3, 0
	s_delay_alu instid0(SALU_CYCLE_1) | instskip(NEXT) | instid1(VALU_DEP_1)
	s_mov_b32 s0, s3
	v_sub_nc_u64_e64 v[0:1], v[0:1], s[2:3]
	s_branch .LBB162_17
.LBB162_16:                             ;   in Loop: Header=BB162_17 Depth=1
	s_or_b32 exec_lo, exec_lo, s1
	v_add_nc_u64_e32 v[2:3], s[6:7], v[2:3]
	s_delay_alu instid0(VALU_DEP_1) | instskip(SKIP_1) | instid1(SALU_CYCLE_1)
	v_cmp_le_i64_e32 vcc_lo, s[4:5], v[2:3]
	s_or_b32 s0, vcc_lo, s0
	s_and_not1_b32 exec_lo, exec_lo, s0
	s_cbranch_execz .LBB162_22
.LBB162_17:                             ; =>This Loop Header: Depth=1
                                        ;     Child Loop BB162_20 Depth 2
	v_lshlrev_b64_e32 v[4:5], 3, v[2:3]
	s_mov_b32 s1, exec_lo
	s_delay_alu instid0(VALU_DEP_1)
	v_add_nc_u64_e32 v[6:7], s[10:11], v[4:5]
	v_add_nc_u64_e32 v[4:5], s[8:9], v[4:5]
	global_load_b64 v[8:9], v[6:7], off
	global_load_b64 v[10:11], v[4:5], off
	s_wait_loadcnt 0x1
	s_wait_xcnt 0x0
	v_sub_nc_u64_e64 v[4:5], v[8:9], s[2:3]
	s_wait_loadcnt 0x0
	v_add_nc_u64_e32 v[6:7], v[10:11], v[0:1]
	s_delay_alu instid0(VALU_DEP_1)
	v_cmpx_lt_i64_e64 v[6:7], v[4:5]
	s_cbranch_execz .LBB162_16
; %bb.18:                               ;   in Loop: Header=BB162_17 Depth=1
	s_wait_kmcnt 0x0
	v_add_nc_u64_e32 v[8:9], s[16:17], v[2:3]
	s_mov_b32 s21, 0
	global_load_i8 v8, v[8:9], off
	s_wait_loadcnt 0x0
	v_mul_lo_u32 v12, s20, v8
	s_wait_xcnt 0x0
	v_lshl_add_u64 v[8:9], v[6:7], 3, s[12:13]
	s_branch .LBB162_20
.LBB162_19:                             ;   in Loop: Header=BB162_20 Depth=2
	s_wait_xcnt 0x0
	s_or_b32 exec_lo, exec_lo, s22
	v_add_nc_u64_e32 v[6:7], 16, v[6:7]
	v_add_nc_u64_e32 v[8:9], 0x80, v[8:9]
	s_delay_alu instid0(VALU_DEP_2) | instskip(SKIP_1) | instid1(SALU_CYCLE_1)
	v_cmp_ge_i64_e32 vcc_lo, v[6:7], v[4:5]
	s_or_b32 s21, vcc_lo, s21
	s_and_not1_b32 exec_lo, exec_lo, s21
	s_cbranch_execz .LBB162_16
.LBB162_20:                             ;   Parent Loop BB162_17 Depth=1
                                        ; =>  This Inner Loop Header: Depth=2
	global_load_b64 v[10:11], v[8:9], off
	s_mov_b32 s22, exec_lo
	s_wait_loadcnt 0x0
	v_sub_nc_u64_e64 v[10:11], v[10:11], s[2:3]
	s_wait_xcnt 0x0
	s_delay_alu instid0(VALU_DEP_1)
	v_cmpx_ne_u64_e64 v[10:11], v[2:3]
	s_cbranch_execz .LBB162_19
; %bb.21:                               ;   in Loop: Header=BB162_20 Depth=2
	v_add_nc_u64_e32 v[14:15], s[14:15], v[6:7]
	v_lshl_add_u64 v[10:11], v[10:11], 2, s[18:19]
	global_load_i8 v13, v[14:15], off
	s_wait_loadcnt 0x0
	v_mul_lo_u32 v13, v12, v13
	s_wait_xcnt 0x0
	global_atomic_add_u32 v[10:11], v13, off scope:SCOPE_DEV
	s_branch .LBB162_19
.LBB162_22:
	s_endpgm
	.section	.rodata,"a",@progbits
	.p2align	6, 0x0
	.amdhsa_kernel _ZN9rocsparseL21csrmvt_general_kernelILj256ELj16EllaaiiEEvbbT2_NS_24const_host_device_scalarIT6_EEPKT1_S7_PKS1_PKT3_PKT4_PT5_21rocsparse_index_base_b
		.amdhsa_group_segment_fixed_size 0
		.amdhsa_private_segment_fixed_size 0
		.amdhsa_kernarg_size 336
		.amdhsa_user_sgpr_count 2
		.amdhsa_user_sgpr_dispatch_ptr 0
		.amdhsa_user_sgpr_queue_ptr 0
		.amdhsa_user_sgpr_kernarg_segment_ptr 1
		.amdhsa_user_sgpr_dispatch_id 0
		.amdhsa_user_sgpr_kernarg_preload_length 0
		.amdhsa_user_sgpr_kernarg_preload_offset 0
		.amdhsa_user_sgpr_private_segment_size 0
		.amdhsa_wavefront_size32 1
		.amdhsa_uses_dynamic_stack 0
		.amdhsa_enable_private_segment 0
		.amdhsa_system_sgpr_workgroup_id_x 1
		.amdhsa_system_sgpr_workgroup_id_y 0
		.amdhsa_system_sgpr_workgroup_id_z 0
		.amdhsa_system_sgpr_workgroup_info 0
		.amdhsa_system_vgpr_workitem_id 0
		.amdhsa_next_free_vgpr 19
		.amdhsa_next_free_sgpr 24
		.amdhsa_named_barrier_count 0
		.amdhsa_reserve_vcc 1
		.amdhsa_float_round_mode_32 0
		.amdhsa_float_round_mode_16_64 0
		.amdhsa_float_denorm_mode_32 3
		.amdhsa_float_denorm_mode_16_64 3
		.amdhsa_fp16_overflow 0
		.amdhsa_memory_ordered 1
		.amdhsa_forward_progress 1
		.amdhsa_inst_pref_size 7
		.amdhsa_round_robin_scheduling 0
		.amdhsa_exception_fp_ieee_invalid_op 0
		.amdhsa_exception_fp_denorm_src 0
		.amdhsa_exception_fp_ieee_div_zero 0
		.amdhsa_exception_fp_ieee_overflow 0
		.amdhsa_exception_fp_ieee_underflow 0
		.amdhsa_exception_fp_ieee_inexact 0
		.amdhsa_exception_int_div_zero 0
	.end_amdhsa_kernel
	.section	.text._ZN9rocsparseL21csrmvt_general_kernelILj256ELj16EllaaiiEEvbbT2_NS_24const_host_device_scalarIT6_EEPKT1_S7_PKS1_PKT3_PKT4_PT5_21rocsparse_index_base_b,"axG",@progbits,_ZN9rocsparseL21csrmvt_general_kernelILj256ELj16EllaaiiEEvbbT2_NS_24const_host_device_scalarIT6_EEPKT1_S7_PKS1_PKT3_PKT4_PT5_21rocsparse_index_base_b,comdat
.Lfunc_end162:
	.size	_ZN9rocsparseL21csrmvt_general_kernelILj256ELj16EllaaiiEEvbbT2_NS_24const_host_device_scalarIT6_EEPKT1_S7_PKS1_PKT3_PKT4_PT5_21rocsparse_index_base_b, .Lfunc_end162-_ZN9rocsparseL21csrmvt_general_kernelILj256ELj16EllaaiiEEvbbT2_NS_24const_host_device_scalarIT6_EEPKT1_S7_PKS1_PKT3_PKT4_PT5_21rocsparse_index_base_b
                                        ; -- End function
	.set _ZN9rocsparseL21csrmvt_general_kernelILj256ELj16EllaaiiEEvbbT2_NS_24const_host_device_scalarIT6_EEPKT1_S7_PKS1_PKT3_PKT4_PT5_21rocsparse_index_base_b.num_vgpr, 19
	.set _ZN9rocsparseL21csrmvt_general_kernelILj256ELj16EllaaiiEEvbbT2_NS_24const_host_device_scalarIT6_EEPKT1_S7_PKS1_PKT3_PKT4_PT5_21rocsparse_index_base_b.num_agpr, 0
	.set _ZN9rocsparseL21csrmvt_general_kernelILj256ELj16EllaaiiEEvbbT2_NS_24const_host_device_scalarIT6_EEPKT1_S7_PKS1_PKT3_PKT4_PT5_21rocsparse_index_base_b.numbered_sgpr, 24
	.set _ZN9rocsparseL21csrmvt_general_kernelILj256ELj16EllaaiiEEvbbT2_NS_24const_host_device_scalarIT6_EEPKT1_S7_PKS1_PKT3_PKT4_PT5_21rocsparse_index_base_b.num_named_barrier, 0
	.set _ZN9rocsparseL21csrmvt_general_kernelILj256ELj16EllaaiiEEvbbT2_NS_24const_host_device_scalarIT6_EEPKT1_S7_PKS1_PKT3_PKT4_PT5_21rocsparse_index_base_b.private_seg_size, 0
	.set _ZN9rocsparseL21csrmvt_general_kernelILj256ELj16EllaaiiEEvbbT2_NS_24const_host_device_scalarIT6_EEPKT1_S7_PKS1_PKT3_PKT4_PT5_21rocsparse_index_base_b.uses_vcc, 1
	.set _ZN9rocsparseL21csrmvt_general_kernelILj256ELj16EllaaiiEEvbbT2_NS_24const_host_device_scalarIT6_EEPKT1_S7_PKS1_PKT3_PKT4_PT5_21rocsparse_index_base_b.uses_flat_scratch, 0
	.set _ZN9rocsparseL21csrmvt_general_kernelILj256ELj16EllaaiiEEvbbT2_NS_24const_host_device_scalarIT6_EEPKT1_S7_PKS1_PKT3_PKT4_PT5_21rocsparse_index_base_b.has_dyn_sized_stack, 0
	.set _ZN9rocsparseL21csrmvt_general_kernelILj256ELj16EllaaiiEEvbbT2_NS_24const_host_device_scalarIT6_EEPKT1_S7_PKS1_PKT3_PKT4_PT5_21rocsparse_index_base_b.has_recursion, 0
	.set _ZN9rocsparseL21csrmvt_general_kernelILj256ELj16EllaaiiEEvbbT2_NS_24const_host_device_scalarIT6_EEPKT1_S7_PKS1_PKT3_PKT4_PT5_21rocsparse_index_base_b.has_indirect_call, 0
	.section	.AMDGPU.csdata,"",@progbits
; Kernel info:
; codeLenInByte = 892
; TotalNumSgprs: 26
; NumVgprs: 19
; ScratchSize: 0
; MemoryBound: 0
; FloatMode: 240
; IeeeMode: 1
; LDSByteSize: 0 bytes/workgroup (compile time only)
; SGPRBlocks: 0
; VGPRBlocks: 1
; NumSGPRsForWavesPerEU: 26
; NumVGPRsForWavesPerEU: 19
; NamedBarCnt: 0
; Occupancy: 16
; WaveLimiterHint : 1
; COMPUTE_PGM_RSRC2:SCRATCH_EN: 0
; COMPUTE_PGM_RSRC2:USER_SGPR: 2
; COMPUTE_PGM_RSRC2:TRAP_HANDLER: 0
; COMPUTE_PGM_RSRC2:TGID_X_EN: 1
; COMPUTE_PGM_RSRC2:TGID_Y_EN: 0
; COMPUTE_PGM_RSRC2:TGID_Z_EN: 0
; COMPUTE_PGM_RSRC2:TIDIG_COMP_CNT: 0
	.section	.text._ZN9rocsparseL21csrmvt_general_kernelILj256ELj32EllaaiiEEvbbT2_NS_24const_host_device_scalarIT6_EEPKT1_S7_PKS1_PKT3_PKT4_PT5_21rocsparse_index_base_b,"axG",@progbits,_ZN9rocsparseL21csrmvt_general_kernelILj256ELj32EllaaiiEEvbbT2_NS_24const_host_device_scalarIT6_EEPKT1_S7_PKS1_PKT3_PKT4_PT5_21rocsparse_index_base_b,comdat
	.globl	_ZN9rocsparseL21csrmvt_general_kernelILj256ELj32EllaaiiEEvbbT2_NS_24const_host_device_scalarIT6_EEPKT1_S7_PKS1_PKT3_PKT4_PT5_21rocsparse_index_base_b ; -- Begin function _ZN9rocsparseL21csrmvt_general_kernelILj256ELj32EllaaiiEEvbbT2_NS_24const_host_device_scalarIT6_EEPKT1_S7_PKS1_PKT3_PKT4_PT5_21rocsparse_index_base_b
	.p2align	8
	.type	_ZN9rocsparseL21csrmvt_general_kernelILj256ELj32EllaaiiEEvbbT2_NS_24const_host_device_scalarIT6_EEPKT1_S7_PKS1_PKT3_PKT4_PT5_21rocsparse_index_base_b,@function
_ZN9rocsparseL21csrmvt_general_kernelILj256ELj32EllaaiiEEvbbT2_NS_24const_host_device_scalarIT6_EEPKT1_S7_PKS1_PKT3_PKT4_PT5_21rocsparse_index_base_b: ; @_ZN9rocsparseL21csrmvt_general_kernelILj256ELj32EllaaiiEEvbbT2_NS_24const_host_device_scalarIT6_EEPKT1_S7_PKS1_PKT3_PKT4_PT5_21rocsparse_index_base_b
; %bb.0:
	s_clause 0x1
	s_load_b64 s[2:3], s[0:1], 0x48
	s_load_b256 s[4:11], s[0:1], 0x8
	s_wait_kmcnt 0x0
	s_bitcmp0_b32 s3, 0
	s_mov_b32 s3, 0
	s_cbranch_scc0 .LBB163_2
; %bb.1:
	s_load_b32 s20, s[6:7], 0x0
	s_and_not1_b32 vcc_lo, exec_lo, s3
	s_cbranch_vccz .LBB163_3
	s_branch .LBB163_4
.LBB163_2:
                                        ; implicit-def: $sgpr20
.LBB163_3:
	s_wait_kmcnt 0x0
	s_mov_b32 s20, s6
.LBB163_4:
	s_wait_kmcnt 0x0
	s_cmp_eq_u32 s20, 0
	s_mov_b32 s7, 0
	s_cbranch_scc1 .LBB163_22
; %bb.5:
	s_clause 0x1
	s_load_b32 s3, s[0:1], 0x0
	s_load_b32 s6, s[0:1], 0x50
	s_bfe_u32 s12, ttmp6, 0x4000c
	s_and_b32 s13, ttmp6, 15
	s_add_co_i32 s12, s12, 1
	s_getreg_b32 s14, hwreg(HW_REG_IB_STS2, 6, 4)
	s_mul_i32 s12, ttmp9, s12
	v_mov_b32_e32 v3, 0
	s_add_co_i32 s21, s13, s12
	s_wait_kmcnt 0x0
	s_and_b32 s3, s3, 1
	s_lshl_b32 s6, s6, 3
	s_cmp_eq_u32 s14, 0
	s_load_b256 s[12:19], s[0:1], 0x28
	s_wait_xcnt 0x0
	s_cselect_b32 s0, ttmp9, s21
	s_cmp_eq_u32 s3, 0
	v_lshl_or_b32 v1, s0, 8, v0
	v_and_b32_e32 v0, 31, v0
	s_mov_b32 s1, -1
	s_delay_alu instid0(VALU_DEP_2) | instskip(NEXT) | instid1(VALU_DEP_1)
	v_lshrrev_b32_e32 v2, 5, v1
	v_cmp_gt_i64_e64 s0, s[4:5], v[2:3]
	s_cbranch_scc0 .LBB163_13
; %bb.6:
	s_and_saveexec_b32 s1, s0
	s_cbranch_execz .LBB163_12
; %bb.7:
	v_mov_b32_e32 v1, 0
	s_mov_b32 s3, 0
	v_mov_b64_e32 v[6:7], v[2:3]
	s_mov_b32 s21, s3
	s_delay_alu instid0(VALU_DEP_2)
	v_sub_nc_u64_e64 v[4:5], v[0:1], s[2:3]
	s_branch .LBB163_9
.LBB163_8:                              ;   in Loop: Header=BB163_9 Depth=1
	s_or_b32 exec_lo, exec_lo, s22
	v_add_nc_u64_e32 v[6:7], s[6:7], v[6:7]
	s_delay_alu instid0(VALU_DEP_1) | instskip(SKIP_1) | instid1(SALU_CYCLE_1)
	v_cmp_le_i64_e32 vcc_lo, s[4:5], v[6:7]
	s_or_b32 s21, vcc_lo, s21
	s_and_not1_b32 exec_lo, exec_lo, s21
	s_cbranch_execz .LBB163_12
.LBB163_9:                              ; =>This Loop Header: Depth=1
                                        ;     Child Loop BB163_11 Depth 2
	s_delay_alu instid0(VALU_DEP_2) | instskip(SKIP_1) | instid1(VALU_DEP_1)
	v_lshlrev_b64_e32 v[8:9], 3, v[6:7]
	s_mov_b32 s22, exec_lo
	v_add_nc_u64_e32 v[10:11], s[10:11], v[8:9]
	v_add_nc_u64_e32 v[8:9], s[8:9], v[8:9]
	global_load_b64 v[12:13], v[10:11], off
	global_load_b64 v[14:15], v[8:9], off
	s_wait_loadcnt 0x1
	s_wait_xcnt 0x0
	v_sub_nc_u64_e64 v[8:9], v[12:13], s[2:3]
	s_wait_loadcnt 0x0
	v_add_nc_u64_e32 v[10:11], v[14:15], v[4:5]
	s_delay_alu instid0(VALU_DEP_1)
	v_cmpx_lt_i64_e64 v[10:11], v[8:9]
	s_cbranch_execz .LBB163_8
; %bb.10:                               ;   in Loop: Header=BB163_9 Depth=1
	s_wait_kmcnt 0x0
	v_add_nc_u64_e32 v[12:13], s[16:17], v[6:7]
	s_mov_b32 s23, 0
	global_load_i8 v1, v[12:13], off
	s_wait_xcnt 0x0
	v_lshl_add_u64 v[12:13], v[10:11], 3, s[12:13]
	s_wait_loadcnt 0x0
	v_mul_lo_u32 v1, s20, v1
.LBB163_11:                             ;   Parent Loop BB163_9 Depth=1
                                        ; =>  This Inner Loop Header: Depth=2
	v_add_nc_u64_e32 v[14:15], s[14:15], v[10:11]
	v_add_nc_u64_e32 v[10:11], 32, v[10:11]
	global_load_b64 v[16:17], v[12:13], off
	global_load_i8 v18, v[14:15], off
	s_wait_xcnt 0x1
	v_add_nc_u64_e32 v[12:13], 0x100, v[12:13]
	v_cmp_ge_i64_e32 vcc_lo, v[10:11], v[8:9]
	s_or_b32 s23, vcc_lo, s23
	s_wait_loadcnt 0x1
	s_wait_xcnt 0x0
	v_sub_nc_u64_e64 v[14:15], v[16:17], s[2:3]
	s_wait_loadcnt 0x0
	v_mul_lo_u32 v16, v1, v18
	s_delay_alu instid0(VALU_DEP_2)
	v_lshl_add_u64 v[14:15], v[14:15], 2, s[18:19]
	global_atomic_add_u32 v[14:15], v16, off scope:SCOPE_DEV
	s_wait_xcnt 0x0
	s_and_not1_b32 exec_lo, exec_lo, s23
	s_cbranch_execnz .LBB163_11
	s_branch .LBB163_8
.LBB163_12:
	s_or_b32 exec_lo, exec_lo, s1
	s_mov_b32 s1, 0
.LBB163_13:
	s_delay_alu instid0(SALU_CYCLE_1)
	s_and_not1_b32 vcc_lo, exec_lo, s1
	s_cbranch_vccnz .LBB163_22
; %bb.14:
	s_and_saveexec_b32 s1, s0
	s_cbranch_execz .LBB163_22
; %bb.15:
	v_mov_b32_e32 v1, 0
	s_mov_b32 s3, 0
	s_delay_alu instid0(SALU_CYCLE_1) | instskip(NEXT) | instid1(VALU_DEP_1)
	s_mov_b32 s0, s3
	v_sub_nc_u64_e64 v[0:1], v[0:1], s[2:3]
	s_branch .LBB163_17
.LBB163_16:                             ;   in Loop: Header=BB163_17 Depth=1
	s_or_b32 exec_lo, exec_lo, s1
	v_add_nc_u64_e32 v[2:3], s[6:7], v[2:3]
	s_delay_alu instid0(VALU_DEP_1) | instskip(SKIP_1) | instid1(SALU_CYCLE_1)
	v_cmp_le_i64_e32 vcc_lo, s[4:5], v[2:3]
	s_or_b32 s0, vcc_lo, s0
	s_and_not1_b32 exec_lo, exec_lo, s0
	s_cbranch_execz .LBB163_22
.LBB163_17:                             ; =>This Loop Header: Depth=1
                                        ;     Child Loop BB163_20 Depth 2
	v_lshlrev_b64_e32 v[4:5], 3, v[2:3]
	s_mov_b32 s1, exec_lo
	s_delay_alu instid0(VALU_DEP_1)
	v_add_nc_u64_e32 v[6:7], s[10:11], v[4:5]
	v_add_nc_u64_e32 v[4:5], s[8:9], v[4:5]
	global_load_b64 v[8:9], v[6:7], off
	global_load_b64 v[10:11], v[4:5], off
	s_wait_loadcnt 0x1
	s_wait_xcnt 0x0
	v_sub_nc_u64_e64 v[4:5], v[8:9], s[2:3]
	s_wait_loadcnt 0x0
	v_add_nc_u64_e32 v[6:7], v[10:11], v[0:1]
	s_delay_alu instid0(VALU_DEP_1)
	v_cmpx_lt_i64_e64 v[6:7], v[4:5]
	s_cbranch_execz .LBB163_16
; %bb.18:                               ;   in Loop: Header=BB163_17 Depth=1
	s_wait_kmcnt 0x0
	v_add_nc_u64_e32 v[8:9], s[16:17], v[2:3]
	s_mov_b32 s21, 0
	global_load_i8 v8, v[8:9], off
	s_wait_loadcnt 0x0
	v_mul_lo_u32 v12, s20, v8
	s_wait_xcnt 0x0
	v_lshl_add_u64 v[8:9], v[6:7], 3, s[12:13]
	s_branch .LBB163_20
.LBB163_19:                             ;   in Loop: Header=BB163_20 Depth=2
	s_wait_xcnt 0x0
	s_or_b32 exec_lo, exec_lo, s22
	v_add_nc_u64_e32 v[6:7], 32, v[6:7]
	v_add_nc_u64_e32 v[8:9], 0x100, v[8:9]
	s_delay_alu instid0(VALU_DEP_2) | instskip(SKIP_1) | instid1(SALU_CYCLE_1)
	v_cmp_ge_i64_e32 vcc_lo, v[6:7], v[4:5]
	s_or_b32 s21, vcc_lo, s21
	s_and_not1_b32 exec_lo, exec_lo, s21
	s_cbranch_execz .LBB163_16
.LBB163_20:                             ;   Parent Loop BB163_17 Depth=1
                                        ; =>  This Inner Loop Header: Depth=2
	global_load_b64 v[10:11], v[8:9], off
	s_mov_b32 s22, exec_lo
	s_wait_loadcnt 0x0
	v_sub_nc_u64_e64 v[10:11], v[10:11], s[2:3]
	s_wait_xcnt 0x0
	s_delay_alu instid0(VALU_DEP_1)
	v_cmpx_ne_u64_e64 v[10:11], v[2:3]
	s_cbranch_execz .LBB163_19
; %bb.21:                               ;   in Loop: Header=BB163_20 Depth=2
	v_add_nc_u64_e32 v[14:15], s[14:15], v[6:7]
	v_lshl_add_u64 v[10:11], v[10:11], 2, s[18:19]
	global_load_i8 v13, v[14:15], off
	s_wait_loadcnt 0x0
	v_mul_lo_u32 v13, v12, v13
	s_wait_xcnt 0x0
	global_atomic_add_u32 v[10:11], v13, off scope:SCOPE_DEV
	s_branch .LBB163_19
.LBB163_22:
	s_endpgm
	.section	.rodata,"a",@progbits
	.p2align	6, 0x0
	.amdhsa_kernel _ZN9rocsparseL21csrmvt_general_kernelILj256ELj32EllaaiiEEvbbT2_NS_24const_host_device_scalarIT6_EEPKT1_S7_PKS1_PKT3_PKT4_PT5_21rocsparse_index_base_b
		.amdhsa_group_segment_fixed_size 0
		.amdhsa_private_segment_fixed_size 0
		.amdhsa_kernarg_size 336
		.amdhsa_user_sgpr_count 2
		.amdhsa_user_sgpr_dispatch_ptr 0
		.amdhsa_user_sgpr_queue_ptr 0
		.amdhsa_user_sgpr_kernarg_segment_ptr 1
		.amdhsa_user_sgpr_dispatch_id 0
		.amdhsa_user_sgpr_kernarg_preload_length 0
		.amdhsa_user_sgpr_kernarg_preload_offset 0
		.amdhsa_user_sgpr_private_segment_size 0
		.amdhsa_wavefront_size32 1
		.amdhsa_uses_dynamic_stack 0
		.amdhsa_enable_private_segment 0
		.amdhsa_system_sgpr_workgroup_id_x 1
		.amdhsa_system_sgpr_workgroup_id_y 0
		.amdhsa_system_sgpr_workgroup_id_z 0
		.amdhsa_system_sgpr_workgroup_info 0
		.amdhsa_system_vgpr_workitem_id 0
		.amdhsa_next_free_vgpr 19
		.amdhsa_next_free_sgpr 24
		.amdhsa_named_barrier_count 0
		.amdhsa_reserve_vcc 1
		.amdhsa_float_round_mode_32 0
		.amdhsa_float_round_mode_16_64 0
		.amdhsa_float_denorm_mode_32 3
		.amdhsa_float_denorm_mode_16_64 3
		.amdhsa_fp16_overflow 0
		.amdhsa_memory_ordered 1
		.amdhsa_forward_progress 1
		.amdhsa_inst_pref_size 7
		.amdhsa_round_robin_scheduling 0
		.amdhsa_exception_fp_ieee_invalid_op 0
		.amdhsa_exception_fp_denorm_src 0
		.amdhsa_exception_fp_ieee_div_zero 0
		.amdhsa_exception_fp_ieee_overflow 0
		.amdhsa_exception_fp_ieee_underflow 0
		.amdhsa_exception_fp_ieee_inexact 0
		.amdhsa_exception_int_div_zero 0
	.end_amdhsa_kernel
	.section	.text._ZN9rocsparseL21csrmvt_general_kernelILj256ELj32EllaaiiEEvbbT2_NS_24const_host_device_scalarIT6_EEPKT1_S7_PKS1_PKT3_PKT4_PT5_21rocsparse_index_base_b,"axG",@progbits,_ZN9rocsparseL21csrmvt_general_kernelILj256ELj32EllaaiiEEvbbT2_NS_24const_host_device_scalarIT6_EEPKT1_S7_PKS1_PKT3_PKT4_PT5_21rocsparse_index_base_b,comdat
.Lfunc_end163:
	.size	_ZN9rocsparseL21csrmvt_general_kernelILj256ELj32EllaaiiEEvbbT2_NS_24const_host_device_scalarIT6_EEPKT1_S7_PKS1_PKT3_PKT4_PT5_21rocsparse_index_base_b, .Lfunc_end163-_ZN9rocsparseL21csrmvt_general_kernelILj256ELj32EllaaiiEEvbbT2_NS_24const_host_device_scalarIT6_EEPKT1_S7_PKS1_PKT3_PKT4_PT5_21rocsparse_index_base_b
                                        ; -- End function
	.set _ZN9rocsparseL21csrmvt_general_kernelILj256ELj32EllaaiiEEvbbT2_NS_24const_host_device_scalarIT6_EEPKT1_S7_PKS1_PKT3_PKT4_PT5_21rocsparse_index_base_b.num_vgpr, 19
	.set _ZN9rocsparseL21csrmvt_general_kernelILj256ELj32EllaaiiEEvbbT2_NS_24const_host_device_scalarIT6_EEPKT1_S7_PKS1_PKT3_PKT4_PT5_21rocsparse_index_base_b.num_agpr, 0
	.set _ZN9rocsparseL21csrmvt_general_kernelILj256ELj32EllaaiiEEvbbT2_NS_24const_host_device_scalarIT6_EEPKT1_S7_PKS1_PKT3_PKT4_PT5_21rocsparse_index_base_b.numbered_sgpr, 24
	.set _ZN9rocsparseL21csrmvt_general_kernelILj256ELj32EllaaiiEEvbbT2_NS_24const_host_device_scalarIT6_EEPKT1_S7_PKS1_PKT3_PKT4_PT5_21rocsparse_index_base_b.num_named_barrier, 0
	.set _ZN9rocsparseL21csrmvt_general_kernelILj256ELj32EllaaiiEEvbbT2_NS_24const_host_device_scalarIT6_EEPKT1_S7_PKS1_PKT3_PKT4_PT5_21rocsparse_index_base_b.private_seg_size, 0
	.set _ZN9rocsparseL21csrmvt_general_kernelILj256ELj32EllaaiiEEvbbT2_NS_24const_host_device_scalarIT6_EEPKT1_S7_PKS1_PKT3_PKT4_PT5_21rocsparse_index_base_b.uses_vcc, 1
	.set _ZN9rocsparseL21csrmvt_general_kernelILj256ELj32EllaaiiEEvbbT2_NS_24const_host_device_scalarIT6_EEPKT1_S7_PKS1_PKT3_PKT4_PT5_21rocsparse_index_base_b.uses_flat_scratch, 0
	.set _ZN9rocsparseL21csrmvt_general_kernelILj256ELj32EllaaiiEEvbbT2_NS_24const_host_device_scalarIT6_EEPKT1_S7_PKS1_PKT3_PKT4_PT5_21rocsparse_index_base_b.has_dyn_sized_stack, 0
	.set _ZN9rocsparseL21csrmvt_general_kernelILj256ELj32EllaaiiEEvbbT2_NS_24const_host_device_scalarIT6_EEPKT1_S7_PKS1_PKT3_PKT4_PT5_21rocsparse_index_base_b.has_recursion, 0
	.set _ZN9rocsparseL21csrmvt_general_kernelILj256ELj32EllaaiiEEvbbT2_NS_24const_host_device_scalarIT6_EEPKT1_S7_PKS1_PKT3_PKT4_PT5_21rocsparse_index_base_b.has_indirect_call, 0
	.section	.AMDGPU.csdata,"",@progbits
; Kernel info:
; codeLenInByte = 892
; TotalNumSgprs: 26
; NumVgprs: 19
; ScratchSize: 0
; MemoryBound: 0
; FloatMode: 240
; IeeeMode: 1
; LDSByteSize: 0 bytes/workgroup (compile time only)
; SGPRBlocks: 0
; VGPRBlocks: 1
; NumSGPRsForWavesPerEU: 26
; NumVGPRsForWavesPerEU: 19
; NamedBarCnt: 0
; Occupancy: 16
; WaveLimiterHint : 1
; COMPUTE_PGM_RSRC2:SCRATCH_EN: 0
; COMPUTE_PGM_RSRC2:USER_SGPR: 2
; COMPUTE_PGM_RSRC2:TRAP_HANDLER: 0
; COMPUTE_PGM_RSRC2:TGID_X_EN: 1
; COMPUTE_PGM_RSRC2:TGID_Y_EN: 0
; COMPUTE_PGM_RSRC2:TGID_Z_EN: 0
; COMPUTE_PGM_RSRC2:TIDIG_COMP_CNT: 0
	.section	.text._ZN9rocsparseL21csrmvt_general_kernelILj256ELj64EllaaiiEEvbbT2_NS_24const_host_device_scalarIT6_EEPKT1_S7_PKS1_PKT3_PKT4_PT5_21rocsparse_index_base_b,"axG",@progbits,_ZN9rocsparseL21csrmvt_general_kernelILj256ELj64EllaaiiEEvbbT2_NS_24const_host_device_scalarIT6_EEPKT1_S7_PKS1_PKT3_PKT4_PT5_21rocsparse_index_base_b,comdat
	.globl	_ZN9rocsparseL21csrmvt_general_kernelILj256ELj64EllaaiiEEvbbT2_NS_24const_host_device_scalarIT6_EEPKT1_S7_PKS1_PKT3_PKT4_PT5_21rocsparse_index_base_b ; -- Begin function _ZN9rocsparseL21csrmvt_general_kernelILj256ELj64EllaaiiEEvbbT2_NS_24const_host_device_scalarIT6_EEPKT1_S7_PKS1_PKT3_PKT4_PT5_21rocsparse_index_base_b
	.p2align	8
	.type	_ZN9rocsparseL21csrmvt_general_kernelILj256ELj64EllaaiiEEvbbT2_NS_24const_host_device_scalarIT6_EEPKT1_S7_PKS1_PKT3_PKT4_PT5_21rocsparse_index_base_b,@function
_ZN9rocsparseL21csrmvt_general_kernelILj256ELj64EllaaiiEEvbbT2_NS_24const_host_device_scalarIT6_EEPKT1_S7_PKS1_PKT3_PKT4_PT5_21rocsparse_index_base_b: ; @_ZN9rocsparseL21csrmvt_general_kernelILj256ELj64EllaaiiEEvbbT2_NS_24const_host_device_scalarIT6_EEPKT1_S7_PKS1_PKT3_PKT4_PT5_21rocsparse_index_base_b
; %bb.0:
	s_clause 0x1
	s_load_b64 s[2:3], s[0:1], 0x48
	s_load_b256 s[4:11], s[0:1], 0x8
	s_wait_kmcnt 0x0
	s_bitcmp0_b32 s3, 0
	s_mov_b32 s3, 0
	s_cbranch_scc0 .LBB164_2
; %bb.1:
	s_load_b32 s20, s[6:7], 0x0
	s_and_not1_b32 vcc_lo, exec_lo, s3
	s_cbranch_vccz .LBB164_3
	s_branch .LBB164_4
.LBB164_2:
                                        ; implicit-def: $sgpr20
.LBB164_3:
	s_wait_kmcnt 0x0
	s_mov_b32 s20, s6
.LBB164_4:
	s_wait_kmcnt 0x0
	s_cmp_eq_u32 s20, 0
	s_mov_b32 s7, 0
	s_cbranch_scc1 .LBB164_22
; %bb.5:
	s_clause 0x1
	s_load_b32 s3, s[0:1], 0x0
	s_load_b32 s6, s[0:1], 0x50
	s_bfe_u32 s12, ttmp6, 0x4000c
	s_and_b32 s13, ttmp6, 15
	s_add_co_i32 s12, s12, 1
	s_getreg_b32 s14, hwreg(HW_REG_IB_STS2, 6, 4)
	s_mul_i32 s12, ttmp9, s12
	v_mov_b32_e32 v3, 0
	s_add_co_i32 s21, s13, s12
	s_wait_kmcnt 0x0
	s_and_b32 s3, s3, 1
	s_lshl_b32 s6, s6, 2
	s_cmp_eq_u32 s14, 0
	s_load_b256 s[12:19], s[0:1], 0x28
	s_wait_xcnt 0x0
	s_cselect_b32 s0, ttmp9, s21
	s_cmp_eq_u32 s3, 0
	v_lshl_or_b32 v1, s0, 8, v0
	v_and_b32_e32 v0, 63, v0
	s_mov_b32 s1, -1
	s_delay_alu instid0(VALU_DEP_2) | instskip(NEXT) | instid1(VALU_DEP_1)
	v_lshrrev_b32_e32 v2, 6, v1
	v_cmp_gt_i64_e64 s0, s[4:5], v[2:3]
	s_cbranch_scc0 .LBB164_13
; %bb.6:
	s_and_saveexec_b32 s1, s0
	s_cbranch_execz .LBB164_12
; %bb.7:
	v_mov_b32_e32 v1, 0
	s_mov_b32 s3, 0
	v_mov_b64_e32 v[6:7], v[2:3]
	s_mov_b32 s21, s3
	s_delay_alu instid0(VALU_DEP_2)
	v_sub_nc_u64_e64 v[4:5], v[0:1], s[2:3]
	s_branch .LBB164_9
.LBB164_8:                              ;   in Loop: Header=BB164_9 Depth=1
	s_or_b32 exec_lo, exec_lo, s22
	v_add_nc_u64_e32 v[6:7], s[6:7], v[6:7]
	s_delay_alu instid0(VALU_DEP_1) | instskip(SKIP_1) | instid1(SALU_CYCLE_1)
	v_cmp_le_i64_e32 vcc_lo, s[4:5], v[6:7]
	s_or_b32 s21, vcc_lo, s21
	s_and_not1_b32 exec_lo, exec_lo, s21
	s_cbranch_execz .LBB164_12
.LBB164_9:                              ; =>This Loop Header: Depth=1
                                        ;     Child Loop BB164_11 Depth 2
	s_delay_alu instid0(VALU_DEP_2) | instskip(SKIP_1) | instid1(VALU_DEP_1)
	v_lshlrev_b64_e32 v[8:9], 3, v[6:7]
	s_mov_b32 s22, exec_lo
	v_add_nc_u64_e32 v[10:11], s[10:11], v[8:9]
	v_add_nc_u64_e32 v[8:9], s[8:9], v[8:9]
	global_load_b64 v[12:13], v[10:11], off
	global_load_b64 v[14:15], v[8:9], off
	s_wait_loadcnt 0x1
	s_wait_xcnt 0x0
	v_sub_nc_u64_e64 v[8:9], v[12:13], s[2:3]
	s_wait_loadcnt 0x0
	v_add_nc_u64_e32 v[10:11], v[14:15], v[4:5]
	s_delay_alu instid0(VALU_DEP_1)
	v_cmpx_lt_i64_e64 v[10:11], v[8:9]
	s_cbranch_execz .LBB164_8
; %bb.10:                               ;   in Loop: Header=BB164_9 Depth=1
	s_wait_kmcnt 0x0
	v_add_nc_u64_e32 v[12:13], s[16:17], v[6:7]
	s_mov_b32 s23, 0
	global_load_i8 v1, v[12:13], off
	s_wait_xcnt 0x0
	v_lshl_add_u64 v[12:13], v[10:11], 3, s[12:13]
	s_wait_loadcnt 0x0
	v_mul_lo_u32 v1, s20, v1
.LBB164_11:                             ;   Parent Loop BB164_9 Depth=1
                                        ; =>  This Inner Loop Header: Depth=2
	v_add_nc_u64_e32 v[14:15], s[14:15], v[10:11]
	v_add_nc_u64_e32 v[10:11], 64, v[10:11]
	global_load_b64 v[16:17], v[12:13], off
	global_load_i8 v18, v[14:15], off
	s_wait_xcnt 0x1
	v_add_nc_u64_e32 v[12:13], 0x200, v[12:13]
	v_cmp_ge_i64_e32 vcc_lo, v[10:11], v[8:9]
	s_or_b32 s23, vcc_lo, s23
	s_wait_loadcnt 0x1
	s_wait_xcnt 0x0
	v_sub_nc_u64_e64 v[14:15], v[16:17], s[2:3]
	s_wait_loadcnt 0x0
	v_mul_lo_u32 v16, v1, v18
	s_delay_alu instid0(VALU_DEP_2)
	v_lshl_add_u64 v[14:15], v[14:15], 2, s[18:19]
	global_atomic_add_u32 v[14:15], v16, off scope:SCOPE_DEV
	s_wait_xcnt 0x0
	s_and_not1_b32 exec_lo, exec_lo, s23
	s_cbranch_execnz .LBB164_11
	s_branch .LBB164_8
.LBB164_12:
	s_or_b32 exec_lo, exec_lo, s1
	s_mov_b32 s1, 0
.LBB164_13:
	s_delay_alu instid0(SALU_CYCLE_1)
	s_and_not1_b32 vcc_lo, exec_lo, s1
	s_cbranch_vccnz .LBB164_22
; %bb.14:
	s_and_saveexec_b32 s1, s0
	s_cbranch_execz .LBB164_22
; %bb.15:
	v_mov_b32_e32 v1, 0
	s_mov_b32 s3, 0
	s_delay_alu instid0(SALU_CYCLE_1) | instskip(NEXT) | instid1(VALU_DEP_1)
	s_mov_b32 s0, s3
	v_sub_nc_u64_e64 v[0:1], v[0:1], s[2:3]
	s_branch .LBB164_17
.LBB164_16:                             ;   in Loop: Header=BB164_17 Depth=1
	s_or_b32 exec_lo, exec_lo, s1
	v_add_nc_u64_e32 v[2:3], s[6:7], v[2:3]
	s_delay_alu instid0(VALU_DEP_1) | instskip(SKIP_1) | instid1(SALU_CYCLE_1)
	v_cmp_le_i64_e32 vcc_lo, s[4:5], v[2:3]
	s_or_b32 s0, vcc_lo, s0
	s_and_not1_b32 exec_lo, exec_lo, s0
	s_cbranch_execz .LBB164_22
.LBB164_17:                             ; =>This Loop Header: Depth=1
                                        ;     Child Loop BB164_20 Depth 2
	v_lshlrev_b64_e32 v[4:5], 3, v[2:3]
	s_mov_b32 s1, exec_lo
	s_delay_alu instid0(VALU_DEP_1)
	v_add_nc_u64_e32 v[6:7], s[10:11], v[4:5]
	v_add_nc_u64_e32 v[4:5], s[8:9], v[4:5]
	global_load_b64 v[8:9], v[6:7], off
	global_load_b64 v[10:11], v[4:5], off
	s_wait_loadcnt 0x1
	s_wait_xcnt 0x0
	v_sub_nc_u64_e64 v[4:5], v[8:9], s[2:3]
	s_wait_loadcnt 0x0
	v_add_nc_u64_e32 v[6:7], v[10:11], v[0:1]
	s_delay_alu instid0(VALU_DEP_1)
	v_cmpx_lt_i64_e64 v[6:7], v[4:5]
	s_cbranch_execz .LBB164_16
; %bb.18:                               ;   in Loop: Header=BB164_17 Depth=1
	s_wait_kmcnt 0x0
	v_add_nc_u64_e32 v[8:9], s[16:17], v[2:3]
	s_mov_b32 s21, 0
	global_load_i8 v8, v[8:9], off
	s_wait_loadcnt 0x0
	v_mul_lo_u32 v12, s20, v8
	s_wait_xcnt 0x0
	v_lshl_add_u64 v[8:9], v[6:7], 3, s[12:13]
	s_branch .LBB164_20
.LBB164_19:                             ;   in Loop: Header=BB164_20 Depth=2
	s_wait_xcnt 0x0
	s_or_b32 exec_lo, exec_lo, s22
	v_add_nc_u64_e32 v[6:7], 64, v[6:7]
	v_add_nc_u64_e32 v[8:9], 0x200, v[8:9]
	s_delay_alu instid0(VALU_DEP_2) | instskip(SKIP_1) | instid1(SALU_CYCLE_1)
	v_cmp_ge_i64_e32 vcc_lo, v[6:7], v[4:5]
	s_or_b32 s21, vcc_lo, s21
	s_and_not1_b32 exec_lo, exec_lo, s21
	s_cbranch_execz .LBB164_16
.LBB164_20:                             ;   Parent Loop BB164_17 Depth=1
                                        ; =>  This Inner Loop Header: Depth=2
	global_load_b64 v[10:11], v[8:9], off
	s_mov_b32 s22, exec_lo
	s_wait_loadcnt 0x0
	v_sub_nc_u64_e64 v[10:11], v[10:11], s[2:3]
	s_wait_xcnt 0x0
	s_delay_alu instid0(VALU_DEP_1)
	v_cmpx_ne_u64_e64 v[10:11], v[2:3]
	s_cbranch_execz .LBB164_19
; %bb.21:                               ;   in Loop: Header=BB164_20 Depth=2
	v_add_nc_u64_e32 v[14:15], s[14:15], v[6:7]
	v_lshl_add_u64 v[10:11], v[10:11], 2, s[18:19]
	global_load_i8 v13, v[14:15], off
	s_wait_loadcnt 0x0
	v_mul_lo_u32 v13, v12, v13
	s_wait_xcnt 0x0
	global_atomic_add_u32 v[10:11], v13, off scope:SCOPE_DEV
	s_branch .LBB164_19
.LBB164_22:
	s_endpgm
	.section	.rodata,"a",@progbits
	.p2align	6, 0x0
	.amdhsa_kernel _ZN9rocsparseL21csrmvt_general_kernelILj256ELj64EllaaiiEEvbbT2_NS_24const_host_device_scalarIT6_EEPKT1_S7_PKS1_PKT3_PKT4_PT5_21rocsparse_index_base_b
		.amdhsa_group_segment_fixed_size 0
		.amdhsa_private_segment_fixed_size 0
		.amdhsa_kernarg_size 336
		.amdhsa_user_sgpr_count 2
		.amdhsa_user_sgpr_dispatch_ptr 0
		.amdhsa_user_sgpr_queue_ptr 0
		.amdhsa_user_sgpr_kernarg_segment_ptr 1
		.amdhsa_user_sgpr_dispatch_id 0
		.amdhsa_user_sgpr_kernarg_preload_length 0
		.amdhsa_user_sgpr_kernarg_preload_offset 0
		.amdhsa_user_sgpr_private_segment_size 0
		.amdhsa_wavefront_size32 1
		.amdhsa_uses_dynamic_stack 0
		.amdhsa_enable_private_segment 0
		.amdhsa_system_sgpr_workgroup_id_x 1
		.amdhsa_system_sgpr_workgroup_id_y 0
		.amdhsa_system_sgpr_workgroup_id_z 0
		.amdhsa_system_sgpr_workgroup_info 0
		.amdhsa_system_vgpr_workitem_id 0
		.amdhsa_next_free_vgpr 19
		.amdhsa_next_free_sgpr 24
		.amdhsa_named_barrier_count 0
		.amdhsa_reserve_vcc 1
		.amdhsa_float_round_mode_32 0
		.amdhsa_float_round_mode_16_64 0
		.amdhsa_float_denorm_mode_32 3
		.amdhsa_float_denorm_mode_16_64 3
		.amdhsa_fp16_overflow 0
		.amdhsa_memory_ordered 1
		.amdhsa_forward_progress 1
		.amdhsa_inst_pref_size 7
		.amdhsa_round_robin_scheduling 0
		.amdhsa_exception_fp_ieee_invalid_op 0
		.amdhsa_exception_fp_denorm_src 0
		.amdhsa_exception_fp_ieee_div_zero 0
		.amdhsa_exception_fp_ieee_overflow 0
		.amdhsa_exception_fp_ieee_underflow 0
		.amdhsa_exception_fp_ieee_inexact 0
		.amdhsa_exception_int_div_zero 0
	.end_amdhsa_kernel
	.section	.text._ZN9rocsparseL21csrmvt_general_kernelILj256ELj64EllaaiiEEvbbT2_NS_24const_host_device_scalarIT6_EEPKT1_S7_PKS1_PKT3_PKT4_PT5_21rocsparse_index_base_b,"axG",@progbits,_ZN9rocsparseL21csrmvt_general_kernelILj256ELj64EllaaiiEEvbbT2_NS_24const_host_device_scalarIT6_EEPKT1_S7_PKS1_PKT3_PKT4_PT5_21rocsparse_index_base_b,comdat
.Lfunc_end164:
	.size	_ZN9rocsparseL21csrmvt_general_kernelILj256ELj64EllaaiiEEvbbT2_NS_24const_host_device_scalarIT6_EEPKT1_S7_PKS1_PKT3_PKT4_PT5_21rocsparse_index_base_b, .Lfunc_end164-_ZN9rocsparseL21csrmvt_general_kernelILj256ELj64EllaaiiEEvbbT2_NS_24const_host_device_scalarIT6_EEPKT1_S7_PKS1_PKT3_PKT4_PT5_21rocsparse_index_base_b
                                        ; -- End function
	.set _ZN9rocsparseL21csrmvt_general_kernelILj256ELj64EllaaiiEEvbbT2_NS_24const_host_device_scalarIT6_EEPKT1_S7_PKS1_PKT3_PKT4_PT5_21rocsparse_index_base_b.num_vgpr, 19
	.set _ZN9rocsparseL21csrmvt_general_kernelILj256ELj64EllaaiiEEvbbT2_NS_24const_host_device_scalarIT6_EEPKT1_S7_PKS1_PKT3_PKT4_PT5_21rocsparse_index_base_b.num_agpr, 0
	.set _ZN9rocsparseL21csrmvt_general_kernelILj256ELj64EllaaiiEEvbbT2_NS_24const_host_device_scalarIT6_EEPKT1_S7_PKS1_PKT3_PKT4_PT5_21rocsparse_index_base_b.numbered_sgpr, 24
	.set _ZN9rocsparseL21csrmvt_general_kernelILj256ELj64EllaaiiEEvbbT2_NS_24const_host_device_scalarIT6_EEPKT1_S7_PKS1_PKT3_PKT4_PT5_21rocsparse_index_base_b.num_named_barrier, 0
	.set _ZN9rocsparseL21csrmvt_general_kernelILj256ELj64EllaaiiEEvbbT2_NS_24const_host_device_scalarIT6_EEPKT1_S7_PKS1_PKT3_PKT4_PT5_21rocsparse_index_base_b.private_seg_size, 0
	.set _ZN9rocsparseL21csrmvt_general_kernelILj256ELj64EllaaiiEEvbbT2_NS_24const_host_device_scalarIT6_EEPKT1_S7_PKS1_PKT3_PKT4_PT5_21rocsparse_index_base_b.uses_vcc, 1
	.set _ZN9rocsparseL21csrmvt_general_kernelILj256ELj64EllaaiiEEvbbT2_NS_24const_host_device_scalarIT6_EEPKT1_S7_PKS1_PKT3_PKT4_PT5_21rocsparse_index_base_b.uses_flat_scratch, 0
	.set _ZN9rocsparseL21csrmvt_general_kernelILj256ELj64EllaaiiEEvbbT2_NS_24const_host_device_scalarIT6_EEPKT1_S7_PKS1_PKT3_PKT4_PT5_21rocsparse_index_base_b.has_dyn_sized_stack, 0
	.set _ZN9rocsparseL21csrmvt_general_kernelILj256ELj64EllaaiiEEvbbT2_NS_24const_host_device_scalarIT6_EEPKT1_S7_PKS1_PKT3_PKT4_PT5_21rocsparse_index_base_b.has_recursion, 0
	.set _ZN9rocsparseL21csrmvt_general_kernelILj256ELj64EllaaiiEEvbbT2_NS_24const_host_device_scalarIT6_EEPKT1_S7_PKS1_PKT3_PKT4_PT5_21rocsparse_index_base_b.has_indirect_call, 0
	.section	.AMDGPU.csdata,"",@progbits
; Kernel info:
; codeLenInByte = 892
; TotalNumSgprs: 26
; NumVgprs: 19
; ScratchSize: 0
; MemoryBound: 0
; FloatMode: 240
; IeeeMode: 1
; LDSByteSize: 0 bytes/workgroup (compile time only)
; SGPRBlocks: 0
; VGPRBlocks: 1
; NumSGPRsForWavesPerEU: 26
; NumVGPRsForWavesPerEU: 19
; NamedBarCnt: 0
; Occupancy: 16
; WaveLimiterHint : 1
; COMPUTE_PGM_RSRC2:SCRATCH_EN: 0
; COMPUTE_PGM_RSRC2:USER_SGPR: 2
; COMPUTE_PGM_RSRC2:TRAP_HANDLER: 0
; COMPUTE_PGM_RSRC2:TGID_X_EN: 1
; COMPUTE_PGM_RSRC2:TGID_Y_EN: 0
; COMPUTE_PGM_RSRC2:TGID_Z_EN: 0
; COMPUTE_PGM_RSRC2:TIDIG_COMP_CNT: 0
	.section	.text._ZN9rocsparseL21csrmvn_general_kernelILj256ELj2EiiaaffEEvbT2_NS_24const_host_device_scalarIT6_EEPKT1_S7_PKS1_PKT3_PKT4_S4_PT5_21rocsparse_index_base_b,"axG",@progbits,_ZN9rocsparseL21csrmvn_general_kernelILj256ELj2EiiaaffEEvbT2_NS_24const_host_device_scalarIT6_EEPKT1_S7_PKS1_PKT3_PKT4_S4_PT5_21rocsparse_index_base_b,comdat
	.globl	_ZN9rocsparseL21csrmvn_general_kernelILj256ELj2EiiaaffEEvbT2_NS_24const_host_device_scalarIT6_EEPKT1_S7_PKS1_PKT3_PKT4_S4_PT5_21rocsparse_index_base_b ; -- Begin function _ZN9rocsparseL21csrmvn_general_kernelILj256ELj2EiiaaffEEvbT2_NS_24const_host_device_scalarIT6_EEPKT1_S7_PKS1_PKT3_PKT4_S4_PT5_21rocsparse_index_base_b
	.p2align	8
	.type	_ZN9rocsparseL21csrmvn_general_kernelILj256ELj2EiiaaffEEvbT2_NS_24const_host_device_scalarIT6_EEPKT1_S7_PKS1_PKT3_PKT4_S4_PT5_21rocsparse_index_base_b,@function
_ZN9rocsparseL21csrmvn_general_kernelILj256ELj2EiiaaffEEvbT2_NS_24const_host_device_scalarIT6_EEPKT1_S7_PKS1_PKT3_PKT4_S4_PT5_21rocsparse_index_base_b: ; @_ZN9rocsparseL21csrmvn_general_kernelILj256ELj2EiiaaffEEvbT2_NS_24const_host_device_scalarIT6_EEPKT1_S7_PKS1_PKT3_PKT4_S4_PT5_21rocsparse_index_base_b
; %bb.0:
	s_clause 0x2
	s_load_b64 s[2:3], s[0:1], 0x48
	s_load_b128 s[12:15], s[0:1], 0x8
	s_load_b64 s[16:17], s[0:1], 0x38
	s_wait_kmcnt 0x0
	s_bitcmp1_b32 s3, 0
	s_cselect_b32 s3, -1, 0
	s_delay_alu instid0(SALU_CYCLE_1)
	s_and_b32 vcc_lo, exec_lo, s3
	s_xor_b32 s3, s3, -1
	s_cbranch_vccnz .LBB165_2
; %bb.1:
	s_load_b32 s12, s[12:13], 0x0
.LBB165_2:
	s_and_not1_b32 vcc_lo, exec_lo, s3
	s_cbranch_vccnz .LBB165_4
; %bb.3:
	s_load_b32 s16, s[16:17], 0x0
.LBB165_4:
	s_wait_kmcnt 0x0
	s_cmp_neq_f32 s12, 0
	s_cselect_b32 s3, -1, 0
	s_cmp_neq_f32 s16, 1.0
	s_cselect_b32 s4, -1, 0
	s_delay_alu instid0(SALU_CYCLE_1) | instskip(NEXT) | instid1(SALU_CYCLE_1)
	s_or_b32 s3, s3, s4
	s_and_not1_b32 vcc_lo, exec_lo, s3
	s_cbranch_vccnz .LBB165_16
; %bb.5:
	s_bfe_u32 s3, ttmp6, 0x4000c
	s_load_b32 s13, s[0:1], 0x4
	s_add_co_i32 s3, s3, 1
	s_and_b32 s4, ttmp6, 15
	s_mul_i32 s3, ttmp9, s3
	s_getreg_b32 s5, hwreg(HW_REG_IB_STS2, 6, 4)
	s_add_co_i32 s4, s4, s3
	s_cmp_eq_u32 s5, 0
	s_cselect_b32 s3, ttmp9, s4
	s_delay_alu instid0(SALU_CYCLE_1) | instskip(SKIP_1) | instid1(VALU_DEP_1)
	v_lshl_or_b32 v1, s3, 8, v0
	s_mov_b32 s3, exec_lo
	v_lshrrev_b32_e32 v2, 1, v1
	s_wait_kmcnt 0x0
	s_delay_alu instid0(VALU_DEP_1)
	v_cmpx_gt_i32_e64 s13, v2
	s_cbranch_execz .LBB165_16
; %bb.6:
	s_clause 0x1
	s_load_b32 s17, s[0:1], 0x50
	s_load_b256 s[4:11], s[0:1], 0x18
	v_mbcnt_lo_u32_b32 v1, -1, 0
	s_load_b64 s[18:19], s[0:1], 0x40
	s_ashr_i32 s3, s2, 31
	s_delay_alu instid0(SALU_CYCLE_1) | instskip(NEXT) | instid1(VALU_DEP_1)
	s_sub_nc_u64 s[20:21], 0, s[2:3]
	v_xor_b32_e32 v3, 1, v1
	s_delay_alu instid0(VALU_DEP_1) | instskip(SKIP_1) | instid1(VALU_DEP_1)
	v_cmp_gt_i32_e32 vcc_lo, 32, v3
	v_dual_cndmask_b32 v1, v1, v3, vcc_lo :: v_dual_bitop2_b32 v0, 1, v0 bitop3:0x40
	v_subrev_nc_u32_e32 v4, s2, v0
	s_wait_xcnt 0x0
	v_cmp_eq_u32_e64 s0, 1, v0
	s_wait_kmcnt 0x0
	s_lshl_b32 s1, s17, 7
	s_cmp_neq_f32 s16, 0
	v_lshlrev_b32_e32 v5, 2, v1
	s_add_nc_u64 s[10:11], s[10:11], s[20:21]
	s_mov_b32 s17, 0
	s_cselect_b32 s3, -1, 0
	s_branch .LBB165_9
.LBB165_7:                              ;   in Loop: Header=BB165_9 Depth=1
	global_store_b32 v[0:1], v6, off
.LBB165_8:                              ;   in Loop: Header=BB165_9 Depth=1
	s_wait_xcnt 0x0
	s_or_b32 exec_lo, exec_lo, s20
	v_add_nc_u32_e32 v2, s1, v2
	s_delay_alu instid0(VALU_DEP_1) | instskip(SKIP_1) | instid1(SALU_CYCLE_1)
	v_cmp_le_i32_e32 vcc_lo, s13, v2
	s_or_b32 s17, vcc_lo, s17
	s_and_not1_b32 exec_lo, exec_lo, s17
	s_cbranch_execz .LBB165_16
.LBB165_9:                              ; =>This Loop Header: Depth=1
                                        ;     Child Loop BB165_11 Depth 2
	s_clause 0x1
	global_load_b32 v0, v2, s[4:5] scale_offset
	global_load_b32 v3, v2, s[14:15] scale_offset
	s_mov_b32 s20, exec_lo
	s_wait_loadcnt_dscnt 0x100
	v_subrev_nc_u32_e32 v1, s2, v0
	s_wait_loadcnt 0x0
	v_dual_mov_b32 v0, 0 :: v_dual_add_nc_u32 v3, v3, v4
	s_wait_xcnt 0x0
	s_delay_alu instid0(VALU_DEP_1)
	v_cmpx_lt_i32_e64 v3, v1
	s_cbranch_execz .LBB165_13
; %bb.10:                               ;   in Loop: Header=BB165_9 Depth=1
	v_mov_b32_e32 v0, 0
	s_mov_b32 s21, 0
.LBB165_11:                             ;   Parent Loop BB165_9 Depth=1
                                        ; =>  This Inner Loop Header: Depth=2
	s_clause 0x1
	global_load_b32 v6, v3, s[6:7] scale_offset
	global_load_i8 v7, v3, s[8:9]
	s_wait_loadcnt 0x1
	global_load_i8 v6, v6, s[10:11]
	s_wait_loadcnt 0x1
	v_cvt_f32_i32_e32 v7, v7
	s_delay_alu instid0(VALU_DEP_1) | instskip(SKIP_3) | instid1(VALU_DEP_1)
	v_mul_f32_e32 v7, s12, v7
	s_wait_loadcnt 0x0
	s_wait_xcnt 0x0
	v_cvt_f32_i32_e32 v6, v6
	v_dual_fmac_f32 v0, v7, v6 :: v_dual_add_nc_u32 v3, 2, v3
	s_delay_alu instid0(VALU_DEP_1) | instskip(SKIP_1) | instid1(SALU_CYCLE_1)
	v_cmp_ge_i32_e32 vcc_lo, v3, v1
	s_or_b32 s21, vcc_lo, s21
	s_and_not1_b32 exec_lo, exec_lo, s21
	s_cbranch_execnz .LBB165_11
; %bb.12:                               ;   in Loop: Header=BB165_9 Depth=1
	s_or_b32 exec_lo, exec_lo, s21
.LBB165_13:                             ;   in Loop: Header=BB165_9 Depth=1
	s_delay_alu instid0(SALU_CYCLE_1)
	s_or_b32 exec_lo, exec_lo, s20
	ds_bpermute_b32 v1, v5, v0
	v_ashrrev_i32_e32 v3, 31, v2
	s_and_saveexec_b32 s20, s0
	s_cbranch_execz .LBB165_8
; %bb.14:                               ;   in Loop: Header=BB165_9 Depth=1
	s_wait_dscnt 0x0
	v_add_f32_e32 v6, v0, v1
	v_lshl_add_u64 v[0:1], v[2:3], 2, s[18:19]
	s_and_not1_b32 vcc_lo, exec_lo, s3
	s_cbranch_vccnz .LBB165_7
; %bb.15:                               ;   in Loop: Header=BB165_9 Depth=1
	global_load_b32 v3, v[0:1], off
	s_wait_loadcnt 0x0
	v_fmac_f32_e32 v6, s16, v3
	s_branch .LBB165_7
.LBB165_16:
	s_endpgm
	.section	.rodata,"a",@progbits
	.p2align	6, 0x0
	.amdhsa_kernel _ZN9rocsparseL21csrmvn_general_kernelILj256ELj2EiiaaffEEvbT2_NS_24const_host_device_scalarIT6_EEPKT1_S7_PKS1_PKT3_PKT4_S4_PT5_21rocsparse_index_base_b
		.amdhsa_group_segment_fixed_size 0
		.amdhsa_private_segment_fixed_size 0
		.amdhsa_kernarg_size 336
		.amdhsa_user_sgpr_count 2
		.amdhsa_user_sgpr_dispatch_ptr 0
		.amdhsa_user_sgpr_queue_ptr 0
		.amdhsa_user_sgpr_kernarg_segment_ptr 1
		.amdhsa_user_sgpr_dispatch_id 0
		.amdhsa_user_sgpr_kernarg_preload_length 0
		.amdhsa_user_sgpr_kernarg_preload_offset 0
		.amdhsa_user_sgpr_private_segment_size 0
		.amdhsa_wavefront_size32 1
		.amdhsa_uses_dynamic_stack 0
		.amdhsa_enable_private_segment 0
		.amdhsa_system_sgpr_workgroup_id_x 1
		.amdhsa_system_sgpr_workgroup_id_y 0
		.amdhsa_system_sgpr_workgroup_id_z 0
		.amdhsa_system_sgpr_workgroup_info 0
		.amdhsa_system_vgpr_workitem_id 0
		.amdhsa_next_free_vgpr 8
		.amdhsa_next_free_sgpr 22
		.amdhsa_named_barrier_count 0
		.amdhsa_reserve_vcc 1
		.amdhsa_float_round_mode_32 0
		.amdhsa_float_round_mode_16_64 0
		.amdhsa_float_denorm_mode_32 3
		.amdhsa_float_denorm_mode_16_64 3
		.amdhsa_fp16_overflow 0
		.amdhsa_memory_ordered 1
		.amdhsa_forward_progress 1
		.amdhsa_inst_pref_size 5
		.amdhsa_round_robin_scheduling 0
		.amdhsa_exception_fp_ieee_invalid_op 0
		.amdhsa_exception_fp_denorm_src 0
		.amdhsa_exception_fp_ieee_div_zero 0
		.amdhsa_exception_fp_ieee_overflow 0
		.amdhsa_exception_fp_ieee_underflow 0
		.amdhsa_exception_fp_ieee_inexact 0
		.amdhsa_exception_int_div_zero 0
	.end_amdhsa_kernel
	.section	.text._ZN9rocsparseL21csrmvn_general_kernelILj256ELj2EiiaaffEEvbT2_NS_24const_host_device_scalarIT6_EEPKT1_S7_PKS1_PKT3_PKT4_S4_PT5_21rocsparse_index_base_b,"axG",@progbits,_ZN9rocsparseL21csrmvn_general_kernelILj256ELj2EiiaaffEEvbT2_NS_24const_host_device_scalarIT6_EEPKT1_S7_PKS1_PKT3_PKT4_S4_PT5_21rocsparse_index_base_b,comdat
.Lfunc_end165:
	.size	_ZN9rocsparseL21csrmvn_general_kernelILj256ELj2EiiaaffEEvbT2_NS_24const_host_device_scalarIT6_EEPKT1_S7_PKS1_PKT3_PKT4_S4_PT5_21rocsparse_index_base_b, .Lfunc_end165-_ZN9rocsparseL21csrmvn_general_kernelILj256ELj2EiiaaffEEvbT2_NS_24const_host_device_scalarIT6_EEPKT1_S7_PKS1_PKT3_PKT4_S4_PT5_21rocsparse_index_base_b
                                        ; -- End function
	.set _ZN9rocsparseL21csrmvn_general_kernelILj256ELj2EiiaaffEEvbT2_NS_24const_host_device_scalarIT6_EEPKT1_S7_PKS1_PKT3_PKT4_S4_PT5_21rocsparse_index_base_b.num_vgpr, 8
	.set _ZN9rocsparseL21csrmvn_general_kernelILj256ELj2EiiaaffEEvbT2_NS_24const_host_device_scalarIT6_EEPKT1_S7_PKS1_PKT3_PKT4_S4_PT5_21rocsparse_index_base_b.num_agpr, 0
	.set _ZN9rocsparseL21csrmvn_general_kernelILj256ELj2EiiaaffEEvbT2_NS_24const_host_device_scalarIT6_EEPKT1_S7_PKS1_PKT3_PKT4_S4_PT5_21rocsparse_index_base_b.numbered_sgpr, 22
	.set _ZN9rocsparseL21csrmvn_general_kernelILj256ELj2EiiaaffEEvbT2_NS_24const_host_device_scalarIT6_EEPKT1_S7_PKS1_PKT3_PKT4_S4_PT5_21rocsparse_index_base_b.num_named_barrier, 0
	.set _ZN9rocsparseL21csrmvn_general_kernelILj256ELj2EiiaaffEEvbT2_NS_24const_host_device_scalarIT6_EEPKT1_S7_PKS1_PKT3_PKT4_S4_PT5_21rocsparse_index_base_b.private_seg_size, 0
	.set _ZN9rocsparseL21csrmvn_general_kernelILj256ELj2EiiaaffEEvbT2_NS_24const_host_device_scalarIT6_EEPKT1_S7_PKS1_PKT3_PKT4_S4_PT5_21rocsparse_index_base_b.uses_vcc, 1
	.set _ZN9rocsparseL21csrmvn_general_kernelILj256ELj2EiiaaffEEvbT2_NS_24const_host_device_scalarIT6_EEPKT1_S7_PKS1_PKT3_PKT4_S4_PT5_21rocsparse_index_base_b.uses_flat_scratch, 0
	.set _ZN9rocsparseL21csrmvn_general_kernelILj256ELj2EiiaaffEEvbT2_NS_24const_host_device_scalarIT6_EEPKT1_S7_PKS1_PKT3_PKT4_S4_PT5_21rocsparse_index_base_b.has_dyn_sized_stack, 0
	.set _ZN9rocsparseL21csrmvn_general_kernelILj256ELj2EiiaaffEEvbT2_NS_24const_host_device_scalarIT6_EEPKT1_S7_PKS1_PKT3_PKT4_S4_PT5_21rocsparse_index_base_b.has_recursion, 0
	.set _ZN9rocsparseL21csrmvn_general_kernelILj256ELj2EiiaaffEEvbT2_NS_24const_host_device_scalarIT6_EEPKT1_S7_PKS1_PKT3_PKT4_S4_PT5_21rocsparse_index_base_b.has_indirect_call, 0
	.section	.AMDGPU.csdata,"",@progbits
; Kernel info:
; codeLenInByte = 628
; TotalNumSgprs: 24
; NumVgprs: 8
; ScratchSize: 0
; MemoryBound: 0
; FloatMode: 240
; IeeeMode: 1
; LDSByteSize: 0 bytes/workgroup (compile time only)
; SGPRBlocks: 0
; VGPRBlocks: 0
; NumSGPRsForWavesPerEU: 24
; NumVGPRsForWavesPerEU: 8
; NamedBarCnt: 0
; Occupancy: 16
; WaveLimiterHint : 1
; COMPUTE_PGM_RSRC2:SCRATCH_EN: 0
; COMPUTE_PGM_RSRC2:USER_SGPR: 2
; COMPUTE_PGM_RSRC2:TRAP_HANDLER: 0
; COMPUTE_PGM_RSRC2:TGID_X_EN: 1
; COMPUTE_PGM_RSRC2:TGID_Y_EN: 0
; COMPUTE_PGM_RSRC2:TGID_Z_EN: 0
; COMPUTE_PGM_RSRC2:TIDIG_COMP_CNT: 0
	.section	.text._ZN9rocsparseL21csrmvn_general_kernelILj256ELj4EiiaaffEEvbT2_NS_24const_host_device_scalarIT6_EEPKT1_S7_PKS1_PKT3_PKT4_S4_PT5_21rocsparse_index_base_b,"axG",@progbits,_ZN9rocsparseL21csrmvn_general_kernelILj256ELj4EiiaaffEEvbT2_NS_24const_host_device_scalarIT6_EEPKT1_S7_PKS1_PKT3_PKT4_S4_PT5_21rocsparse_index_base_b,comdat
	.globl	_ZN9rocsparseL21csrmvn_general_kernelILj256ELj4EiiaaffEEvbT2_NS_24const_host_device_scalarIT6_EEPKT1_S7_PKS1_PKT3_PKT4_S4_PT5_21rocsparse_index_base_b ; -- Begin function _ZN9rocsparseL21csrmvn_general_kernelILj256ELj4EiiaaffEEvbT2_NS_24const_host_device_scalarIT6_EEPKT1_S7_PKS1_PKT3_PKT4_S4_PT5_21rocsparse_index_base_b
	.p2align	8
	.type	_ZN9rocsparseL21csrmvn_general_kernelILj256ELj4EiiaaffEEvbT2_NS_24const_host_device_scalarIT6_EEPKT1_S7_PKS1_PKT3_PKT4_S4_PT5_21rocsparse_index_base_b,@function
_ZN9rocsparseL21csrmvn_general_kernelILj256ELj4EiiaaffEEvbT2_NS_24const_host_device_scalarIT6_EEPKT1_S7_PKS1_PKT3_PKT4_S4_PT5_21rocsparse_index_base_b: ; @_ZN9rocsparseL21csrmvn_general_kernelILj256ELj4EiiaaffEEvbT2_NS_24const_host_device_scalarIT6_EEPKT1_S7_PKS1_PKT3_PKT4_S4_PT5_21rocsparse_index_base_b
; %bb.0:
	s_clause 0x2
	s_load_b64 s[2:3], s[0:1], 0x48
	s_load_b128 s[12:15], s[0:1], 0x8
	s_load_b64 s[16:17], s[0:1], 0x38
	s_wait_kmcnt 0x0
	s_bitcmp1_b32 s3, 0
	s_cselect_b32 s3, -1, 0
	s_delay_alu instid0(SALU_CYCLE_1)
	s_and_b32 vcc_lo, exec_lo, s3
	s_xor_b32 s3, s3, -1
	s_cbranch_vccnz .LBB166_2
; %bb.1:
	s_load_b32 s12, s[12:13], 0x0
.LBB166_2:
	s_and_not1_b32 vcc_lo, exec_lo, s3
	s_cbranch_vccnz .LBB166_4
; %bb.3:
	s_load_b32 s16, s[16:17], 0x0
.LBB166_4:
	s_wait_kmcnt 0x0
	s_cmp_neq_f32 s12, 0
	s_cselect_b32 s3, -1, 0
	s_cmp_neq_f32 s16, 1.0
	s_cselect_b32 s4, -1, 0
	s_delay_alu instid0(SALU_CYCLE_1) | instskip(NEXT) | instid1(SALU_CYCLE_1)
	s_or_b32 s3, s3, s4
	s_and_not1_b32 vcc_lo, exec_lo, s3
	s_cbranch_vccnz .LBB166_16
; %bb.5:
	s_bfe_u32 s3, ttmp6, 0x4000c
	s_load_b32 s13, s[0:1], 0x4
	s_add_co_i32 s3, s3, 1
	s_and_b32 s4, ttmp6, 15
	s_mul_i32 s3, ttmp9, s3
	s_getreg_b32 s5, hwreg(HW_REG_IB_STS2, 6, 4)
	s_add_co_i32 s4, s4, s3
	s_cmp_eq_u32 s5, 0
	s_cselect_b32 s3, ttmp9, s4
	s_delay_alu instid0(SALU_CYCLE_1) | instskip(SKIP_1) | instid1(VALU_DEP_1)
	v_lshl_or_b32 v1, s3, 8, v0
	s_mov_b32 s3, exec_lo
	v_lshrrev_b32_e32 v2, 2, v1
	s_wait_kmcnt 0x0
	s_delay_alu instid0(VALU_DEP_1)
	v_cmpx_gt_i32_e64 s13, v2
	s_cbranch_execz .LBB166_16
; %bb.6:
	v_mbcnt_lo_u32_b32 v1, -1, 0
	s_clause 0x2
	s_load_b32 s17, s[0:1], 0x50
	s_load_b256 s[4:11], s[0:1], 0x18
	s_load_b64 s[18:19], s[0:1], 0x40
	s_ashr_i32 s3, s2, 31
	s_delay_alu instid0(SALU_CYCLE_1) | instskip(SKIP_2) | instid1(VALU_DEP_2)
	s_sub_nc_u64 s[20:21], 0, s[2:3]
	v_xor_b32_e32 v3, 2, v1
	v_xor_b32_e32 v5, 1, v1
	v_cmp_gt_i32_e32 vcc_lo, 32, v3
	v_dual_cndmask_b32 v3, v1, v3, vcc_lo :: v_dual_bitop2_b32 v0, 3, v0 bitop3:0x40
	s_delay_alu instid0(VALU_DEP_3) | instskip(NEXT) | instid1(VALU_DEP_2)
	v_cmp_gt_i32_e32 vcc_lo, 32, v5
	v_subrev_nc_u32_e32 v4, s2, v0
	s_wait_xcnt 0x0
	v_cmp_eq_u32_e64 s0, 3, v0
	s_wait_kmcnt 0x0
	s_lshl_b32 s1, s17, 6
	v_dual_cndmask_b32 v1, v1, v5, vcc_lo :: v_dual_lshlrev_b32 v5, 2, v3
	s_cmp_neq_f32 s16, 0
	s_add_nc_u64 s[10:11], s[10:11], s[20:21]
	s_mov_b32 s17, 0
	s_delay_alu instid0(VALU_DEP_1)
	v_lshlrev_b32_e32 v6, 2, v1
	s_cselect_b32 s3, -1, 0
	s_branch .LBB166_9
.LBB166_7:                              ;   in Loop: Header=BB166_9 Depth=1
	global_store_b32 v[0:1], v7, off
.LBB166_8:                              ;   in Loop: Header=BB166_9 Depth=1
	s_wait_xcnt 0x0
	s_or_b32 exec_lo, exec_lo, s20
	v_add_nc_u32_e32 v2, s1, v2
	s_delay_alu instid0(VALU_DEP_1) | instskip(SKIP_1) | instid1(SALU_CYCLE_1)
	v_cmp_le_i32_e32 vcc_lo, s13, v2
	s_or_b32 s17, vcc_lo, s17
	s_and_not1_b32 exec_lo, exec_lo, s17
	s_cbranch_execz .LBB166_16
.LBB166_9:                              ; =>This Loop Header: Depth=1
                                        ;     Child Loop BB166_11 Depth 2
	s_clause 0x1
	global_load_b32 v0, v2, s[4:5] scale_offset
	global_load_b32 v3, v2, s[14:15] scale_offset
	s_mov_b32 s20, exec_lo
	s_wait_loadcnt_dscnt 0x100
	v_subrev_nc_u32_e32 v1, s2, v0
	s_wait_loadcnt 0x0
	v_dual_mov_b32 v0, 0 :: v_dual_add_nc_u32 v3, v3, v4
	s_wait_xcnt 0x0
	s_delay_alu instid0(VALU_DEP_1)
	v_cmpx_lt_i32_e64 v3, v1
	s_cbranch_execz .LBB166_13
; %bb.10:                               ;   in Loop: Header=BB166_9 Depth=1
	v_mov_b32_e32 v0, 0
	s_mov_b32 s21, 0
.LBB166_11:                             ;   Parent Loop BB166_9 Depth=1
                                        ; =>  This Inner Loop Header: Depth=2
	s_clause 0x1
	global_load_b32 v7, v3, s[6:7] scale_offset
	global_load_i8 v8, v3, s[8:9]
	s_wait_loadcnt 0x1
	global_load_i8 v7, v7, s[10:11]
	s_wait_loadcnt 0x1
	v_cvt_f32_i32_e32 v8, v8
	s_wait_xcnt 0x1
	s_delay_alu instid0(VALU_DEP_1) | instskip(NEXT) | instid1(VALU_DEP_1)
	v_dual_mul_f32 v8, s12, v8 :: v_dual_add_nc_u32 v3, 4, v3
	v_cmp_ge_i32_e32 vcc_lo, v3, v1
	s_or_b32 s21, vcc_lo, s21
	s_wait_loadcnt 0x0
	s_wait_xcnt 0x0
	v_cvt_f32_i32_e32 v7, v7
	s_delay_alu instid0(VALU_DEP_1)
	v_fmac_f32_e32 v0, v8, v7
	s_and_not1_b32 exec_lo, exec_lo, s21
	s_cbranch_execnz .LBB166_11
; %bb.12:                               ;   in Loop: Header=BB166_9 Depth=1
	s_or_b32 exec_lo, exec_lo, s21
.LBB166_13:                             ;   in Loop: Header=BB166_9 Depth=1
	s_delay_alu instid0(SALU_CYCLE_1)
	s_or_b32 exec_lo, exec_lo, s20
	ds_bpermute_b32 v1, v5, v0
	s_wait_dscnt 0x0
	v_dual_add_f32 v0, v0, v1 :: v_dual_ashrrev_i32 v3, 31, v2
	ds_bpermute_b32 v1, v6, v0
	s_and_saveexec_b32 s20, s0
	s_cbranch_execz .LBB166_8
; %bb.14:                               ;   in Loop: Header=BB166_9 Depth=1
	s_wait_dscnt 0x0
	v_add_f32_e32 v7, v0, v1
	v_lshl_add_u64 v[0:1], v[2:3], 2, s[18:19]
	s_and_not1_b32 vcc_lo, exec_lo, s3
	s_cbranch_vccnz .LBB166_7
; %bb.15:                               ;   in Loop: Header=BB166_9 Depth=1
	global_load_b32 v3, v[0:1], off
	s_wait_loadcnt 0x0
	v_fmac_f32_e32 v7, s16, v3
	s_branch .LBB166_7
.LBB166_16:
	s_endpgm
	.section	.rodata,"a",@progbits
	.p2align	6, 0x0
	.amdhsa_kernel _ZN9rocsparseL21csrmvn_general_kernelILj256ELj4EiiaaffEEvbT2_NS_24const_host_device_scalarIT6_EEPKT1_S7_PKS1_PKT3_PKT4_S4_PT5_21rocsparse_index_base_b
		.amdhsa_group_segment_fixed_size 0
		.amdhsa_private_segment_fixed_size 0
		.amdhsa_kernarg_size 336
		.amdhsa_user_sgpr_count 2
		.amdhsa_user_sgpr_dispatch_ptr 0
		.amdhsa_user_sgpr_queue_ptr 0
		.amdhsa_user_sgpr_kernarg_segment_ptr 1
		.amdhsa_user_sgpr_dispatch_id 0
		.amdhsa_user_sgpr_kernarg_preload_length 0
		.amdhsa_user_sgpr_kernarg_preload_offset 0
		.amdhsa_user_sgpr_private_segment_size 0
		.amdhsa_wavefront_size32 1
		.amdhsa_uses_dynamic_stack 0
		.amdhsa_enable_private_segment 0
		.amdhsa_system_sgpr_workgroup_id_x 1
		.amdhsa_system_sgpr_workgroup_id_y 0
		.amdhsa_system_sgpr_workgroup_id_z 0
		.amdhsa_system_sgpr_workgroup_info 0
		.amdhsa_system_vgpr_workitem_id 0
		.amdhsa_next_free_vgpr 9
		.amdhsa_next_free_sgpr 22
		.amdhsa_named_barrier_count 0
		.amdhsa_reserve_vcc 1
		.amdhsa_float_round_mode_32 0
		.amdhsa_float_round_mode_16_64 0
		.amdhsa_float_denorm_mode_32 3
		.amdhsa_float_denorm_mode_16_64 3
		.amdhsa_fp16_overflow 0
		.amdhsa_memory_ordered 1
		.amdhsa_forward_progress 1
		.amdhsa_inst_pref_size 6
		.amdhsa_round_robin_scheduling 0
		.amdhsa_exception_fp_ieee_invalid_op 0
		.amdhsa_exception_fp_denorm_src 0
		.amdhsa_exception_fp_ieee_div_zero 0
		.amdhsa_exception_fp_ieee_overflow 0
		.amdhsa_exception_fp_ieee_underflow 0
		.amdhsa_exception_fp_ieee_inexact 0
		.amdhsa_exception_int_div_zero 0
	.end_amdhsa_kernel
	.section	.text._ZN9rocsparseL21csrmvn_general_kernelILj256ELj4EiiaaffEEvbT2_NS_24const_host_device_scalarIT6_EEPKT1_S7_PKS1_PKT3_PKT4_S4_PT5_21rocsparse_index_base_b,"axG",@progbits,_ZN9rocsparseL21csrmvn_general_kernelILj256ELj4EiiaaffEEvbT2_NS_24const_host_device_scalarIT6_EEPKT1_S7_PKS1_PKT3_PKT4_S4_PT5_21rocsparse_index_base_b,comdat
.Lfunc_end166:
	.size	_ZN9rocsparseL21csrmvn_general_kernelILj256ELj4EiiaaffEEvbT2_NS_24const_host_device_scalarIT6_EEPKT1_S7_PKS1_PKT3_PKT4_S4_PT5_21rocsparse_index_base_b, .Lfunc_end166-_ZN9rocsparseL21csrmvn_general_kernelILj256ELj4EiiaaffEEvbT2_NS_24const_host_device_scalarIT6_EEPKT1_S7_PKS1_PKT3_PKT4_S4_PT5_21rocsparse_index_base_b
                                        ; -- End function
	.set _ZN9rocsparseL21csrmvn_general_kernelILj256ELj4EiiaaffEEvbT2_NS_24const_host_device_scalarIT6_EEPKT1_S7_PKS1_PKT3_PKT4_S4_PT5_21rocsparse_index_base_b.num_vgpr, 9
	.set _ZN9rocsparseL21csrmvn_general_kernelILj256ELj4EiiaaffEEvbT2_NS_24const_host_device_scalarIT6_EEPKT1_S7_PKS1_PKT3_PKT4_S4_PT5_21rocsparse_index_base_b.num_agpr, 0
	.set _ZN9rocsparseL21csrmvn_general_kernelILj256ELj4EiiaaffEEvbT2_NS_24const_host_device_scalarIT6_EEPKT1_S7_PKS1_PKT3_PKT4_S4_PT5_21rocsparse_index_base_b.numbered_sgpr, 22
	.set _ZN9rocsparseL21csrmvn_general_kernelILj256ELj4EiiaaffEEvbT2_NS_24const_host_device_scalarIT6_EEPKT1_S7_PKS1_PKT3_PKT4_S4_PT5_21rocsparse_index_base_b.num_named_barrier, 0
	.set _ZN9rocsparseL21csrmvn_general_kernelILj256ELj4EiiaaffEEvbT2_NS_24const_host_device_scalarIT6_EEPKT1_S7_PKS1_PKT3_PKT4_S4_PT5_21rocsparse_index_base_b.private_seg_size, 0
	.set _ZN9rocsparseL21csrmvn_general_kernelILj256ELj4EiiaaffEEvbT2_NS_24const_host_device_scalarIT6_EEPKT1_S7_PKS1_PKT3_PKT4_S4_PT5_21rocsparse_index_base_b.uses_vcc, 1
	.set _ZN9rocsparseL21csrmvn_general_kernelILj256ELj4EiiaaffEEvbT2_NS_24const_host_device_scalarIT6_EEPKT1_S7_PKS1_PKT3_PKT4_S4_PT5_21rocsparse_index_base_b.uses_flat_scratch, 0
	.set _ZN9rocsparseL21csrmvn_general_kernelILj256ELj4EiiaaffEEvbT2_NS_24const_host_device_scalarIT6_EEPKT1_S7_PKS1_PKT3_PKT4_S4_PT5_21rocsparse_index_base_b.has_dyn_sized_stack, 0
	.set _ZN9rocsparseL21csrmvn_general_kernelILj256ELj4EiiaaffEEvbT2_NS_24const_host_device_scalarIT6_EEPKT1_S7_PKS1_PKT3_PKT4_S4_PT5_21rocsparse_index_base_b.has_recursion, 0
	.set _ZN9rocsparseL21csrmvn_general_kernelILj256ELj4EiiaaffEEvbT2_NS_24const_host_device_scalarIT6_EEPKT1_S7_PKS1_PKT3_PKT4_S4_PT5_21rocsparse_index_base_b.has_indirect_call, 0
	.section	.AMDGPU.csdata,"",@progbits
; Kernel info:
; codeLenInByte = 672
; TotalNumSgprs: 24
; NumVgprs: 9
; ScratchSize: 0
; MemoryBound: 0
; FloatMode: 240
; IeeeMode: 1
; LDSByteSize: 0 bytes/workgroup (compile time only)
; SGPRBlocks: 0
; VGPRBlocks: 0
; NumSGPRsForWavesPerEU: 24
; NumVGPRsForWavesPerEU: 9
; NamedBarCnt: 0
; Occupancy: 16
; WaveLimiterHint : 1
; COMPUTE_PGM_RSRC2:SCRATCH_EN: 0
; COMPUTE_PGM_RSRC2:USER_SGPR: 2
; COMPUTE_PGM_RSRC2:TRAP_HANDLER: 0
; COMPUTE_PGM_RSRC2:TGID_X_EN: 1
; COMPUTE_PGM_RSRC2:TGID_Y_EN: 0
; COMPUTE_PGM_RSRC2:TGID_Z_EN: 0
; COMPUTE_PGM_RSRC2:TIDIG_COMP_CNT: 0
	.section	.text._ZN9rocsparseL21csrmvn_general_kernelILj256ELj8EiiaaffEEvbT2_NS_24const_host_device_scalarIT6_EEPKT1_S7_PKS1_PKT3_PKT4_S4_PT5_21rocsparse_index_base_b,"axG",@progbits,_ZN9rocsparseL21csrmvn_general_kernelILj256ELj8EiiaaffEEvbT2_NS_24const_host_device_scalarIT6_EEPKT1_S7_PKS1_PKT3_PKT4_S4_PT5_21rocsparse_index_base_b,comdat
	.globl	_ZN9rocsparseL21csrmvn_general_kernelILj256ELj8EiiaaffEEvbT2_NS_24const_host_device_scalarIT6_EEPKT1_S7_PKS1_PKT3_PKT4_S4_PT5_21rocsparse_index_base_b ; -- Begin function _ZN9rocsparseL21csrmvn_general_kernelILj256ELj8EiiaaffEEvbT2_NS_24const_host_device_scalarIT6_EEPKT1_S7_PKS1_PKT3_PKT4_S4_PT5_21rocsparse_index_base_b
	.p2align	8
	.type	_ZN9rocsparseL21csrmvn_general_kernelILj256ELj8EiiaaffEEvbT2_NS_24const_host_device_scalarIT6_EEPKT1_S7_PKS1_PKT3_PKT4_S4_PT5_21rocsparse_index_base_b,@function
_ZN9rocsparseL21csrmvn_general_kernelILj256ELj8EiiaaffEEvbT2_NS_24const_host_device_scalarIT6_EEPKT1_S7_PKS1_PKT3_PKT4_S4_PT5_21rocsparse_index_base_b: ; @_ZN9rocsparseL21csrmvn_general_kernelILj256ELj8EiiaaffEEvbT2_NS_24const_host_device_scalarIT6_EEPKT1_S7_PKS1_PKT3_PKT4_S4_PT5_21rocsparse_index_base_b
; %bb.0:
	s_clause 0x2
	s_load_b64 s[2:3], s[0:1], 0x48
	s_load_b128 s[12:15], s[0:1], 0x8
	s_load_b64 s[16:17], s[0:1], 0x38
	s_wait_kmcnt 0x0
	s_bitcmp1_b32 s3, 0
	s_cselect_b32 s3, -1, 0
	s_delay_alu instid0(SALU_CYCLE_1)
	s_and_b32 vcc_lo, exec_lo, s3
	s_xor_b32 s3, s3, -1
	s_cbranch_vccnz .LBB167_2
; %bb.1:
	s_load_b32 s12, s[12:13], 0x0
.LBB167_2:
	s_and_not1_b32 vcc_lo, exec_lo, s3
	s_cbranch_vccnz .LBB167_4
; %bb.3:
	s_load_b32 s16, s[16:17], 0x0
.LBB167_4:
	s_wait_kmcnt 0x0
	s_cmp_neq_f32 s12, 0
	s_cselect_b32 s3, -1, 0
	s_cmp_neq_f32 s16, 1.0
	s_cselect_b32 s4, -1, 0
	s_delay_alu instid0(SALU_CYCLE_1) | instskip(NEXT) | instid1(SALU_CYCLE_1)
	s_or_b32 s3, s3, s4
	s_and_not1_b32 vcc_lo, exec_lo, s3
	s_cbranch_vccnz .LBB167_16
; %bb.5:
	s_bfe_u32 s3, ttmp6, 0x4000c
	s_load_b32 s13, s[0:1], 0x4
	s_add_co_i32 s3, s3, 1
	s_and_b32 s4, ttmp6, 15
	s_mul_i32 s3, ttmp9, s3
	s_getreg_b32 s5, hwreg(HW_REG_IB_STS2, 6, 4)
	s_add_co_i32 s4, s4, s3
	s_cmp_eq_u32 s5, 0
	s_cselect_b32 s3, ttmp9, s4
	s_delay_alu instid0(SALU_CYCLE_1) | instskip(SKIP_1) | instid1(VALU_DEP_1)
	v_lshl_or_b32 v1, s3, 8, v0
	s_mov_b32 s3, exec_lo
	v_lshrrev_b32_e32 v2, 3, v1
	s_wait_kmcnt 0x0
	s_delay_alu instid0(VALU_DEP_1)
	v_cmpx_gt_i32_e64 s13, v2
	s_cbranch_execz .LBB167_16
; %bb.6:
	v_mbcnt_lo_u32_b32 v1, -1, 0
	s_clause 0x2
	s_load_b32 s17, s[0:1], 0x50
	s_load_b64 s[18:19], s[0:1], 0x40
	s_load_b256 s[4:11], s[0:1], 0x18
	s_ashr_i32 s3, s2, 31
	s_delay_alu instid0(SALU_CYCLE_1) | instskip(SKIP_2) | instid1(VALU_DEP_1)
	s_sub_nc_u64 s[20:21], 0, s[2:3]
	v_xor_b32_e32 v6, 1, v1
	v_xor_b32_e32 v3, 4, v1
	v_cmp_gt_i32_e32 vcc_lo, 32, v3
	v_xor_b32_e32 v5, 2, v1
	v_and_b32_e32 v0, 7, v0
	s_delay_alu instid0(VALU_DEP_1)
	v_subrev_nc_u32_e32 v4, s2, v0
	s_wait_xcnt 0x0
	v_cmp_eq_u32_e64 s0, 7, v0
	v_cndmask_b32_e32 v0, v1, v3, vcc_lo
	v_cmp_gt_i32_e32 vcc_lo, 32, v5
	s_wait_kmcnt 0x0
	s_lshl_b32 s1, s17, 5
	s_cmp_neq_f32 s16, 0
	s_add_nc_u64 s[10:11], s[10:11], s[20:21]
	s_mov_b32 s17, 0
	v_dual_cndmask_b32 v3, v1, v5, vcc_lo :: v_dual_lshlrev_b32 v5, 2, v0
	v_cmp_gt_i32_e32 vcc_lo, 32, v6
	s_cselect_b32 s3, -1, 0
	s_delay_alu instid0(VALU_DEP_2) | instskip(NEXT) | instid1(VALU_DEP_1)
	v_dual_cndmask_b32 v1, v1, v6 :: v_dual_lshlrev_b32 v6, 2, v3
	v_lshlrev_b32_e32 v7, 2, v1
	s_branch .LBB167_9
.LBB167_7:                              ;   in Loop: Header=BB167_9 Depth=1
	global_store_b32 v[0:1], v8, off
.LBB167_8:                              ;   in Loop: Header=BB167_9 Depth=1
	s_wait_xcnt 0x0
	s_or_b32 exec_lo, exec_lo, s20
	v_add_nc_u32_e32 v2, s1, v2
	s_delay_alu instid0(VALU_DEP_1) | instskip(SKIP_1) | instid1(SALU_CYCLE_1)
	v_cmp_le_i32_e32 vcc_lo, s13, v2
	s_or_b32 s17, vcc_lo, s17
	s_and_not1_b32 exec_lo, exec_lo, s17
	s_cbranch_execz .LBB167_16
.LBB167_9:                              ; =>This Loop Header: Depth=1
                                        ;     Child Loop BB167_11 Depth 2
	s_clause 0x1
	global_load_b32 v0, v2, s[4:5] scale_offset
	global_load_b32 v3, v2, s[14:15] scale_offset
	s_mov_b32 s20, exec_lo
	s_wait_loadcnt_dscnt 0x100
	v_subrev_nc_u32_e32 v1, s2, v0
	s_wait_loadcnt 0x0
	v_dual_mov_b32 v0, 0 :: v_dual_add_nc_u32 v3, v3, v4
	s_wait_xcnt 0x0
	s_delay_alu instid0(VALU_DEP_1)
	v_cmpx_lt_i32_e64 v3, v1
	s_cbranch_execz .LBB167_13
; %bb.10:                               ;   in Loop: Header=BB167_9 Depth=1
	v_mov_b32_e32 v0, 0
	s_mov_b32 s21, 0
.LBB167_11:                             ;   Parent Loop BB167_9 Depth=1
                                        ; =>  This Inner Loop Header: Depth=2
	s_clause 0x1
	global_load_b32 v8, v3, s[6:7] scale_offset
	global_load_i8 v9, v3, s[8:9]
	s_wait_loadcnt 0x1
	global_load_i8 v8, v8, s[10:11]
	s_wait_loadcnt 0x1
	v_cvt_f32_i32_e32 v9, v9
	s_wait_xcnt 0x1
	s_delay_alu instid0(VALU_DEP_1) | instskip(NEXT) | instid1(VALU_DEP_1)
	v_dual_add_nc_u32 v3, 8, v3 :: v_dual_mul_f32 v9, s12, v9
	v_cmp_ge_i32_e32 vcc_lo, v3, v1
	s_or_b32 s21, vcc_lo, s21
	s_wait_loadcnt 0x0
	s_wait_xcnt 0x0
	v_cvt_f32_i32_e32 v8, v8
	s_delay_alu instid0(VALU_DEP_1)
	v_fmac_f32_e32 v0, v9, v8
	s_and_not1_b32 exec_lo, exec_lo, s21
	s_cbranch_execnz .LBB167_11
; %bb.12:                               ;   in Loop: Header=BB167_9 Depth=1
	s_or_b32 exec_lo, exec_lo, s21
.LBB167_13:                             ;   in Loop: Header=BB167_9 Depth=1
	s_delay_alu instid0(SALU_CYCLE_1)
	s_or_b32 exec_lo, exec_lo, s20
	ds_bpermute_b32 v1, v5, v0
	s_wait_dscnt 0x0
	v_dual_add_f32 v0, v0, v1 :: v_dual_ashrrev_i32 v3, 31, v2
	ds_bpermute_b32 v1, v6, v0
	s_wait_dscnt 0x0
	v_add_f32_e32 v0, v0, v1
	ds_bpermute_b32 v1, v7, v0
	s_and_saveexec_b32 s20, s0
	s_cbranch_execz .LBB167_8
; %bb.14:                               ;   in Loop: Header=BB167_9 Depth=1
	s_wait_dscnt 0x0
	v_add_f32_e32 v8, v0, v1
	v_lshl_add_u64 v[0:1], v[2:3], 2, s[18:19]
	s_and_not1_b32 vcc_lo, exec_lo, s3
	s_cbranch_vccnz .LBB167_7
; %bb.15:                               ;   in Loop: Header=BB167_9 Depth=1
	global_load_b32 v3, v[0:1], off
	s_wait_loadcnt 0x0
	v_fmac_f32_e32 v8, s16, v3
	s_branch .LBB167_7
.LBB167_16:
	s_endpgm
	.section	.rodata,"a",@progbits
	.p2align	6, 0x0
	.amdhsa_kernel _ZN9rocsparseL21csrmvn_general_kernelILj256ELj8EiiaaffEEvbT2_NS_24const_host_device_scalarIT6_EEPKT1_S7_PKS1_PKT3_PKT4_S4_PT5_21rocsparse_index_base_b
		.amdhsa_group_segment_fixed_size 0
		.amdhsa_private_segment_fixed_size 0
		.amdhsa_kernarg_size 336
		.amdhsa_user_sgpr_count 2
		.amdhsa_user_sgpr_dispatch_ptr 0
		.amdhsa_user_sgpr_queue_ptr 0
		.amdhsa_user_sgpr_kernarg_segment_ptr 1
		.amdhsa_user_sgpr_dispatch_id 0
		.amdhsa_user_sgpr_kernarg_preload_length 0
		.amdhsa_user_sgpr_kernarg_preload_offset 0
		.amdhsa_user_sgpr_private_segment_size 0
		.amdhsa_wavefront_size32 1
		.amdhsa_uses_dynamic_stack 0
		.amdhsa_enable_private_segment 0
		.amdhsa_system_sgpr_workgroup_id_x 1
		.amdhsa_system_sgpr_workgroup_id_y 0
		.amdhsa_system_sgpr_workgroup_id_z 0
		.amdhsa_system_sgpr_workgroup_info 0
		.amdhsa_system_vgpr_workitem_id 0
		.amdhsa_next_free_vgpr 10
		.amdhsa_next_free_sgpr 22
		.amdhsa_named_barrier_count 0
		.amdhsa_reserve_vcc 1
		.amdhsa_float_round_mode_32 0
		.amdhsa_float_round_mode_16_64 0
		.amdhsa_float_denorm_mode_32 3
		.amdhsa_float_denorm_mode_16_64 3
		.amdhsa_fp16_overflow 0
		.amdhsa_memory_ordered 1
		.amdhsa_forward_progress 1
		.amdhsa_inst_pref_size 6
		.amdhsa_round_robin_scheduling 0
		.amdhsa_exception_fp_ieee_invalid_op 0
		.amdhsa_exception_fp_denorm_src 0
		.amdhsa_exception_fp_ieee_div_zero 0
		.amdhsa_exception_fp_ieee_overflow 0
		.amdhsa_exception_fp_ieee_underflow 0
		.amdhsa_exception_fp_ieee_inexact 0
		.amdhsa_exception_int_div_zero 0
	.end_amdhsa_kernel
	.section	.text._ZN9rocsparseL21csrmvn_general_kernelILj256ELj8EiiaaffEEvbT2_NS_24const_host_device_scalarIT6_EEPKT1_S7_PKS1_PKT3_PKT4_S4_PT5_21rocsparse_index_base_b,"axG",@progbits,_ZN9rocsparseL21csrmvn_general_kernelILj256ELj8EiiaaffEEvbT2_NS_24const_host_device_scalarIT6_EEPKT1_S7_PKS1_PKT3_PKT4_S4_PT5_21rocsparse_index_base_b,comdat
.Lfunc_end167:
	.size	_ZN9rocsparseL21csrmvn_general_kernelILj256ELj8EiiaaffEEvbT2_NS_24const_host_device_scalarIT6_EEPKT1_S7_PKS1_PKT3_PKT4_S4_PT5_21rocsparse_index_base_b, .Lfunc_end167-_ZN9rocsparseL21csrmvn_general_kernelILj256ELj8EiiaaffEEvbT2_NS_24const_host_device_scalarIT6_EEPKT1_S7_PKS1_PKT3_PKT4_S4_PT5_21rocsparse_index_base_b
                                        ; -- End function
	.set _ZN9rocsparseL21csrmvn_general_kernelILj256ELj8EiiaaffEEvbT2_NS_24const_host_device_scalarIT6_EEPKT1_S7_PKS1_PKT3_PKT4_S4_PT5_21rocsparse_index_base_b.num_vgpr, 10
	.set _ZN9rocsparseL21csrmvn_general_kernelILj256ELj8EiiaaffEEvbT2_NS_24const_host_device_scalarIT6_EEPKT1_S7_PKS1_PKT3_PKT4_S4_PT5_21rocsparse_index_base_b.num_agpr, 0
	.set _ZN9rocsparseL21csrmvn_general_kernelILj256ELj8EiiaaffEEvbT2_NS_24const_host_device_scalarIT6_EEPKT1_S7_PKS1_PKT3_PKT4_S4_PT5_21rocsparse_index_base_b.numbered_sgpr, 22
	.set _ZN9rocsparseL21csrmvn_general_kernelILj256ELj8EiiaaffEEvbT2_NS_24const_host_device_scalarIT6_EEPKT1_S7_PKS1_PKT3_PKT4_S4_PT5_21rocsparse_index_base_b.num_named_barrier, 0
	.set _ZN9rocsparseL21csrmvn_general_kernelILj256ELj8EiiaaffEEvbT2_NS_24const_host_device_scalarIT6_EEPKT1_S7_PKS1_PKT3_PKT4_S4_PT5_21rocsparse_index_base_b.private_seg_size, 0
	.set _ZN9rocsparseL21csrmvn_general_kernelILj256ELj8EiiaaffEEvbT2_NS_24const_host_device_scalarIT6_EEPKT1_S7_PKS1_PKT3_PKT4_S4_PT5_21rocsparse_index_base_b.uses_vcc, 1
	.set _ZN9rocsparseL21csrmvn_general_kernelILj256ELj8EiiaaffEEvbT2_NS_24const_host_device_scalarIT6_EEPKT1_S7_PKS1_PKT3_PKT4_S4_PT5_21rocsparse_index_base_b.uses_flat_scratch, 0
	.set _ZN9rocsparseL21csrmvn_general_kernelILj256ELj8EiiaaffEEvbT2_NS_24const_host_device_scalarIT6_EEPKT1_S7_PKS1_PKT3_PKT4_S4_PT5_21rocsparse_index_base_b.has_dyn_sized_stack, 0
	.set _ZN9rocsparseL21csrmvn_general_kernelILj256ELj8EiiaaffEEvbT2_NS_24const_host_device_scalarIT6_EEPKT1_S7_PKS1_PKT3_PKT4_S4_PT5_21rocsparse_index_base_b.has_recursion, 0
	.set _ZN9rocsparseL21csrmvn_general_kernelILj256ELj8EiiaaffEEvbT2_NS_24const_host_device_scalarIT6_EEPKT1_S7_PKS1_PKT3_PKT4_S4_PT5_21rocsparse_index_base_b.has_indirect_call, 0
	.section	.AMDGPU.csdata,"",@progbits
; Kernel info:
; codeLenInByte = 704
; TotalNumSgprs: 24
; NumVgprs: 10
; ScratchSize: 0
; MemoryBound: 0
; FloatMode: 240
; IeeeMode: 1
; LDSByteSize: 0 bytes/workgroup (compile time only)
; SGPRBlocks: 0
; VGPRBlocks: 0
; NumSGPRsForWavesPerEU: 24
; NumVGPRsForWavesPerEU: 10
; NamedBarCnt: 0
; Occupancy: 16
; WaveLimiterHint : 1
; COMPUTE_PGM_RSRC2:SCRATCH_EN: 0
; COMPUTE_PGM_RSRC2:USER_SGPR: 2
; COMPUTE_PGM_RSRC2:TRAP_HANDLER: 0
; COMPUTE_PGM_RSRC2:TGID_X_EN: 1
; COMPUTE_PGM_RSRC2:TGID_Y_EN: 0
; COMPUTE_PGM_RSRC2:TGID_Z_EN: 0
; COMPUTE_PGM_RSRC2:TIDIG_COMP_CNT: 0
	.section	.text._ZN9rocsparseL21csrmvn_general_kernelILj256ELj16EiiaaffEEvbT2_NS_24const_host_device_scalarIT6_EEPKT1_S7_PKS1_PKT3_PKT4_S4_PT5_21rocsparse_index_base_b,"axG",@progbits,_ZN9rocsparseL21csrmvn_general_kernelILj256ELj16EiiaaffEEvbT2_NS_24const_host_device_scalarIT6_EEPKT1_S7_PKS1_PKT3_PKT4_S4_PT5_21rocsparse_index_base_b,comdat
	.globl	_ZN9rocsparseL21csrmvn_general_kernelILj256ELj16EiiaaffEEvbT2_NS_24const_host_device_scalarIT6_EEPKT1_S7_PKS1_PKT3_PKT4_S4_PT5_21rocsparse_index_base_b ; -- Begin function _ZN9rocsparseL21csrmvn_general_kernelILj256ELj16EiiaaffEEvbT2_NS_24const_host_device_scalarIT6_EEPKT1_S7_PKS1_PKT3_PKT4_S4_PT5_21rocsparse_index_base_b
	.p2align	8
	.type	_ZN9rocsparseL21csrmvn_general_kernelILj256ELj16EiiaaffEEvbT2_NS_24const_host_device_scalarIT6_EEPKT1_S7_PKS1_PKT3_PKT4_S4_PT5_21rocsparse_index_base_b,@function
_ZN9rocsparseL21csrmvn_general_kernelILj256ELj16EiiaaffEEvbT2_NS_24const_host_device_scalarIT6_EEPKT1_S7_PKS1_PKT3_PKT4_S4_PT5_21rocsparse_index_base_b: ; @_ZN9rocsparseL21csrmvn_general_kernelILj256ELj16EiiaaffEEvbT2_NS_24const_host_device_scalarIT6_EEPKT1_S7_PKS1_PKT3_PKT4_S4_PT5_21rocsparse_index_base_b
; %bb.0:
	s_clause 0x2
	s_load_b64 s[2:3], s[0:1], 0x48
	s_load_b128 s[12:15], s[0:1], 0x8
	s_load_b64 s[16:17], s[0:1], 0x38
	s_wait_kmcnt 0x0
	s_bitcmp1_b32 s3, 0
	s_cselect_b32 s3, -1, 0
	s_delay_alu instid0(SALU_CYCLE_1)
	s_and_b32 vcc_lo, exec_lo, s3
	s_xor_b32 s3, s3, -1
	s_cbranch_vccnz .LBB168_2
; %bb.1:
	s_load_b32 s12, s[12:13], 0x0
.LBB168_2:
	s_and_not1_b32 vcc_lo, exec_lo, s3
	s_cbranch_vccnz .LBB168_4
; %bb.3:
	s_load_b32 s16, s[16:17], 0x0
.LBB168_4:
	s_wait_kmcnt 0x0
	s_cmp_neq_f32 s12, 0
	s_cselect_b32 s3, -1, 0
	s_cmp_neq_f32 s16, 1.0
	s_cselect_b32 s4, -1, 0
	s_delay_alu instid0(SALU_CYCLE_1) | instskip(NEXT) | instid1(SALU_CYCLE_1)
	s_or_b32 s3, s3, s4
	s_and_not1_b32 vcc_lo, exec_lo, s3
	s_cbranch_vccnz .LBB168_16
; %bb.5:
	s_bfe_u32 s3, ttmp6, 0x4000c
	s_load_b32 s13, s[0:1], 0x4
	s_add_co_i32 s3, s3, 1
	s_and_b32 s4, ttmp6, 15
	s_mul_i32 s3, ttmp9, s3
	s_getreg_b32 s5, hwreg(HW_REG_IB_STS2, 6, 4)
	s_add_co_i32 s4, s4, s3
	s_cmp_eq_u32 s5, 0
	s_cselect_b32 s3, ttmp9, s4
	s_delay_alu instid0(SALU_CYCLE_1) | instskip(SKIP_1) | instid1(VALU_DEP_1)
	v_lshl_or_b32 v1, s3, 8, v0
	s_mov_b32 s3, exec_lo
	v_lshrrev_b32_e32 v2, 4, v1
	s_wait_kmcnt 0x0
	s_delay_alu instid0(VALU_DEP_1)
	v_cmpx_gt_i32_e64 s13, v2
	s_cbranch_execz .LBB168_16
; %bb.6:
	v_mbcnt_lo_u32_b32 v1, -1, 0
	s_clause 0x2
	s_load_b32 s17, s[0:1], 0x50
	s_load_b64 s[18:19], s[0:1], 0x40
	s_load_b256 s[4:11], s[0:1], 0x18
	s_ashr_i32 s3, s2, 31
	s_delay_alu instid0(SALU_CYCLE_1) | instskip(SKIP_4) | instid1(VALU_DEP_3)
	s_sub_nc_u64 s[20:21], 0, s[2:3]
	v_xor_b32_e32 v6, 2, v1
	v_xor_b32_e32 v3, 8, v1
	;; [unrolled: 1-line block ×4, first 2 shown]
	v_cmp_gt_i32_e32 vcc_lo, 32, v3
	v_dual_cndmask_b32 v3, v1, v3, vcc_lo :: v_dual_bitop2_b32 v0, 15, v0 bitop3:0x40
	s_delay_alu instid0(VALU_DEP_3) | instskip(NEXT) | instid1(VALU_DEP_2)
	v_cmp_gt_i32_e32 vcc_lo, 32, v5
	v_subrev_nc_u32_e32 v4, s2, v0
	s_wait_kmcnt 0x0
	s_lshl_b32 s1, s17, 4
	s_cmp_neq_f32 s16, 0
	v_cmp_eq_u32_e64 s0, 15, v0
	v_dual_cndmask_b32 v8, v1, v5 :: v_dual_lshlrev_b32 v5, 2, v3
	v_cmp_gt_i32_e32 vcc_lo, 32, v6
	s_cselect_b32 s3, -1, 0
	s_add_nc_u64 s[10:11], s[10:11], s[20:21]
	s_mov_b32 s17, 0
	v_dual_cndmask_b32 v9, v1, v6 :: v_dual_lshlrev_b32 v6, 2, v8
	v_cmp_gt_i32_e32 vcc_lo, 32, v7
	s_delay_alu instid0(VALU_DEP_2) | instskip(NEXT) | instid1(VALU_DEP_1)
	v_dual_cndmask_b32 v1, v1, v7, vcc_lo :: v_dual_lshlrev_b32 v7, 2, v9
	v_lshlrev_b32_e32 v8, 2, v1
	s_branch .LBB168_9
.LBB168_7:                              ;   in Loop: Header=BB168_9 Depth=1
	global_store_b32 v[0:1], v9, off
.LBB168_8:                              ;   in Loop: Header=BB168_9 Depth=1
	s_wait_xcnt 0x0
	s_or_b32 exec_lo, exec_lo, s20
	v_add_nc_u32_e32 v2, s1, v2
	s_delay_alu instid0(VALU_DEP_1) | instskip(SKIP_1) | instid1(SALU_CYCLE_1)
	v_cmp_le_i32_e32 vcc_lo, s13, v2
	s_or_b32 s17, vcc_lo, s17
	s_and_not1_b32 exec_lo, exec_lo, s17
	s_cbranch_execz .LBB168_16
.LBB168_9:                              ; =>This Loop Header: Depth=1
                                        ;     Child Loop BB168_11 Depth 2
	s_clause 0x1
	global_load_b32 v0, v2, s[4:5] scale_offset
	global_load_b32 v3, v2, s[14:15] scale_offset
	s_mov_b32 s20, exec_lo
	s_wait_loadcnt_dscnt 0x100
	v_subrev_nc_u32_e32 v1, s2, v0
	s_wait_loadcnt 0x0
	v_dual_mov_b32 v0, 0 :: v_dual_add_nc_u32 v3, v3, v4
	s_wait_xcnt 0x0
	s_delay_alu instid0(VALU_DEP_1)
	v_cmpx_lt_i32_e64 v3, v1
	s_cbranch_execz .LBB168_13
; %bb.10:                               ;   in Loop: Header=BB168_9 Depth=1
	v_mov_b32_e32 v0, 0
	s_mov_b32 s21, 0
.LBB168_11:                             ;   Parent Loop BB168_9 Depth=1
                                        ; =>  This Inner Loop Header: Depth=2
	s_clause 0x1
	global_load_b32 v9, v3, s[6:7] scale_offset
	global_load_i8 v10, v3, s[8:9]
	s_wait_loadcnt 0x1
	global_load_i8 v9, v9, s[10:11]
	s_wait_loadcnt 0x1
	v_cvt_f32_i32_e32 v10, v10
	s_wait_xcnt 0x1
	s_delay_alu instid0(VALU_DEP_1) | instskip(NEXT) | instid1(VALU_DEP_1)
	v_dual_mul_f32 v10, s12, v10 :: v_dual_add_nc_u32 v3, 16, v3
	v_cmp_ge_i32_e32 vcc_lo, v3, v1
	s_or_b32 s21, vcc_lo, s21
	s_wait_loadcnt 0x0
	s_wait_xcnt 0x0
	v_cvt_f32_i32_e32 v9, v9
	s_delay_alu instid0(VALU_DEP_1)
	v_fmac_f32_e32 v0, v10, v9
	s_and_not1_b32 exec_lo, exec_lo, s21
	s_cbranch_execnz .LBB168_11
; %bb.12:                               ;   in Loop: Header=BB168_9 Depth=1
	s_or_b32 exec_lo, exec_lo, s21
.LBB168_13:                             ;   in Loop: Header=BB168_9 Depth=1
	s_delay_alu instid0(SALU_CYCLE_1)
	s_or_b32 exec_lo, exec_lo, s20
	ds_bpermute_b32 v1, v5, v0
	s_wait_dscnt 0x0
	v_dual_add_f32 v0, v0, v1 :: v_dual_ashrrev_i32 v3, 31, v2
	ds_bpermute_b32 v1, v6, v0
	s_wait_dscnt 0x0
	v_add_f32_e32 v0, v0, v1
	ds_bpermute_b32 v1, v7, v0
	s_wait_dscnt 0x0
	v_add_f32_e32 v0, v0, v1
	ds_bpermute_b32 v1, v8, v0
	s_and_saveexec_b32 s20, s0
	s_cbranch_execz .LBB168_8
; %bb.14:                               ;   in Loop: Header=BB168_9 Depth=1
	s_wait_dscnt 0x0
	v_add_f32_e32 v9, v0, v1
	v_lshl_add_u64 v[0:1], v[2:3], 2, s[18:19]
	s_and_not1_b32 vcc_lo, exec_lo, s3
	s_cbranch_vccnz .LBB168_7
; %bb.15:                               ;   in Loop: Header=BB168_9 Depth=1
	global_load_b32 v3, v[0:1], off
	s_wait_loadcnt 0x0
	v_fmac_f32_e32 v9, s16, v3
	s_branch .LBB168_7
.LBB168_16:
	s_endpgm
	.section	.rodata,"a",@progbits
	.p2align	6, 0x0
	.amdhsa_kernel _ZN9rocsparseL21csrmvn_general_kernelILj256ELj16EiiaaffEEvbT2_NS_24const_host_device_scalarIT6_EEPKT1_S7_PKS1_PKT3_PKT4_S4_PT5_21rocsparse_index_base_b
		.amdhsa_group_segment_fixed_size 0
		.amdhsa_private_segment_fixed_size 0
		.amdhsa_kernarg_size 336
		.amdhsa_user_sgpr_count 2
		.amdhsa_user_sgpr_dispatch_ptr 0
		.amdhsa_user_sgpr_queue_ptr 0
		.amdhsa_user_sgpr_kernarg_segment_ptr 1
		.amdhsa_user_sgpr_dispatch_id 0
		.amdhsa_user_sgpr_kernarg_preload_length 0
		.amdhsa_user_sgpr_kernarg_preload_offset 0
		.amdhsa_user_sgpr_private_segment_size 0
		.amdhsa_wavefront_size32 1
		.amdhsa_uses_dynamic_stack 0
		.amdhsa_enable_private_segment 0
		.amdhsa_system_sgpr_workgroup_id_x 1
		.amdhsa_system_sgpr_workgroup_id_y 0
		.amdhsa_system_sgpr_workgroup_id_z 0
		.amdhsa_system_sgpr_workgroup_info 0
		.amdhsa_system_vgpr_workitem_id 0
		.amdhsa_next_free_vgpr 11
		.amdhsa_next_free_sgpr 22
		.amdhsa_named_barrier_count 0
		.amdhsa_reserve_vcc 1
		.amdhsa_float_round_mode_32 0
		.amdhsa_float_round_mode_16_64 0
		.amdhsa_float_denorm_mode_32 3
		.amdhsa_float_denorm_mode_16_64 3
		.amdhsa_fp16_overflow 0
		.amdhsa_memory_ordered 1
		.amdhsa_forward_progress 1
		.amdhsa_inst_pref_size 6
		.amdhsa_round_robin_scheduling 0
		.amdhsa_exception_fp_ieee_invalid_op 0
		.amdhsa_exception_fp_denorm_src 0
		.amdhsa_exception_fp_ieee_div_zero 0
		.amdhsa_exception_fp_ieee_overflow 0
		.amdhsa_exception_fp_ieee_underflow 0
		.amdhsa_exception_fp_ieee_inexact 0
		.amdhsa_exception_int_div_zero 0
	.end_amdhsa_kernel
	.section	.text._ZN9rocsparseL21csrmvn_general_kernelILj256ELj16EiiaaffEEvbT2_NS_24const_host_device_scalarIT6_EEPKT1_S7_PKS1_PKT3_PKT4_S4_PT5_21rocsparse_index_base_b,"axG",@progbits,_ZN9rocsparseL21csrmvn_general_kernelILj256ELj16EiiaaffEEvbT2_NS_24const_host_device_scalarIT6_EEPKT1_S7_PKS1_PKT3_PKT4_S4_PT5_21rocsparse_index_base_b,comdat
.Lfunc_end168:
	.size	_ZN9rocsparseL21csrmvn_general_kernelILj256ELj16EiiaaffEEvbT2_NS_24const_host_device_scalarIT6_EEPKT1_S7_PKS1_PKT3_PKT4_S4_PT5_21rocsparse_index_base_b, .Lfunc_end168-_ZN9rocsparseL21csrmvn_general_kernelILj256ELj16EiiaaffEEvbT2_NS_24const_host_device_scalarIT6_EEPKT1_S7_PKS1_PKT3_PKT4_S4_PT5_21rocsparse_index_base_b
                                        ; -- End function
	.set _ZN9rocsparseL21csrmvn_general_kernelILj256ELj16EiiaaffEEvbT2_NS_24const_host_device_scalarIT6_EEPKT1_S7_PKS1_PKT3_PKT4_S4_PT5_21rocsparse_index_base_b.num_vgpr, 11
	.set _ZN9rocsparseL21csrmvn_general_kernelILj256ELj16EiiaaffEEvbT2_NS_24const_host_device_scalarIT6_EEPKT1_S7_PKS1_PKT3_PKT4_S4_PT5_21rocsparse_index_base_b.num_agpr, 0
	.set _ZN9rocsparseL21csrmvn_general_kernelILj256ELj16EiiaaffEEvbT2_NS_24const_host_device_scalarIT6_EEPKT1_S7_PKS1_PKT3_PKT4_S4_PT5_21rocsparse_index_base_b.numbered_sgpr, 22
	.set _ZN9rocsparseL21csrmvn_general_kernelILj256ELj16EiiaaffEEvbT2_NS_24const_host_device_scalarIT6_EEPKT1_S7_PKS1_PKT3_PKT4_S4_PT5_21rocsparse_index_base_b.num_named_barrier, 0
	.set _ZN9rocsparseL21csrmvn_general_kernelILj256ELj16EiiaaffEEvbT2_NS_24const_host_device_scalarIT6_EEPKT1_S7_PKS1_PKT3_PKT4_S4_PT5_21rocsparse_index_base_b.private_seg_size, 0
	.set _ZN9rocsparseL21csrmvn_general_kernelILj256ELj16EiiaaffEEvbT2_NS_24const_host_device_scalarIT6_EEPKT1_S7_PKS1_PKT3_PKT4_S4_PT5_21rocsparse_index_base_b.uses_vcc, 1
	.set _ZN9rocsparseL21csrmvn_general_kernelILj256ELj16EiiaaffEEvbT2_NS_24const_host_device_scalarIT6_EEPKT1_S7_PKS1_PKT3_PKT4_S4_PT5_21rocsparse_index_base_b.uses_flat_scratch, 0
	.set _ZN9rocsparseL21csrmvn_general_kernelILj256ELj16EiiaaffEEvbT2_NS_24const_host_device_scalarIT6_EEPKT1_S7_PKS1_PKT3_PKT4_S4_PT5_21rocsparse_index_base_b.has_dyn_sized_stack, 0
	.set _ZN9rocsparseL21csrmvn_general_kernelILj256ELj16EiiaaffEEvbT2_NS_24const_host_device_scalarIT6_EEPKT1_S7_PKS1_PKT3_PKT4_S4_PT5_21rocsparse_index_base_b.has_recursion, 0
	.set _ZN9rocsparseL21csrmvn_general_kernelILj256ELj16EiiaaffEEvbT2_NS_24const_host_device_scalarIT6_EEPKT1_S7_PKS1_PKT3_PKT4_S4_PT5_21rocsparse_index_base_b.has_indirect_call, 0
	.section	.AMDGPU.csdata,"",@progbits
; Kernel info:
; codeLenInByte = 732
; TotalNumSgprs: 24
; NumVgprs: 11
; ScratchSize: 0
; MemoryBound: 0
; FloatMode: 240
; IeeeMode: 1
; LDSByteSize: 0 bytes/workgroup (compile time only)
; SGPRBlocks: 0
; VGPRBlocks: 0
; NumSGPRsForWavesPerEU: 24
; NumVGPRsForWavesPerEU: 11
; NamedBarCnt: 0
; Occupancy: 16
; WaveLimiterHint : 1
; COMPUTE_PGM_RSRC2:SCRATCH_EN: 0
; COMPUTE_PGM_RSRC2:USER_SGPR: 2
; COMPUTE_PGM_RSRC2:TRAP_HANDLER: 0
; COMPUTE_PGM_RSRC2:TGID_X_EN: 1
; COMPUTE_PGM_RSRC2:TGID_Y_EN: 0
; COMPUTE_PGM_RSRC2:TGID_Z_EN: 0
; COMPUTE_PGM_RSRC2:TIDIG_COMP_CNT: 0
	.section	.text._ZN9rocsparseL21csrmvn_general_kernelILj256ELj32EiiaaffEEvbT2_NS_24const_host_device_scalarIT6_EEPKT1_S7_PKS1_PKT3_PKT4_S4_PT5_21rocsparse_index_base_b,"axG",@progbits,_ZN9rocsparseL21csrmvn_general_kernelILj256ELj32EiiaaffEEvbT2_NS_24const_host_device_scalarIT6_EEPKT1_S7_PKS1_PKT3_PKT4_S4_PT5_21rocsparse_index_base_b,comdat
	.globl	_ZN9rocsparseL21csrmvn_general_kernelILj256ELj32EiiaaffEEvbT2_NS_24const_host_device_scalarIT6_EEPKT1_S7_PKS1_PKT3_PKT4_S4_PT5_21rocsparse_index_base_b ; -- Begin function _ZN9rocsparseL21csrmvn_general_kernelILj256ELj32EiiaaffEEvbT2_NS_24const_host_device_scalarIT6_EEPKT1_S7_PKS1_PKT3_PKT4_S4_PT5_21rocsparse_index_base_b
	.p2align	8
	.type	_ZN9rocsparseL21csrmvn_general_kernelILj256ELj32EiiaaffEEvbT2_NS_24const_host_device_scalarIT6_EEPKT1_S7_PKS1_PKT3_PKT4_S4_PT5_21rocsparse_index_base_b,@function
_ZN9rocsparseL21csrmvn_general_kernelILj256ELj32EiiaaffEEvbT2_NS_24const_host_device_scalarIT6_EEPKT1_S7_PKS1_PKT3_PKT4_S4_PT5_21rocsparse_index_base_b: ; @_ZN9rocsparseL21csrmvn_general_kernelILj256ELj32EiiaaffEEvbT2_NS_24const_host_device_scalarIT6_EEPKT1_S7_PKS1_PKT3_PKT4_S4_PT5_21rocsparse_index_base_b
; %bb.0:
	s_clause 0x2
	s_load_b64 s[2:3], s[0:1], 0x48
	s_load_b128 s[12:15], s[0:1], 0x8
	s_load_b64 s[16:17], s[0:1], 0x38
	s_wait_kmcnt 0x0
	s_bitcmp1_b32 s3, 0
	s_cselect_b32 s3, -1, 0
	s_delay_alu instid0(SALU_CYCLE_1)
	s_and_b32 vcc_lo, exec_lo, s3
	s_xor_b32 s3, s3, -1
	s_cbranch_vccnz .LBB169_2
; %bb.1:
	s_load_b32 s12, s[12:13], 0x0
.LBB169_2:
	s_and_not1_b32 vcc_lo, exec_lo, s3
	s_cbranch_vccnz .LBB169_4
; %bb.3:
	s_load_b32 s16, s[16:17], 0x0
.LBB169_4:
	s_wait_kmcnt 0x0
	s_cmp_neq_f32 s12, 0
	s_cselect_b32 s3, -1, 0
	s_cmp_neq_f32 s16, 1.0
	s_cselect_b32 s4, -1, 0
	s_delay_alu instid0(SALU_CYCLE_1) | instskip(NEXT) | instid1(SALU_CYCLE_1)
	s_or_b32 s3, s3, s4
	s_and_not1_b32 vcc_lo, exec_lo, s3
	s_cbranch_vccnz .LBB169_16
; %bb.5:
	s_bfe_u32 s3, ttmp6, 0x4000c
	s_load_b32 s13, s[0:1], 0x4
	s_add_co_i32 s3, s3, 1
	s_and_b32 s4, ttmp6, 15
	s_mul_i32 s3, ttmp9, s3
	s_getreg_b32 s5, hwreg(HW_REG_IB_STS2, 6, 4)
	s_add_co_i32 s4, s4, s3
	s_cmp_eq_u32 s5, 0
	s_cselect_b32 s3, ttmp9, s4
	s_delay_alu instid0(SALU_CYCLE_1) | instskip(SKIP_1) | instid1(VALU_DEP_1)
	v_lshl_or_b32 v1, s3, 8, v0
	s_mov_b32 s3, exec_lo
	v_lshrrev_b32_e32 v2, 5, v1
	s_wait_kmcnt 0x0
	s_delay_alu instid0(VALU_DEP_1)
	v_cmpx_gt_i32_e64 s13, v2
	s_cbranch_execz .LBB169_16
; %bb.6:
	v_mbcnt_lo_u32_b32 v1, -1, 0
	s_clause 0x2
	s_load_b32 s17, s[0:1], 0x50
	s_load_b64 s[18:19], s[0:1], 0x40
	s_load_b256 s[4:11], s[0:1], 0x18
	s_ashr_i32 s3, s2, 31
	s_delay_alu instid0(SALU_CYCLE_1)
	s_sub_nc_u64 s[20:21], 0, s[2:3]
	v_xor_b32_e32 v6, 4, v1
	v_xor_b32_e32 v3, 16, v1
	;; [unrolled: 1-line block ×5, first 2 shown]
	s_delay_alu instid0(VALU_DEP_4) | instskip(SKIP_1) | instid1(VALU_DEP_3)
	v_cmp_gt_i32_e32 vcc_lo, 32, v3
	v_dual_cndmask_b32 v3, v1, v3, vcc_lo :: v_dual_bitop2_b32 v0, 31, v0 bitop3:0x40
	v_cmp_gt_i32_e32 vcc_lo, 32, v5
	s_delay_alu instid0(VALU_DEP_2)
	v_subrev_nc_u32_e32 v4, s2, v0
	s_wait_kmcnt 0x0
	s_lshl_b32 s1, s17, 3
	s_cmp_neq_f32 s16, 0
	v_cmp_eq_u32_e64 s0, 31, v0
	v_dual_cndmask_b32 v9, v1, v5, vcc_lo :: v_dual_lshlrev_b32 v5, 2, v3
	v_cmp_gt_i32_e32 vcc_lo, 32, v6
	s_cselect_b32 s3, -1, 0
	s_add_nc_u64 s[10:11], s[10:11], s[20:21]
	s_mov_b32 s17, 0
	v_cndmask_b32_e32 v10, v1, v6, vcc_lo
	v_cmp_gt_i32_e32 vcc_lo, 32, v7
	s_delay_alu instid0(VALU_DEP_2) | instskip(SKIP_1) | instid1(VALU_DEP_2)
	v_dual_cndmask_b32 v3, v1, v7, vcc_lo :: v_dual_lshlrev_b32 v7, 2, v10
	v_cmp_gt_i32_e32 vcc_lo, 32, v8
	v_dual_cndmask_b32 v1, v1, v8 :: v_dual_lshlrev_b32 v8, 2, v3
	v_lshlrev_b32_e32 v6, 2, v9
	s_delay_alu instid0(VALU_DEP_2)
	v_lshlrev_b32_e32 v9, 2, v1
	s_branch .LBB169_9
.LBB169_7:                              ;   in Loop: Header=BB169_9 Depth=1
	global_store_b32 v[0:1], v10, off
.LBB169_8:                              ;   in Loop: Header=BB169_9 Depth=1
	s_wait_xcnt 0x0
	s_or_b32 exec_lo, exec_lo, s20
	v_add_nc_u32_e32 v2, s1, v2
	s_delay_alu instid0(VALU_DEP_1) | instskip(SKIP_1) | instid1(SALU_CYCLE_1)
	v_cmp_le_i32_e32 vcc_lo, s13, v2
	s_or_b32 s17, vcc_lo, s17
	s_and_not1_b32 exec_lo, exec_lo, s17
	s_cbranch_execz .LBB169_16
.LBB169_9:                              ; =>This Loop Header: Depth=1
                                        ;     Child Loop BB169_11 Depth 2
	s_clause 0x1
	global_load_b32 v0, v2, s[4:5] scale_offset
	global_load_b32 v3, v2, s[14:15] scale_offset
	s_mov_b32 s20, exec_lo
	s_wait_loadcnt_dscnt 0x100
	v_subrev_nc_u32_e32 v1, s2, v0
	s_wait_loadcnt 0x0
	v_dual_mov_b32 v0, 0 :: v_dual_add_nc_u32 v3, v3, v4
	s_wait_xcnt 0x0
	s_delay_alu instid0(VALU_DEP_1)
	v_cmpx_lt_i32_e64 v3, v1
	s_cbranch_execz .LBB169_13
; %bb.10:                               ;   in Loop: Header=BB169_9 Depth=1
	v_mov_b32_e32 v0, 0
	s_mov_b32 s21, 0
.LBB169_11:                             ;   Parent Loop BB169_9 Depth=1
                                        ; =>  This Inner Loop Header: Depth=2
	s_clause 0x1
	global_load_b32 v10, v3, s[6:7] scale_offset
	global_load_i8 v11, v3, s[8:9]
	s_wait_loadcnt 0x1
	global_load_i8 v10, v10, s[10:11]
	s_wait_loadcnt 0x1
	v_cvt_f32_i32_e32 v11, v11
	s_delay_alu instid0(VALU_DEP_1) | instskip(SKIP_3) | instid1(VALU_DEP_1)
	v_mul_f32_e32 v11, s12, v11
	s_wait_loadcnt 0x0
	s_wait_xcnt 0x0
	v_cvt_f32_i32_e32 v10, v10
	v_dual_fmac_f32 v0, v11, v10 :: v_dual_add_nc_u32 v3, 32, v3
	s_delay_alu instid0(VALU_DEP_1) | instskip(SKIP_1) | instid1(SALU_CYCLE_1)
	v_cmp_ge_i32_e32 vcc_lo, v3, v1
	s_or_b32 s21, vcc_lo, s21
	s_and_not1_b32 exec_lo, exec_lo, s21
	s_cbranch_execnz .LBB169_11
; %bb.12:                               ;   in Loop: Header=BB169_9 Depth=1
	s_or_b32 exec_lo, exec_lo, s21
.LBB169_13:                             ;   in Loop: Header=BB169_9 Depth=1
	s_delay_alu instid0(SALU_CYCLE_1)
	s_or_b32 exec_lo, exec_lo, s20
	ds_bpermute_b32 v1, v5, v0
	s_wait_dscnt 0x0
	v_dual_add_f32 v0, v0, v1 :: v_dual_ashrrev_i32 v3, 31, v2
	ds_bpermute_b32 v1, v6, v0
	s_wait_dscnt 0x0
	v_add_f32_e32 v0, v0, v1
	ds_bpermute_b32 v1, v7, v0
	s_wait_dscnt 0x0
	v_add_f32_e32 v0, v0, v1
	;; [unrolled: 3-line block ×3, first 2 shown]
	ds_bpermute_b32 v1, v9, v0
	s_and_saveexec_b32 s20, s0
	s_cbranch_execz .LBB169_8
; %bb.14:                               ;   in Loop: Header=BB169_9 Depth=1
	s_wait_dscnt 0x0
	v_add_f32_e32 v10, v0, v1
	v_lshl_add_u64 v[0:1], v[2:3], 2, s[18:19]
	s_and_not1_b32 vcc_lo, exec_lo, s3
	s_cbranch_vccnz .LBB169_7
; %bb.15:                               ;   in Loop: Header=BB169_9 Depth=1
	global_load_b32 v3, v[0:1], off
	s_wait_loadcnt 0x0
	v_fmac_f32_e32 v10, s16, v3
	s_branch .LBB169_7
.LBB169_16:
	s_endpgm
	.section	.rodata,"a",@progbits
	.p2align	6, 0x0
	.amdhsa_kernel _ZN9rocsparseL21csrmvn_general_kernelILj256ELj32EiiaaffEEvbT2_NS_24const_host_device_scalarIT6_EEPKT1_S7_PKS1_PKT3_PKT4_S4_PT5_21rocsparse_index_base_b
		.amdhsa_group_segment_fixed_size 0
		.amdhsa_private_segment_fixed_size 0
		.amdhsa_kernarg_size 336
		.amdhsa_user_sgpr_count 2
		.amdhsa_user_sgpr_dispatch_ptr 0
		.amdhsa_user_sgpr_queue_ptr 0
		.amdhsa_user_sgpr_kernarg_segment_ptr 1
		.amdhsa_user_sgpr_dispatch_id 0
		.amdhsa_user_sgpr_kernarg_preload_length 0
		.amdhsa_user_sgpr_kernarg_preload_offset 0
		.amdhsa_user_sgpr_private_segment_size 0
		.amdhsa_wavefront_size32 1
		.amdhsa_uses_dynamic_stack 0
		.amdhsa_enable_private_segment 0
		.amdhsa_system_sgpr_workgroup_id_x 1
		.amdhsa_system_sgpr_workgroup_id_y 0
		.amdhsa_system_sgpr_workgroup_id_z 0
		.amdhsa_system_sgpr_workgroup_info 0
		.amdhsa_system_vgpr_workitem_id 0
		.amdhsa_next_free_vgpr 12
		.amdhsa_next_free_sgpr 22
		.amdhsa_named_barrier_count 0
		.amdhsa_reserve_vcc 1
		.amdhsa_float_round_mode_32 0
		.amdhsa_float_round_mode_16_64 0
		.amdhsa_float_denorm_mode_32 3
		.amdhsa_float_denorm_mode_16_64 3
		.amdhsa_fp16_overflow 0
		.amdhsa_memory_ordered 1
		.amdhsa_forward_progress 1
		.amdhsa_inst_pref_size 7
		.amdhsa_round_robin_scheduling 0
		.amdhsa_exception_fp_ieee_invalid_op 0
		.amdhsa_exception_fp_denorm_src 0
		.amdhsa_exception_fp_ieee_div_zero 0
		.amdhsa_exception_fp_ieee_overflow 0
		.amdhsa_exception_fp_ieee_underflow 0
		.amdhsa_exception_fp_ieee_inexact 0
		.amdhsa_exception_int_div_zero 0
	.end_amdhsa_kernel
	.section	.text._ZN9rocsparseL21csrmvn_general_kernelILj256ELj32EiiaaffEEvbT2_NS_24const_host_device_scalarIT6_EEPKT1_S7_PKS1_PKT3_PKT4_S4_PT5_21rocsparse_index_base_b,"axG",@progbits,_ZN9rocsparseL21csrmvn_general_kernelILj256ELj32EiiaaffEEvbT2_NS_24const_host_device_scalarIT6_EEPKT1_S7_PKS1_PKT3_PKT4_S4_PT5_21rocsparse_index_base_b,comdat
.Lfunc_end169:
	.size	_ZN9rocsparseL21csrmvn_general_kernelILj256ELj32EiiaaffEEvbT2_NS_24const_host_device_scalarIT6_EEPKT1_S7_PKS1_PKT3_PKT4_S4_PT5_21rocsparse_index_base_b, .Lfunc_end169-_ZN9rocsparseL21csrmvn_general_kernelILj256ELj32EiiaaffEEvbT2_NS_24const_host_device_scalarIT6_EEPKT1_S7_PKS1_PKT3_PKT4_S4_PT5_21rocsparse_index_base_b
                                        ; -- End function
	.set _ZN9rocsparseL21csrmvn_general_kernelILj256ELj32EiiaaffEEvbT2_NS_24const_host_device_scalarIT6_EEPKT1_S7_PKS1_PKT3_PKT4_S4_PT5_21rocsparse_index_base_b.num_vgpr, 12
	.set _ZN9rocsparseL21csrmvn_general_kernelILj256ELj32EiiaaffEEvbT2_NS_24const_host_device_scalarIT6_EEPKT1_S7_PKS1_PKT3_PKT4_S4_PT5_21rocsparse_index_base_b.num_agpr, 0
	.set _ZN9rocsparseL21csrmvn_general_kernelILj256ELj32EiiaaffEEvbT2_NS_24const_host_device_scalarIT6_EEPKT1_S7_PKS1_PKT3_PKT4_S4_PT5_21rocsparse_index_base_b.numbered_sgpr, 22
	.set _ZN9rocsparseL21csrmvn_general_kernelILj256ELj32EiiaaffEEvbT2_NS_24const_host_device_scalarIT6_EEPKT1_S7_PKS1_PKT3_PKT4_S4_PT5_21rocsparse_index_base_b.num_named_barrier, 0
	.set _ZN9rocsparseL21csrmvn_general_kernelILj256ELj32EiiaaffEEvbT2_NS_24const_host_device_scalarIT6_EEPKT1_S7_PKS1_PKT3_PKT4_S4_PT5_21rocsparse_index_base_b.private_seg_size, 0
	.set _ZN9rocsparseL21csrmvn_general_kernelILj256ELj32EiiaaffEEvbT2_NS_24const_host_device_scalarIT6_EEPKT1_S7_PKS1_PKT3_PKT4_S4_PT5_21rocsparse_index_base_b.uses_vcc, 1
	.set _ZN9rocsparseL21csrmvn_general_kernelILj256ELj32EiiaaffEEvbT2_NS_24const_host_device_scalarIT6_EEPKT1_S7_PKS1_PKT3_PKT4_S4_PT5_21rocsparse_index_base_b.uses_flat_scratch, 0
	.set _ZN9rocsparseL21csrmvn_general_kernelILj256ELj32EiiaaffEEvbT2_NS_24const_host_device_scalarIT6_EEPKT1_S7_PKS1_PKT3_PKT4_S4_PT5_21rocsparse_index_base_b.has_dyn_sized_stack, 0
	.set _ZN9rocsparseL21csrmvn_general_kernelILj256ELj32EiiaaffEEvbT2_NS_24const_host_device_scalarIT6_EEPKT1_S7_PKS1_PKT3_PKT4_S4_PT5_21rocsparse_index_base_b.has_recursion, 0
	.set _ZN9rocsparseL21csrmvn_general_kernelILj256ELj32EiiaaffEEvbT2_NS_24const_host_device_scalarIT6_EEPKT1_S7_PKS1_PKT3_PKT4_S4_PT5_21rocsparse_index_base_b.has_indirect_call, 0
	.section	.AMDGPU.csdata,"",@progbits
; Kernel info:
; codeLenInByte = 772
; TotalNumSgprs: 24
; NumVgprs: 12
; ScratchSize: 0
; MemoryBound: 0
; FloatMode: 240
; IeeeMode: 1
; LDSByteSize: 0 bytes/workgroup (compile time only)
; SGPRBlocks: 0
; VGPRBlocks: 0
; NumSGPRsForWavesPerEU: 24
; NumVGPRsForWavesPerEU: 12
; NamedBarCnt: 0
; Occupancy: 16
; WaveLimiterHint : 1
; COMPUTE_PGM_RSRC2:SCRATCH_EN: 0
; COMPUTE_PGM_RSRC2:USER_SGPR: 2
; COMPUTE_PGM_RSRC2:TRAP_HANDLER: 0
; COMPUTE_PGM_RSRC2:TGID_X_EN: 1
; COMPUTE_PGM_RSRC2:TGID_Y_EN: 0
; COMPUTE_PGM_RSRC2:TGID_Z_EN: 0
; COMPUTE_PGM_RSRC2:TIDIG_COMP_CNT: 0
	.section	.text._ZN9rocsparseL21csrmvn_general_kernelILj256ELj64EiiaaffEEvbT2_NS_24const_host_device_scalarIT6_EEPKT1_S7_PKS1_PKT3_PKT4_S4_PT5_21rocsparse_index_base_b,"axG",@progbits,_ZN9rocsparseL21csrmvn_general_kernelILj256ELj64EiiaaffEEvbT2_NS_24const_host_device_scalarIT6_EEPKT1_S7_PKS1_PKT3_PKT4_S4_PT5_21rocsparse_index_base_b,comdat
	.globl	_ZN9rocsparseL21csrmvn_general_kernelILj256ELj64EiiaaffEEvbT2_NS_24const_host_device_scalarIT6_EEPKT1_S7_PKS1_PKT3_PKT4_S4_PT5_21rocsparse_index_base_b ; -- Begin function _ZN9rocsparseL21csrmvn_general_kernelILj256ELj64EiiaaffEEvbT2_NS_24const_host_device_scalarIT6_EEPKT1_S7_PKS1_PKT3_PKT4_S4_PT5_21rocsparse_index_base_b
	.p2align	8
	.type	_ZN9rocsparseL21csrmvn_general_kernelILj256ELj64EiiaaffEEvbT2_NS_24const_host_device_scalarIT6_EEPKT1_S7_PKS1_PKT3_PKT4_S4_PT5_21rocsparse_index_base_b,@function
_ZN9rocsparseL21csrmvn_general_kernelILj256ELj64EiiaaffEEvbT2_NS_24const_host_device_scalarIT6_EEPKT1_S7_PKS1_PKT3_PKT4_S4_PT5_21rocsparse_index_base_b: ; @_ZN9rocsparseL21csrmvn_general_kernelILj256ELj64EiiaaffEEvbT2_NS_24const_host_device_scalarIT6_EEPKT1_S7_PKS1_PKT3_PKT4_S4_PT5_21rocsparse_index_base_b
; %bb.0:
	s_clause 0x2
	s_load_b64 s[2:3], s[0:1], 0x48
	s_load_b128 s[12:15], s[0:1], 0x8
	s_load_b64 s[16:17], s[0:1], 0x38
	s_wait_kmcnt 0x0
	s_bitcmp1_b32 s3, 0
	s_cselect_b32 s3, -1, 0
	s_delay_alu instid0(SALU_CYCLE_1)
	s_and_b32 vcc_lo, exec_lo, s3
	s_xor_b32 s3, s3, -1
	s_cbranch_vccnz .LBB170_2
; %bb.1:
	s_load_b32 s12, s[12:13], 0x0
.LBB170_2:
	s_and_not1_b32 vcc_lo, exec_lo, s3
	s_cbranch_vccnz .LBB170_4
; %bb.3:
	s_load_b32 s16, s[16:17], 0x0
.LBB170_4:
	s_wait_kmcnt 0x0
	s_cmp_neq_f32 s12, 0
	s_cselect_b32 s3, -1, 0
	s_cmp_neq_f32 s16, 1.0
	s_cselect_b32 s4, -1, 0
	s_delay_alu instid0(SALU_CYCLE_1) | instskip(NEXT) | instid1(SALU_CYCLE_1)
	s_or_b32 s3, s3, s4
	s_and_not1_b32 vcc_lo, exec_lo, s3
	s_cbranch_vccnz .LBB170_16
; %bb.5:
	s_bfe_u32 s3, ttmp6, 0x4000c
	s_load_b32 s13, s[0:1], 0x4
	s_add_co_i32 s3, s3, 1
	s_and_b32 s4, ttmp6, 15
	s_mul_i32 s3, ttmp9, s3
	s_getreg_b32 s5, hwreg(HW_REG_IB_STS2, 6, 4)
	s_add_co_i32 s4, s4, s3
	s_cmp_eq_u32 s5, 0
	s_cselect_b32 s3, ttmp9, s4
	s_delay_alu instid0(SALU_CYCLE_1) | instskip(SKIP_1) | instid1(VALU_DEP_1)
	v_lshl_or_b32 v1, s3, 8, v0
	s_mov_b32 s3, exec_lo
	v_lshrrev_b32_e32 v2, 6, v1
	s_wait_kmcnt 0x0
	s_delay_alu instid0(VALU_DEP_1)
	v_cmpx_gt_i32_e64 s13, v2
	s_cbranch_execz .LBB170_16
; %bb.6:
	v_mbcnt_lo_u32_b32 v1, -1, 0
	s_clause 0x2
	s_load_b32 s17, s[0:1], 0x50
	s_load_b64 s[18:19], s[0:1], 0x40
	s_load_b256 s[4:11], s[0:1], 0x18
	s_ashr_i32 s3, s2, 31
	s_delay_alu instid0(SALU_CYCLE_1) | instskip(SKIP_4) | instid1(VALU_DEP_4)
	s_sub_nc_u64 s[20:21], 0, s[2:3]
	v_or_b32_e32 v3, 32, v1
	v_xor_b32_e32 v8, 4, v1
	v_xor_b32_e32 v7, 8, v1
	;; [unrolled: 1-line block ×3, first 2 shown]
	v_cmp_gt_i32_e32 vcc_lo, 32, v3
	v_dual_cndmask_b32 v3, v1, v3, vcc_lo :: v_dual_bitop2_b32 v0, 63, v0 bitop3:0x40
	s_delay_alu instid0(VALU_DEP_3) | instskip(NEXT) | instid1(VALU_DEP_2)
	v_cmp_gt_i32_e32 vcc_lo, 32, v5
	v_subrev_nc_u32_e32 v4, s2, v0
	s_wait_xcnt 0x0
	v_cmp_eq_u32_e64 s0, 63, v0
	s_wait_kmcnt 0x0
	s_lshl_b32 s1, s17, 2
	v_dual_cndmask_b32 v6, v1, v5 :: v_dual_lshlrev_b32 v5, 2, v3
	v_cmp_gt_i32_e32 vcc_lo, 32, v7
	s_cmp_neq_f32 s16, 0
	s_add_nc_u64 s[10:11], s[10:11], s[20:21]
	s_delay_alu instid0(VALU_DEP_2)
	v_lshlrev_b32_e32 v6, 2, v6
	s_mov_b32 s17, 0
	v_dual_cndmask_b32 v3, v1, v7, vcc_lo :: v_dual_bitop2_b32 v9, 2, v1 bitop3:0x14
	v_cmp_gt_i32_e32 vcc_lo, 32, v8
	s_cselect_b32 s3, -1, 0
	v_dual_cndmask_b32 v8, v1, v8, vcc_lo :: v_dual_bitop2_b32 v7, 1, v1 bitop3:0x14
	s_delay_alu instid0(VALU_DEP_3) | instskip(NEXT) | instid1(VALU_DEP_2)
	v_cmp_gt_i32_e32 vcc_lo, 32, v9
	v_dual_cndmask_b32 v9, v1, v9 :: v_dual_lshlrev_b32 v8, 2, v8
	s_delay_alu instid0(VALU_DEP_3) | instskip(NEXT) | instid1(VALU_DEP_2)
	v_cmp_gt_i32_e32 vcc_lo, 32, v7
	v_dual_lshlrev_b32 v9, 2, v9 :: v_dual_cndmask_b32 v1, v1, v7, vcc_lo
	s_delay_alu instid0(VALU_DEP_1)
	v_dual_lshlrev_b32 v7, 2, v3 :: v_dual_lshlrev_b32 v10, 2, v1
	s_branch .LBB170_9
.LBB170_7:                              ;   in Loop: Header=BB170_9 Depth=1
	global_store_b32 v[0:1], v11, off
.LBB170_8:                              ;   in Loop: Header=BB170_9 Depth=1
	s_wait_xcnt 0x0
	s_or_b32 exec_lo, exec_lo, s20
	v_add_nc_u32_e32 v2, s1, v2
	s_delay_alu instid0(VALU_DEP_1) | instskip(SKIP_1) | instid1(SALU_CYCLE_1)
	v_cmp_le_i32_e32 vcc_lo, s13, v2
	s_or_b32 s17, vcc_lo, s17
	s_and_not1_b32 exec_lo, exec_lo, s17
	s_cbranch_execz .LBB170_16
.LBB170_9:                              ; =>This Loop Header: Depth=1
                                        ;     Child Loop BB170_11 Depth 2
	s_clause 0x1
	global_load_b32 v0, v2, s[4:5] scale_offset
	global_load_b32 v3, v2, s[14:15] scale_offset
	s_mov_b32 s20, exec_lo
	s_wait_loadcnt_dscnt 0x100
	v_subrev_nc_u32_e32 v1, s2, v0
	s_wait_loadcnt 0x0
	v_dual_mov_b32 v0, 0 :: v_dual_add_nc_u32 v3, v3, v4
	s_wait_xcnt 0x0
	s_delay_alu instid0(VALU_DEP_1)
	v_cmpx_lt_i32_e64 v3, v1
	s_cbranch_execz .LBB170_13
; %bb.10:                               ;   in Loop: Header=BB170_9 Depth=1
	v_mov_b32_e32 v0, 0
	s_mov_b32 s21, 0
.LBB170_11:                             ;   Parent Loop BB170_9 Depth=1
                                        ; =>  This Inner Loop Header: Depth=2
	s_clause 0x1
	global_load_b32 v11, v3, s[6:7] scale_offset
	global_load_i8 v12, v3, s[8:9]
	s_wait_loadcnt 0x1
	global_load_i8 v11, v11, s[10:11]
	s_wait_loadcnt 0x1
	v_cvt_f32_i32_e32 v12, v12
	s_wait_xcnt 0x1
	s_delay_alu instid0(VALU_DEP_1) | instskip(NEXT) | instid1(VALU_DEP_1)
	v_dual_mul_f32 v12, s12, v12 :: v_dual_add_nc_u32 v3, 64, v3
	v_cmp_ge_i32_e32 vcc_lo, v3, v1
	s_or_b32 s21, vcc_lo, s21
	s_wait_loadcnt 0x0
	s_wait_xcnt 0x0
	v_cvt_f32_i32_e32 v11, v11
	s_delay_alu instid0(VALU_DEP_1)
	v_fmac_f32_e32 v0, v12, v11
	s_and_not1_b32 exec_lo, exec_lo, s21
	s_cbranch_execnz .LBB170_11
; %bb.12:                               ;   in Loop: Header=BB170_9 Depth=1
	s_or_b32 exec_lo, exec_lo, s21
.LBB170_13:                             ;   in Loop: Header=BB170_9 Depth=1
	s_delay_alu instid0(SALU_CYCLE_1)
	s_or_b32 exec_lo, exec_lo, s20
	ds_bpermute_b32 v1, v5, v0
	s_wait_dscnt 0x0
	v_dual_add_f32 v0, v0, v1 :: v_dual_ashrrev_i32 v3, 31, v2
	ds_bpermute_b32 v1, v6, v0
	s_wait_dscnt 0x0
	v_add_f32_e32 v0, v0, v1
	ds_bpermute_b32 v1, v7, v0
	s_wait_dscnt 0x0
	v_add_f32_e32 v0, v0, v1
	;; [unrolled: 3-line block ×4, first 2 shown]
	ds_bpermute_b32 v1, v10, v0
	s_and_saveexec_b32 s20, s0
	s_cbranch_execz .LBB170_8
; %bb.14:                               ;   in Loop: Header=BB170_9 Depth=1
	s_wait_dscnt 0x0
	v_add_f32_e32 v11, v0, v1
	v_lshl_add_u64 v[0:1], v[2:3], 2, s[18:19]
	s_and_not1_b32 vcc_lo, exec_lo, s3
	s_cbranch_vccnz .LBB170_7
; %bb.15:                               ;   in Loop: Header=BB170_9 Depth=1
	global_load_b32 v3, v[0:1], off
	s_wait_loadcnt 0x0
	v_fmac_f32_e32 v11, s16, v3
	s_branch .LBB170_7
.LBB170_16:
	s_endpgm
	.section	.rodata,"a",@progbits
	.p2align	6, 0x0
	.amdhsa_kernel _ZN9rocsparseL21csrmvn_general_kernelILj256ELj64EiiaaffEEvbT2_NS_24const_host_device_scalarIT6_EEPKT1_S7_PKS1_PKT3_PKT4_S4_PT5_21rocsparse_index_base_b
		.amdhsa_group_segment_fixed_size 0
		.amdhsa_private_segment_fixed_size 0
		.amdhsa_kernarg_size 336
		.amdhsa_user_sgpr_count 2
		.amdhsa_user_sgpr_dispatch_ptr 0
		.amdhsa_user_sgpr_queue_ptr 0
		.amdhsa_user_sgpr_kernarg_segment_ptr 1
		.amdhsa_user_sgpr_dispatch_id 0
		.amdhsa_user_sgpr_kernarg_preload_length 0
		.amdhsa_user_sgpr_kernarg_preload_offset 0
		.amdhsa_user_sgpr_private_segment_size 0
		.amdhsa_wavefront_size32 1
		.amdhsa_uses_dynamic_stack 0
		.amdhsa_enable_private_segment 0
		.amdhsa_system_sgpr_workgroup_id_x 1
		.amdhsa_system_sgpr_workgroup_id_y 0
		.amdhsa_system_sgpr_workgroup_id_z 0
		.amdhsa_system_sgpr_workgroup_info 0
		.amdhsa_system_vgpr_workitem_id 0
		.amdhsa_next_free_vgpr 13
		.amdhsa_next_free_sgpr 22
		.amdhsa_named_barrier_count 0
		.amdhsa_reserve_vcc 1
		.amdhsa_float_round_mode_32 0
		.amdhsa_float_round_mode_16_64 0
		.amdhsa_float_denorm_mode_32 3
		.amdhsa_float_denorm_mode_16_64 3
		.amdhsa_fp16_overflow 0
		.amdhsa_memory_ordered 1
		.amdhsa_forward_progress 1
		.amdhsa_inst_pref_size 7
		.amdhsa_round_robin_scheduling 0
		.amdhsa_exception_fp_ieee_invalid_op 0
		.amdhsa_exception_fp_denorm_src 0
		.amdhsa_exception_fp_ieee_div_zero 0
		.amdhsa_exception_fp_ieee_overflow 0
		.amdhsa_exception_fp_ieee_underflow 0
		.amdhsa_exception_fp_ieee_inexact 0
		.amdhsa_exception_int_div_zero 0
	.end_amdhsa_kernel
	.section	.text._ZN9rocsparseL21csrmvn_general_kernelILj256ELj64EiiaaffEEvbT2_NS_24const_host_device_scalarIT6_EEPKT1_S7_PKS1_PKT3_PKT4_S4_PT5_21rocsparse_index_base_b,"axG",@progbits,_ZN9rocsparseL21csrmvn_general_kernelILj256ELj64EiiaaffEEvbT2_NS_24const_host_device_scalarIT6_EEPKT1_S7_PKS1_PKT3_PKT4_S4_PT5_21rocsparse_index_base_b,comdat
.Lfunc_end170:
	.size	_ZN9rocsparseL21csrmvn_general_kernelILj256ELj64EiiaaffEEvbT2_NS_24const_host_device_scalarIT6_EEPKT1_S7_PKS1_PKT3_PKT4_S4_PT5_21rocsparse_index_base_b, .Lfunc_end170-_ZN9rocsparseL21csrmvn_general_kernelILj256ELj64EiiaaffEEvbT2_NS_24const_host_device_scalarIT6_EEPKT1_S7_PKS1_PKT3_PKT4_S4_PT5_21rocsparse_index_base_b
                                        ; -- End function
	.set _ZN9rocsparseL21csrmvn_general_kernelILj256ELj64EiiaaffEEvbT2_NS_24const_host_device_scalarIT6_EEPKT1_S7_PKS1_PKT3_PKT4_S4_PT5_21rocsparse_index_base_b.num_vgpr, 13
	.set _ZN9rocsparseL21csrmvn_general_kernelILj256ELj64EiiaaffEEvbT2_NS_24const_host_device_scalarIT6_EEPKT1_S7_PKS1_PKT3_PKT4_S4_PT5_21rocsparse_index_base_b.num_agpr, 0
	.set _ZN9rocsparseL21csrmvn_general_kernelILj256ELj64EiiaaffEEvbT2_NS_24const_host_device_scalarIT6_EEPKT1_S7_PKS1_PKT3_PKT4_S4_PT5_21rocsparse_index_base_b.numbered_sgpr, 22
	.set _ZN9rocsparseL21csrmvn_general_kernelILj256ELj64EiiaaffEEvbT2_NS_24const_host_device_scalarIT6_EEPKT1_S7_PKS1_PKT3_PKT4_S4_PT5_21rocsparse_index_base_b.num_named_barrier, 0
	.set _ZN9rocsparseL21csrmvn_general_kernelILj256ELj64EiiaaffEEvbT2_NS_24const_host_device_scalarIT6_EEPKT1_S7_PKS1_PKT3_PKT4_S4_PT5_21rocsparse_index_base_b.private_seg_size, 0
	.set _ZN9rocsparseL21csrmvn_general_kernelILj256ELj64EiiaaffEEvbT2_NS_24const_host_device_scalarIT6_EEPKT1_S7_PKS1_PKT3_PKT4_S4_PT5_21rocsparse_index_base_b.uses_vcc, 1
	.set _ZN9rocsparseL21csrmvn_general_kernelILj256ELj64EiiaaffEEvbT2_NS_24const_host_device_scalarIT6_EEPKT1_S7_PKS1_PKT3_PKT4_S4_PT5_21rocsparse_index_base_b.uses_flat_scratch, 0
	.set _ZN9rocsparseL21csrmvn_general_kernelILj256ELj64EiiaaffEEvbT2_NS_24const_host_device_scalarIT6_EEPKT1_S7_PKS1_PKT3_PKT4_S4_PT5_21rocsparse_index_base_b.has_dyn_sized_stack, 0
	.set _ZN9rocsparseL21csrmvn_general_kernelILj256ELj64EiiaaffEEvbT2_NS_24const_host_device_scalarIT6_EEPKT1_S7_PKS1_PKT3_PKT4_S4_PT5_21rocsparse_index_base_b.has_recursion, 0
	.set _ZN9rocsparseL21csrmvn_general_kernelILj256ELj64EiiaaffEEvbT2_NS_24const_host_device_scalarIT6_EEPKT1_S7_PKS1_PKT3_PKT4_S4_PT5_21rocsparse_index_base_b.has_indirect_call, 0
	.section	.AMDGPU.csdata,"",@progbits
; Kernel info:
; codeLenInByte = 824
; TotalNumSgprs: 24
; NumVgprs: 13
; ScratchSize: 0
; MemoryBound: 0
; FloatMode: 240
; IeeeMode: 1
; LDSByteSize: 0 bytes/workgroup (compile time only)
; SGPRBlocks: 0
; VGPRBlocks: 0
; NumSGPRsForWavesPerEU: 24
; NumVGPRsForWavesPerEU: 13
; NamedBarCnt: 0
; Occupancy: 16
; WaveLimiterHint : 1
; COMPUTE_PGM_RSRC2:SCRATCH_EN: 0
; COMPUTE_PGM_RSRC2:USER_SGPR: 2
; COMPUTE_PGM_RSRC2:TRAP_HANDLER: 0
; COMPUTE_PGM_RSRC2:TGID_X_EN: 1
; COMPUTE_PGM_RSRC2:TGID_Y_EN: 0
; COMPUTE_PGM_RSRC2:TGID_Z_EN: 0
; COMPUTE_PGM_RSRC2:TIDIG_COMP_CNT: 0
	.section	.text._ZN9rocsparseL21csrmvt_general_kernelILj256ELj4EiiaaffEEvbbT2_NS_24const_host_device_scalarIT6_EEPKT1_S7_PKS1_PKT3_PKT4_PT5_21rocsparse_index_base_b,"axG",@progbits,_ZN9rocsparseL21csrmvt_general_kernelILj256ELj4EiiaaffEEvbbT2_NS_24const_host_device_scalarIT6_EEPKT1_S7_PKS1_PKT3_PKT4_PT5_21rocsparse_index_base_b,comdat
	.globl	_ZN9rocsparseL21csrmvt_general_kernelILj256ELj4EiiaaffEEvbbT2_NS_24const_host_device_scalarIT6_EEPKT1_S7_PKS1_PKT3_PKT4_PT5_21rocsparse_index_base_b ; -- Begin function _ZN9rocsparseL21csrmvt_general_kernelILj256ELj4EiiaaffEEvbbT2_NS_24const_host_device_scalarIT6_EEPKT1_S7_PKS1_PKT3_PKT4_PT5_21rocsparse_index_base_b
	.p2align	8
	.type	_ZN9rocsparseL21csrmvt_general_kernelILj256ELj4EiiaaffEEvbbT2_NS_24const_host_device_scalarIT6_EEPKT1_S7_PKS1_PKT3_PKT4_PT5_21rocsparse_index_base_b,@function
_ZN9rocsparseL21csrmvt_general_kernelILj256ELj4EiiaaffEEvbbT2_NS_24const_host_device_scalarIT6_EEPKT1_S7_PKS1_PKT3_PKT4_PT5_21rocsparse_index_base_b: ; @_ZN9rocsparseL21csrmvt_general_kernelILj256ELj4EiiaaffEEvbbT2_NS_24const_host_device_scalarIT6_EEPKT1_S7_PKS1_PKT3_PKT4_PT5_21rocsparse_index_base_b
; %bb.0:
	s_clause 0x1
	s_load_b64 s[2:3], s[0:1], 0x40
	s_load_b128 s[12:15], s[0:1], 0x8
	s_wait_kmcnt 0x0
	s_bitcmp1_b32 s3, 0
	s_cselect_b32 s3, -1, 0
	s_delay_alu instid0(SALU_CYCLE_1)
	s_and_b32 vcc_lo, exec_lo, s3
	s_cbranch_vccnz .LBB171_2
; %bb.1:
	s_load_b32 s12, s[12:13], 0x0
.LBB171_2:
	s_wait_kmcnt 0x0
	s_cmp_eq_f32 s12, 0
	s_cbranch_scc1 .LBB171_20
; %bb.3:
	s_clause 0x3
	s_load_b64 s[16:17], s[0:1], 0x0
	s_load_b32 s3, s[0:1], 0x48
	s_load_b64 s[18:19], s[0:1], 0x38
	s_load_b256 s[4:11], s[0:1], 0x18
	s_wait_xcnt 0x0
	s_bfe_u32 s0, ttmp6, 0x4000c
	s_and_b32 s13, ttmp6, 15
	s_add_co_i32 s0, s0, 1
	s_getreg_b32 s20, hwreg(HW_REG_IB_STS2, 6, 4)
	s_mul_i32 s0, ttmp9, s0
	v_and_b32_e32 v3, 3, v0
	s_add_co_i32 s13, s13, s0
	s_wait_kmcnt 0x0
	s_and_b32 s16, s16, 1
	s_lshl_b32 s1, s3, 6
	s_cmp_eq_u32 s20, 0
	s_mov_b32 s3, -1
	s_cselect_b32 s0, ttmp9, s13
	s_cmp_eq_u32 s16, 0
	v_lshl_or_b32 v1, s0, 8, v0
	s_delay_alu instid0(VALU_DEP_1) | instskip(NEXT) | instid1(VALU_DEP_1)
	v_lshrrev_b32_e32 v2, 2, v1
	v_cmp_gt_i32_e64 s0, s17, v2
	s_cbranch_scc0 .LBB171_11
; %bb.4:
	s_and_saveexec_b32 s3, s0
	s_cbranch_execz .LBB171_10
; %bb.5:
	v_subrev_nc_u32_e32 v4, s2, v3
	v_mov_b32_e32 v0, v2
	s_mov_b32 s13, 0
	s_branch .LBB171_7
.LBB171_6:                              ;   in Loop: Header=BB171_7 Depth=1
	s_or_b32 exec_lo, exec_lo, s16
	v_add_nc_u32_e32 v0, s1, v0
	s_delay_alu instid0(VALU_DEP_1) | instskip(SKIP_1) | instid1(SALU_CYCLE_1)
	v_cmp_le_i32_e32 vcc_lo, s17, v0
	s_or_b32 s13, vcc_lo, s13
	s_and_not1_b32 exec_lo, exec_lo, s13
	s_cbranch_execz .LBB171_10
.LBB171_7:                              ; =>This Loop Header: Depth=1
                                        ;     Child Loop BB171_9 Depth 2
	s_clause 0x1
	global_load_b32 v1, v0, s[4:5] scale_offset
	global_load_b32 v6, v0, s[14:15] scale_offset
	s_mov_b32 s16, exec_lo
	s_wait_loadcnt 0x1
	v_subrev_nc_u32_e32 v5, s2, v1
	s_wait_loadcnt 0x0
	v_add_nc_u32_e32 v6, v6, v4
	s_wait_xcnt 0x0
	s_delay_alu instid0(VALU_DEP_1)
	v_cmpx_lt_i32_e64 v6, v5
	s_cbranch_execz .LBB171_6
; %bb.8:                                ;   in Loop: Header=BB171_7 Depth=1
	v_ashrrev_i32_e32 v1, 31, v0
	s_mov_b32 s20, 0
	s_delay_alu instid0(VALU_DEP_1) | instskip(SKIP_3) | instid1(VALU_DEP_1)
	v_add_nc_u64_e32 v[8:9], s[10:11], v[0:1]
	global_load_i8 v1, v[8:9], off
	s_wait_loadcnt 0x0
	v_cvt_f32_i32_e32 v1, v1
	v_mul_f32_e32 v1, s12, v1
.LBB171_9:                              ;   Parent Loop BB171_7 Depth=1
                                        ; =>  This Inner Loop Header: Depth=2
	s_clause 0x1
	global_load_i8 v7, v6, s[8:9]
	global_load_b32 v8, v6, s[6:7] scale_offset
	s_wait_xcnt 0x0
	v_add_nc_u32_e32 v6, 4, v6
	s_delay_alu instid0(VALU_DEP_1)
	v_cmp_ge_i32_e32 vcc_lo, v6, v5
	s_or_b32 s20, vcc_lo, s20
	s_wait_loadcnt 0x1
	v_cvt_f32_i32_e32 v7, v7
	s_wait_loadcnt 0x0
	v_subrev_nc_u32_e32 v8, s2, v8
	s_delay_alu instid0(VALU_DEP_2)
	v_mul_f32_e32 v7, v1, v7
	global_atomic_add_f32 v8, v7, s[18:19] scale_offset scope:SCOPE_DEV
	s_wait_xcnt 0x0
	s_and_not1_b32 exec_lo, exec_lo, s20
	s_cbranch_execnz .LBB171_9
	s_branch .LBB171_6
.LBB171_10:
	s_or_b32 exec_lo, exec_lo, s3
	s_mov_b32 s3, 0
.LBB171_11:
	s_delay_alu instid0(SALU_CYCLE_1)
	s_and_not1_b32 vcc_lo, exec_lo, s3
	s_cbranch_vccnz .LBB171_20
; %bb.12:
	s_and_saveexec_b32 s3, s0
	s_cbranch_execz .LBB171_20
; %bb.13:
	v_subrev_nc_u32_e32 v4, s2, v3
	s_mov_b32 s0, 0
	s_branch .LBB171_15
.LBB171_14:                             ;   in Loop: Header=BB171_15 Depth=1
	s_or_b32 exec_lo, exec_lo, s3
	v_add_nc_u32_e32 v2, s1, v2
	s_delay_alu instid0(VALU_DEP_1) | instskip(SKIP_1) | instid1(SALU_CYCLE_1)
	v_cmp_le_i32_e32 vcc_lo, s17, v2
	s_or_b32 s0, vcc_lo, s0
	s_and_not1_b32 exec_lo, exec_lo, s0
	s_cbranch_execz .LBB171_20
.LBB171_15:                             ; =>This Loop Header: Depth=1
                                        ;     Child Loop BB171_18 Depth 2
	s_clause 0x1
	global_load_b32 v0, v2, s[4:5] scale_offset
	global_load_b32 v1, v2, s[14:15] scale_offset
	s_mov_b32 s3, exec_lo
	s_wait_loadcnt 0x1
	v_subrev_nc_u32_e32 v5, s2, v0
	s_wait_loadcnt 0x0
	v_add_nc_u32_e32 v0, v1, v4
	s_wait_xcnt 0x0
	s_delay_alu instid0(VALU_DEP_1)
	v_cmpx_lt_i32_e64 v0, v5
	s_cbranch_execz .LBB171_14
; %bb.16:                               ;   in Loop: Header=BB171_15 Depth=1
	v_ashrrev_i32_e32 v3, 31, v2
	s_mov_b32 s13, 0
	s_delay_alu instid0(VALU_DEP_1) | instskip(SKIP_3) | instid1(VALU_DEP_1)
	v_add_nc_u64_e32 v[6:7], s[10:11], v[2:3]
	global_load_i8 v1, v[6:7], off
	s_wait_loadcnt 0x0
	v_cvt_f32_i32_e32 v1, v1
	v_mul_f32_e32 v3, s12, v1
	s_branch .LBB171_18
.LBB171_17:                             ;   in Loop: Header=BB171_18 Depth=2
	s_wait_xcnt 0x0
	s_or_b32 exec_lo, exec_lo, s16
	v_add_nc_u32_e32 v0, 4, v0
	s_delay_alu instid0(VALU_DEP_1) | instskip(SKIP_1) | instid1(SALU_CYCLE_1)
	v_cmp_ge_i32_e32 vcc_lo, v0, v5
	s_or_b32 s13, vcc_lo, s13
	s_and_not1_b32 exec_lo, exec_lo, s13
	s_cbranch_execz .LBB171_14
.LBB171_18:                             ;   Parent Loop BB171_15 Depth=1
                                        ; =>  This Inner Loop Header: Depth=2
	global_load_b32 v1, v0, s[6:7] scale_offset
	s_mov_b32 s16, exec_lo
	s_wait_loadcnt 0x0
	s_wait_xcnt 0x1
	v_subrev_nc_u32_e32 v6, s2, v1
	v_ashrrev_i32_e32 v1, 31, v0
	s_wait_xcnt 0x0
	s_delay_alu instid0(VALU_DEP_2)
	v_cmpx_ne_u32_e64 v6, v2
	s_cbranch_execz .LBB171_17
; %bb.19:                               ;   in Loop: Header=BB171_18 Depth=2
	s_delay_alu instid0(VALU_DEP_2) | instskip(SKIP_3) | instid1(VALU_DEP_1)
	v_add_nc_u64_e32 v[8:9], s[8:9], v[0:1]
	global_load_i8 v1, v[8:9], off
	s_wait_loadcnt 0x0
	v_cvt_f32_i32_e32 v1, v1
	v_mul_f32_e32 v1, v3, v1
	s_wait_xcnt 0x0
	global_atomic_add_f32 v6, v1, s[18:19] scale_offset scope:SCOPE_DEV
	s_branch .LBB171_17
.LBB171_20:
	s_endpgm
	.section	.rodata,"a",@progbits
	.p2align	6, 0x0
	.amdhsa_kernel _ZN9rocsparseL21csrmvt_general_kernelILj256ELj4EiiaaffEEvbbT2_NS_24const_host_device_scalarIT6_EEPKT1_S7_PKS1_PKT3_PKT4_PT5_21rocsparse_index_base_b
		.amdhsa_group_segment_fixed_size 0
		.amdhsa_private_segment_fixed_size 0
		.amdhsa_kernarg_size 328
		.amdhsa_user_sgpr_count 2
		.amdhsa_user_sgpr_dispatch_ptr 0
		.amdhsa_user_sgpr_queue_ptr 0
		.amdhsa_user_sgpr_kernarg_segment_ptr 1
		.amdhsa_user_sgpr_dispatch_id 0
		.amdhsa_user_sgpr_kernarg_preload_length 0
		.amdhsa_user_sgpr_kernarg_preload_offset 0
		.amdhsa_user_sgpr_private_segment_size 0
		.amdhsa_wavefront_size32 1
		.amdhsa_uses_dynamic_stack 0
		.amdhsa_enable_private_segment 0
		.amdhsa_system_sgpr_workgroup_id_x 1
		.amdhsa_system_sgpr_workgroup_id_y 0
		.amdhsa_system_sgpr_workgroup_id_z 0
		.amdhsa_system_sgpr_workgroup_info 0
		.amdhsa_system_vgpr_workitem_id 0
		.amdhsa_next_free_vgpr 10
		.amdhsa_next_free_sgpr 21
		.amdhsa_named_barrier_count 0
		.amdhsa_reserve_vcc 1
		.amdhsa_float_round_mode_32 0
		.amdhsa_float_round_mode_16_64 0
		.amdhsa_float_denorm_mode_32 3
		.amdhsa_float_denorm_mode_16_64 3
		.amdhsa_fp16_overflow 0
		.amdhsa_memory_ordered 1
		.amdhsa_forward_progress 1
		.amdhsa_inst_pref_size 7
		.amdhsa_round_robin_scheduling 0
		.amdhsa_exception_fp_ieee_invalid_op 0
		.amdhsa_exception_fp_denorm_src 0
		.amdhsa_exception_fp_ieee_div_zero 0
		.amdhsa_exception_fp_ieee_overflow 0
		.amdhsa_exception_fp_ieee_underflow 0
		.amdhsa_exception_fp_ieee_inexact 0
		.amdhsa_exception_int_div_zero 0
	.end_amdhsa_kernel
	.section	.text._ZN9rocsparseL21csrmvt_general_kernelILj256ELj4EiiaaffEEvbbT2_NS_24const_host_device_scalarIT6_EEPKT1_S7_PKS1_PKT3_PKT4_PT5_21rocsparse_index_base_b,"axG",@progbits,_ZN9rocsparseL21csrmvt_general_kernelILj256ELj4EiiaaffEEvbbT2_NS_24const_host_device_scalarIT6_EEPKT1_S7_PKS1_PKT3_PKT4_PT5_21rocsparse_index_base_b,comdat
.Lfunc_end171:
	.size	_ZN9rocsparseL21csrmvt_general_kernelILj256ELj4EiiaaffEEvbbT2_NS_24const_host_device_scalarIT6_EEPKT1_S7_PKS1_PKT3_PKT4_PT5_21rocsparse_index_base_b, .Lfunc_end171-_ZN9rocsparseL21csrmvt_general_kernelILj256ELj4EiiaaffEEvbbT2_NS_24const_host_device_scalarIT6_EEPKT1_S7_PKS1_PKT3_PKT4_PT5_21rocsparse_index_base_b
                                        ; -- End function
	.set _ZN9rocsparseL21csrmvt_general_kernelILj256ELj4EiiaaffEEvbbT2_NS_24const_host_device_scalarIT6_EEPKT1_S7_PKS1_PKT3_PKT4_PT5_21rocsparse_index_base_b.num_vgpr, 10
	.set _ZN9rocsparseL21csrmvt_general_kernelILj256ELj4EiiaaffEEvbbT2_NS_24const_host_device_scalarIT6_EEPKT1_S7_PKS1_PKT3_PKT4_PT5_21rocsparse_index_base_b.num_agpr, 0
	.set _ZN9rocsparseL21csrmvt_general_kernelILj256ELj4EiiaaffEEvbbT2_NS_24const_host_device_scalarIT6_EEPKT1_S7_PKS1_PKT3_PKT4_PT5_21rocsparse_index_base_b.numbered_sgpr, 21
	.set _ZN9rocsparseL21csrmvt_general_kernelILj256ELj4EiiaaffEEvbbT2_NS_24const_host_device_scalarIT6_EEPKT1_S7_PKS1_PKT3_PKT4_PT5_21rocsparse_index_base_b.num_named_barrier, 0
	.set _ZN9rocsparseL21csrmvt_general_kernelILj256ELj4EiiaaffEEvbbT2_NS_24const_host_device_scalarIT6_EEPKT1_S7_PKS1_PKT3_PKT4_PT5_21rocsparse_index_base_b.private_seg_size, 0
	.set _ZN9rocsparseL21csrmvt_general_kernelILj256ELj4EiiaaffEEvbbT2_NS_24const_host_device_scalarIT6_EEPKT1_S7_PKS1_PKT3_PKT4_PT5_21rocsparse_index_base_b.uses_vcc, 1
	.set _ZN9rocsparseL21csrmvt_general_kernelILj256ELj4EiiaaffEEvbbT2_NS_24const_host_device_scalarIT6_EEPKT1_S7_PKS1_PKT3_PKT4_PT5_21rocsparse_index_base_b.uses_flat_scratch, 0
	.set _ZN9rocsparseL21csrmvt_general_kernelILj256ELj4EiiaaffEEvbbT2_NS_24const_host_device_scalarIT6_EEPKT1_S7_PKS1_PKT3_PKT4_PT5_21rocsparse_index_base_b.has_dyn_sized_stack, 0
	.set _ZN9rocsparseL21csrmvt_general_kernelILj256ELj4EiiaaffEEvbbT2_NS_24const_host_device_scalarIT6_EEPKT1_S7_PKS1_PKT3_PKT4_PT5_21rocsparse_index_base_b.has_recursion, 0
	.set _ZN9rocsparseL21csrmvt_general_kernelILj256ELj4EiiaaffEEvbbT2_NS_24const_host_device_scalarIT6_EEPKT1_S7_PKS1_PKT3_PKT4_PT5_21rocsparse_index_base_b.has_indirect_call, 0
	.section	.AMDGPU.csdata,"",@progbits
; Kernel info:
; codeLenInByte = 772
; TotalNumSgprs: 23
; NumVgprs: 10
; ScratchSize: 0
; MemoryBound: 0
; FloatMode: 240
; IeeeMode: 1
; LDSByteSize: 0 bytes/workgroup (compile time only)
; SGPRBlocks: 0
; VGPRBlocks: 0
; NumSGPRsForWavesPerEU: 23
; NumVGPRsForWavesPerEU: 10
; NamedBarCnt: 0
; Occupancy: 16
; WaveLimiterHint : 1
; COMPUTE_PGM_RSRC2:SCRATCH_EN: 0
; COMPUTE_PGM_RSRC2:USER_SGPR: 2
; COMPUTE_PGM_RSRC2:TRAP_HANDLER: 0
; COMPUTE_PGM_RSRC2:TGID_X_EN: 1
; COMPUTE_PGM_RSRC2:TGID_Y_EN: 0
; COMPUTE_PGM_RSRC2:TGID_Z_EN: 0
; COMPUTE_PGM_RSRC2:TIDIG_COMP_CNT: 0
	.section	.text._ZN9rocsparseL21csrmvt_general_kernelILj256ELj8EiiaaffEEvbbT2_NS_24const_host_device_scalarIT6_EEPKT1_S7_PKS1_PKT3_PKT4_PT5_21rocsparse_index_base_b,"axG",@progbits,_ZN9rocsparseL21csrmvt_general_kernelILj256ELj8EiiaaffEEvbbT2_NS_24const_host_device_scalarIT6_EEPKT1_S7_PKS1_PKT3_PKT4_PT5_21rocsparse_index_base_b,comdat
	.globl	_ZN9rocsparseL21csrmvt_general_kernelILj256ELj8EiiaaffEEvbbT2_NS_24const_host_device_scalarIT6_EEPKT1_S7_PKS1_PKT3_PKT4_PT5_21rocsparse_index_base_b ; -- Begin function _ZN9rocsparseL21csrmvt_general_kernelILj256ELj8EiiaaffEEvbbT2_NS_24const_host_device_scalarIT6_EEPKT1_S7_PKS1_PKT3_PKT4_PT5_21rocsparse_index_base_b
	.p2align	8
	.type	_ZN9rocsparseL21csrmvt_general_kernelILj256ELj8EiiaaffEEvbbT2_NS_24const_host_device_scalarIT6_EEPKT1_S7_PKS1_PKT3_PKT4_PT5_21rocsparse_index_base_b,@function
_ZN9rocsparseL21csrmvt_general_kernelILj256ELj8EiiaaffEEvbbT2_NS_24const_host_device_scalarIT6_EEPKT1_S7_PKS1_PKT3_PKT4_PT5_21rocsparse_index_base_b: ; @_ZN9rocsparseL21csrmvt_general_kernelILj256ELj8EiiaaffEEvbbT2_NS_24const_host_device_scalarIT6_EEPKT1_S7_PKS1_PKT3_PKT4_PT5_21rocsparse_index_base_b
; %bb.0:
	s_clause 0x1
	s_load_b64 s[2:3], s[0:1], 0x40
	s_load_b128 s[12:15], s[0:1], 0x8
	s_wait_kmcnt 0x0
	s_bitcmp1_b32 s3, 0
	s_cselect_b32 s3, -1, 0
	s_delay_alu instid0(SALU_CYCLE_1)
	s_and_b32 vcc_lo, exec_lo, s3
	s_cbranch_vccnz .LBB172_2
; %bb.1:
	s_load_b32 s12, s[12:13], 0x0
.LBB172_2:
	s_wait_kmcnt 0x0
	s_cmp_eq_f32 s12, 0
	s_cbranch_scc1 .LBB172_20
; %bb.3:
	s_clause 0x3
	s_load_b64 s[16:17], s[0:1], 0x0
	s_load_b32 s3, s[0:1], 0x48
	s_load_b64 s[18:19], s[0:1], 0x38
	s_load_b256 s[4:11], s[0:1], 0x18
	s_wait_xcnt 0x0
	s_bfe_u32 s0, ttmp6, 0x4000c
	s_and_b32 s13, ttmp6, 15
	s_add_co_i32 s0, s0, 1
	s_getreg_b32 s20, hwreg(HW_REG_IB_STS2, 6, 4)
	s_mul_i32 s0, ttmp9, s0
	v_and_b32_e32 v3, 7, v0
	s_add_co_i32 s13, s13, s0
	s_wait_kmcnt 0x0
	s_and_b32 s16, s16, 1
	s_lshl_b32 s1, s3, 5
	s_cmp_eq_u32 s20, 0
	s_mov_b32 s3, -1
	s_cselect_b32 s0, ttmp9, s13
	s_cmp_eq_u32 s16, 0
	v_lshl_or_b32 v1, s0, 8, v0
	s_delay_alu instid0(VALU_DEP_1) | instskip(NEXT) | instid1(VALU_DEP_1)
	v_lshrrev_b32_e32 v2, 3, v1
	v_cmp_gt_i32_e64 s0, s17, v2
	s_cbranch_scc0 .LBB172_11
; %bb.4:
	s_and_saveexec_b32 s3, s0
	s_cbranch_execz .LBB172_10
; %bb.5:
	v_subrev_nc_u32_e32 v4, s2, v3
	v_mov_b32_e32 v0, v2
	s_mov_b32 s13, 0
	s_branch .LBB172_7
.LBB172_6:                              ;   in Loop: Header=BB172_7 Depth=1
	s_or_b32 exec_lo, exec_lo, s16
	v_add_nc_u32_e32 v0, s1, v0
	s_delay_alu instid0(VALU_DEP_1) | instskip(SKIP_1) | instid1(SALU_CYCLE_1)
	v_cmp_le_i32_e32 vcc_lo, s17, v0
	s_or_b32 s13, vcc_lo, s13
	s_and_not1_b32 exec_lo, exec_lo, s13
	s_cbranch_execz .LBB172_10
.LBB172_7:                              ; =>This Loop Header: Depth=1
                                        ;     Child Loop BB172_9 Depth 2
	s_clause 0x1
	global_load_b32 v1, v0, s[4:5] scale_offset
	global_load_b32 v6, v0, s[14:15] scale_offset
	s_mov_b32 s16, exec_lo
	s_wait_loadcnt 0x1
	v_subrev_nc_u32_e32 v5, s2, v1
	s_wait_loadcnt 0x0
	v_add_nc_u32_e32 v6, v6, v4
	s_wait_xcnt 0x0
	s_delay_alu instid0(VALU_DEP_1)
	v_cmpx_lt_i32_e64 v6, v5
	s_cbranch_execz .LBB172_6
; %bb.8:                                ;   in Loop: Header=BB172_7 Depth=1
	v_ashrrev_i32_e32 v1, 31, v0
	s_mov_b32 s20, 0
	s_delay_alu instid0(VALU_DEP_1) | instskip(SKIP_3) | instid1(VALU_DEP_1)
	v_add_nc_u64_e32 v[8:9], s[10:11], v[0:1]
	global_load_i8 v1, v[8:9], off
	s_wait_loadcnt 0x0
	v_cvt_f32_i32_e32 v1, v1
	v_mul_f32_e32 v1, s12, v1
.LBB172_9:                              ;   Parent Loop BB172_7 Depth=1
                                        ; =>  This Inner Loop Header: Depth=2
	s_clause 0x1
	global_load_i8 v7, v6, s[8:9]
	global_load_b32 v8, v6, s[6:7] scale_offset
	s_wait_xcnt 0x0
	v_add_nc_u32_e32 v6, 8, v6
	s_delay_alu instid0(VALU_DEP_1)
	v_cmp_ge_i32_e32 vcc_lo, v6, v5
	s_or_b32 s20, vcc_lo, s20
	s_wait_loadcnt 0x1
	v_cvt_f32_i32_e32 v7, v7
	s_wait_loadcnt 0x0
	v_subrev_nc_u32_e32 v8, s2, v8
	s_delay_alu instid0(VALU_DEP_2)
	v_mul_f32_e32 v7, v1, v7
	global_atomic_add_f32 v8, v7, s[18:19] scale_offset scope:SCOPE_DEV
	s_wait_xcnt 0x0
	s_and_not1_b32 exec_lo, exec_lo, s20
	s_cbranch_execnz .LBB172_9
	s_branch .LBB172_6
.LBB172_10:
	s_or_b32 exec_lo, exec_lo, s3
	s_mov_b32 s3, 0
.LBB172_11:
	s_delay_alu instid0(SALU_CYCLE_1)
	s_and_not1_b32 vcc_lo, exec_lo, s3
	s_cbranch_vccnz .LBB172_20
; %bb.12:
	s_and_saveexec_b32 s3, s0
	s_cbranch_execz .LBB172_20
; %bb.13:
	v_subrev_nc_u32_e32 v4, s2, v3
	s_mov_b32 s0, 0
	s_branch .LBB172_15
.LBB172_14:                             ;   in Loop: Header=BB172_15 Depth=1
	s_or_b32 exec_lo, exec_lo, s3
	v_add_nc_u32_e32 v2, s1, v2
	s_delay_alu instid0(VALU_DEP_1) | instskip(SKIP_1) | instid1(SALU_CYCLE_1)
	v_cmp_le_i32_e32 vcc_lo, s17, v2
	s_or_b32 s0, vcc_lo, s0
	s_and_not1_b32 exec_lo, exec_lo, s0
	s_cbranch_execz .LBB172_20
.LBB172_15:                             ; =>This Loop Header: Depth=1
                                        ;     Child Loop BB172_18 Depth 2
	s_clause 0x1
	global_load_b32 v0, v2, s[4:5] scale_offset
	global_load_b32 v1, v2, s[14:15] scale_offset
	s_mov_b32 s3, exec_lo
	s_wait_loadcnt 0x1
	v_subrev_nc_u32_e32 v5, s2, v0
	s_wait_loadcnt 0x0
	v_add_nc_u32_e32 v0, v1, v4
	s_wait_xcnt 0x0
	s_delay_alu instid0(VALU_DEP_1)
	v_cmpx_lt_i32_e64 v0, v5
	s_cbranch_execz .LBB172_14
; %bb.16:                               ;   in Loop: Header=BB172_15 Depth=1
	v_ashrrev_i32_e32 v3, 31, v2
	s_mov_b32 s13, 0
	s_delay_alu instid0(VALU_DEP_1) | instskip(SKIP_3) | instid1(VALU_DEP_1)
	v_add_nc_u64_e32 v[6:7], s[10:11], v[2:3]
	global_load_i8 v1, v[6:7], off
	s_wait_loadcnt 0x0
	v_cvt_f32_i32_e32 v1, v1
	v_mul_f32_e32 v3, s12, v1
	s_branch .LBB172_18
.LBB172_17:                             ;   in Loop: Header=BB172_18 Depth=2
	s_wait_xcnt 0x0
	s_or_b32 exec_lo, exec_lo, s16
	v_add_nc_u32_e32 v0, 8, v0
	s_delay_alu instid0(VALU_DEP_1) | instskip(SKIP_1) | instid1(SALU_CYCLE_1)
	v_cmp_ge_i32_e32 vcc_lo, v0, v5
	s_or_b32 s13, vcc_lo, s13
	s_and_not1_b32 exec_lo, exec_lo, s13
	s_cbranch_execz .LBB172_14
.LBB172_18:                             ;   Parent Loop BB172_15 Depth=1
                                        ; =>  This Inner Loop Header: Depth=2
	global_load_b32 v1, v0, s[6:7] scale_offset
	s_mov_b32 s16, exec_lo
	s_wait_loadcnt 0x0
	s_wait_xcnt 0x1
	v_subrev_nc_u32_e32 v6, s2, v1
	v_ashrrev_i32_e32 v1, 31, v0
	s_wait_xcnt 0x0
	s_delay_alu instid0(VALU_DEP_2)
	v_cmpx_ne_u32_e64 v6, v2
	s_cbranch_execz .LBB172_17
; %bb.19:                               ;   in Loop: Header=BB172_18 Depth=2
	s_delay_alu instid0(VALU_DEP_2) | instskip(SKIP_3) | instid1(VALU_DEP_1)
	v_add_nc_u64_e32 v[8:9], s[8:9], v[0:1]
	global_load_i8 v1, v[8:9], off
	s_wait_loadcnt 0x0
	v_cvt_f32_i32_e32 v1, v1
	v_mul_f32_e32 v1, v3, v1
	s_wait_xcnt 0x0
	global_atomic_add_f32 v6, v1, s[18:19] scale_offset scope:SCOPE_DEV
	s_branch .LBB172_17
.LBB172_20:
	s_endpgm
	.section	.rodata,"a",@progbits
	.p2align	6, 0x0
	.amdhsa_kernel _ZN9rocsparseL21csrmvt_general_kernelILj256ELj8EiiaaffEEvbbT2_NS_24const_host_device_scalarIT6_EEPKT1_S7_PKS1_PKT3_PKT4_PT5_21rocsparse_index_base_b
		.amdhsa_group_segment_fixed_size 0
		.amdhsa_private_segment_fixed_size 0
		.amdhsa_kernarg_size 328
		.amdhsa_user_sgpr_count 2
		.amdhsa_user_sgpr_dispatch_ptr 0
		.amdhsa_user_sgpr_queue_ptr 0
		.amdhsa_user_sgpr_kernarg_segment_ptr 1
		.amdhsa_user_sgpr_dispatch_id 0
		.amdhsa_user_sgpr_kernarg_preload_length 0
		.amdhsa_user_sgpr_kernarg_preload_offset 0
		.amdhsa_user_sgpr_private_segment_size 0
		.amdhsa_wavefront_size32 1
		.amdhsa_uses_dynamic_stack 0
		.amdhsa_enable_private_segment 0
		.amdhsa_system_sgpr_workgroup_id_x 1
		.amdhsa_system_sgpr_workgroup_id_y 0
		.amdhsa_system_sgpr_workgroup_id_z 0
		.amdhsa_system_sgpr_workgroup_info 0
		.amdhsa_system_vgpr_workitem_id 0
		.amdhsa_next_free_vgpr 10
		.amdhsa_next_free_sgpr 21
		.amdhsa_named_barrier_count 0
		.amdhsa_reserve_vcc 1
		.amdhsa_float_round_mode_32 0
		.amdhsa_float_round_mode_16_64 0
		.amdhsa_float_denorm_mode_32 3
		.amdhsa_float_denorm_mode_16_64 3
		.amdhsa_fp16_overflow 0
		.amdhsa_memory_ordered 1
		.amdhsa_forward_progress 1
		.amdhsa_inst_pref_size 7
		.amdhsa_round_robin_scheduling 0
		.amdhsa_exception_fp_ieee_invalid_op 0
		.amdhsa_exception_fp_denorm_src 0
		.amdhsa_exception_fp_ieee_div_zero 0
		.amdhsa_exception_fp_ieee_overflow 0
		.amdhsa_exception_fp_ieee_underflow 0
		.amdhsa_exception_fp_ieee_inexact 0
		.amdhsa_exception_int_div_zero 0
	.end_amdhsa_kernel
	.section	.text._ZN9rocsparseL21csrmvt_general_kernelILj256ELj8EiiaaffEEvbbT2_NS_24const_host_device_scalarIT6_EEPKT1_S7_PKS1_PKT3_PKT4_PT5_21rocsparse_index_base_b,"axG",@progbits,_ZN9rocsparseL21csrmvt_general_kernelILj256ELj8EiiaaffEEvbbT2_NS_24const_host_device_scalarIT6_EEPKT1_S7_PKS1_PKT3_PKT4_PT5_21rocsparse_index_base_b,comdat
.Lfunc_end172:
	.size	_ZN9rocsparseL21csrmvt_general_kernelILj256ELj8EiiaaffEEvbbT2_NS_24const_host_device_scalarIT6_EEPKT1_S7_PKS1_PKT3_PKT4_PT5_21rocsparse_index_base_b, .Lfunc_end172-_ZN9rocsparseL21csrmvt_general_kernelILj256ELj8EiiaaffEEvbbT2_NS_24const_host_device_scalarIT6_EEPKT1_S7_PKS1_PKT3_PKT4_PT5_21rocsparse_index_base_b
                                        ; -- End function
	.set _ZN9rocsparseL21csrmvt_general_kernelILj256ELj8EiiaaffEEvbbT2_NS_24const_host_device_scalarIT6_EEPKT1_S7_PKS1_PKT3_PKT4_PT5_21rocsparse_index_base_b.num_vgpr, 10
	.set _ZN9rocsparseL21csrmvt_general_kernelILj256ELj8EiiaaffEEvbbT2_NS_24const_host_device_scalarIT6_EEPKT1_S7_PKS1_PKT3_PKT4_PT5_21rocsparse_index_base_b.num_agpr, 0
	.set _ZN9rocsparseL21csrmvt_general_kernelILj256ELj8EiiaaffEEvbbT2_NS_24const_host_device_scalarIT6_EEPKT1_S7_PKS1_PKT3_PKT4_PT5_21rocsparse_index_base_b.numbered_sgpr, 21
	.set _ZN9rocsparseL21csrmvt_general_kernelILj256ELj8EiiaaffEEvbbT2_NS_24const_host_device_scalarIT6_EEPKT1_S7_PKS1_PKT3_PKT4_PT5_21rocsparse_index_base_b.num_named_barrier, 0
	.set _ZN9rocsparseL21csrmvt_general_kernelILj256ELj8EiiaaffEEvbbT2_NS_24const_host_device_scalarIT6_EEPKT1_S7_PKS1_PKT3_PKT4_PT5_21rocsparse_index_base_b.private_seg_size, 0
	.set _ZN9rocsparseL21csrmvt_general_kernelILj256ELj8EiiaaffEEvbbT2_NS_24const_host_device_scalarIT6_EEPKT1_S7_PKS1_PKT3_PKT4_PT5_21rocsparse_index_base_b.uses_vcc, 1
	.set _ZN9rocsparseL21csrmvt_general_kernelILj256ELj8EiiaaffEEvbbT2_NS_24const_host_device_scalarIT6_EEPKT1_S7_PKS1_PKT3_PKT4_PT5_21rocsparse_index_base_b.uses_flat_scratch, 0
	.set _ZN9rocsparseL21csrmvt_general_kernelILj256ELj8EiiaaffEEvbbT2_NS_24const_host_device_scalarIT6_EEPKT1_S7_PKS1_PKT3_PKT4_PT5_21rocsparse_index_base_b.has_dyn_sized_stack, 0
	.set _ZN9rocsparseL21csrmvt_general_kernelILj256ELj8EiiaaffEEvbbT2_NS_24const_host_device_scalarIT6_EEPKT1_S7_PKS1_PKT3_PKT4_PT5_21rocsparse_index_base_b.has_recursion, 0
	.set _ZN9rocsparseL21csrmvt_general_kernelILj256ELj8EiiaaffEEvbbT2_NS_24const_host_device_scalarIT6_EEPKT1_S7_PKS1_PKT3_PKT4_PT5_21rocsparse_index_base_b.has_indirect_call, 0
	.section	.AMDGPU.csdata,"",@progbits
; Kernel info:
; codeLenInByte = 772
; TotalNumSgprs: 23
; NumVgprs: 10
; ScratchSize: 0
; MemoryBound: 0
; FloatMode: 240
; IeeeMode: 1
; LDSByteSize: 0 bytes/workgroup (compile time only)
; SGPRBlocks: 0
; VGPRBlocks: 0
; NumSGPRsForWavesPerEU: 23
; NumVGPRsForWavesPerEU: 10
; NamedBarCnt: 0
; Occupancy: 16
; WaveLimiterHint : 1
; COMPUTE_PGM_RSRC2:SCRATCH_EN: 0
; COMPUTE_PGM_RSRC2:USER_SGPR: 2
; COMPUTE_PGM_RSRC2:TRAP_HANDLER: 0
; COMPUTE_PGM_RSRC2:TGID_X_EN: 1
; COMPUTE_PGM_RSRC2:TGID_Y_EN: 0
; COMPUTE_PGM_RSRC2:TGID_Z_EN: 0
; COMPUTE_PGM_RSRC2:TIDIG_COMP_CNT: 0
	.section	.text._ZN9rocsparseL21csrmvt_general_kernelILj256ELj16EiiaaffEEvbbT2_NS_24const_host_device_scalarIT6_EEPKT1_S7_PKS1_PKT3_PKT4_PT5_21rocsparse_index_base_b,"axG",@progbits,_ZN9rocsparseL21csrmvt_general_kernelILj256ELj16EiiaaffEEvbbT2_NS_24const_host_device_scalarIT6_EEPKT1_S7_PKS1_PKT3_PKT4_PT5_21rocsparse_index_base_b,comdat
	.globl	_ZN9rocsparseL21csrmvt_general_kernelILj256ELj16EiiaaffEEvbbT2_NS_24const_host_device_scalarIT6_EEPKT1_S7_PKS1_PKT3_PKT4_PT5_21rocsparse_index_base_b ; -- Begin function _ZN9rocsparseL21csrmvt_general_kernelILj256ELj16EiiaaffEEvbbT2_NS_24const_host_device_scalarIT6_EEPKT1_S7_PKS1_PKT3_PKT4_PT5_21rocsparse_index_base_b
	.p2align	8
	.type	_ZN9rocsparseL21csrmvt_general_kernelILj256ELj16EiiaaffEEvbbT2_NS_24const_host_device_scalarIT6_EEPKT1_S7_PKS1_PKT3_PKT4_PT5_21rocsparse_index_base_b,@function
_ZN9rocsparseL21csrmvt_general_kernelILj256ELj16EiiaaffEEvbbT2_NS_24const_host_device_scalarIT6_EEPKT1_S7_PKS1_PKT3_PKT4_PT5_21rocsparse_index_base_b: ; @_ZN9rocsparseL21csrmvt_general_kernelILj256ELj16EiiaaffEEvbbT2_NS_24const_host_device_scalarIT6_EEPKT1_S7_PKS1_PKT3_PKT4_PT5_21rocsparse_index_base_b
; %bb.0:
	s_clause 0x1
	s_load_b64 s[2:3], s[0:1], 0x40
	s_load_b128 s[12:15], s[0:1], 0x8
	s_wait_kmcnt 0x0
	s_bitcmp1_b32 s3, 0
	s_cselect_b32 s3, -1, 0
	s_delay_alu instid0(SALU_CYCLE_1)
	s_and_b32 vcc_lo, exec_lo, s3
	s_cbranch_vccnz .LBB173_2
; %bb.1:
	s_load_b32 s12, s[12:13], 0x0
.LBB173_2:
	s_wait_kmcnt 0x0
	s_cmp_eq_f32 s12, 0
	s_cbranch_scc1 .LBB173_20
; %bb.3:
	s_clause 0x3
	s_load_b64 s[16:17], s[0:1], 0x0
	s_load_b32 s3, s[0:1], 0x48
	s_load_b64 s[18:19], s[0:1], 0x38
	s_load_b256 s[4:11], s[0:1], 0x18
	s_wait_xcnt 0x0
	s_bfe_u32 s0, ttmp6, 0x4000c
	s_and_b32 s13, ttmp6, 15
	s_add_co_i32 s0, s0, 1
	s_getreg_b32 s20, hwreg(HW_REG_IB_STS2, 6, 4)
	s_mul_i32 s0, ttmp9, s0
	v_and_b32_e32 v3, 15, v0
	s_add_co_i32 s13, s13, s0
	s_wait_kmcnt 0x0
	s_and_b32 s16, s16, 1
	s_lshl_b32 s1, s3, 4
	s_cmp_eq_u32 s20, 0
	s_mov_b32 s3, -1
	s_cselect_b32 s0, ttmp9, s13
	s_cmp_eq_u32 s16, 0
	v_lshl_or_b32 v1, s0, 8, v0
	s_delay_alu instid0(VALU_DEP_1) | instskip(NEXT) | instid1(VALU_DEP_1)
	v_lshrrev_b32_e32 v2, 4, v1
	v_cmp_gt_i32_e64 s0, s17, v2
	s_cbranch_scc0 .LBB173_11
; %bb.4:
	s_and_saveexec_b32 s3, s0
	s_cbranch_execz .LBB173_10
; %bb.5:
	v_subrev_nc_u32_e32 v4, s2, v3
	v_mov_b32_e32 v0, v2
	s_mov_b32 s13, 0
	s_branch .LBB173_7
.LBB173_6:                              ;   in Loop: Header=BB173_7 Depth=1
	s_or_b32 exec_lo, exec_lo, s16
	v_add_nc_u32_e32 v0, s1, v0
	s_delay_alu instid0(VALU_DEP_1) | instskip(SKIP_1) | instid1(SALU_CYCLE_1)
	v_cmp_le_i32_e32 vcc_lo, s17, v0
	s_or_b32 s13, vcc_lo, s13
	s_and_not1_b32 exec_lo, exec_lo, s13
	s_cbranch_execz .LBB173_10
.LBB173_7:                              ; =>This Loop Header: Depth=1
                                        ;     Child Loop BB173_9 Depth 2
	s_clause 0x1
	global_load_b32 v1, v0, s[4:5] scale_offset
	global_load_b32 v6, v0, s[14:15] scale_offset
	s_mov_b32 s16, exec_lo
	s_wait_loadcnt 0x1
	v_subrev_nc_u32_e32 v5, s2, v1
	s_wait_loadcnt 0x0
	v_add_nc_u32_e32 v6, v6, v4
	s_wait_xcnt 0x0
	s_delay_alu instid0(VALU_DEP_1)
	v_cmpx_lt_i32_e64 v6, v5
	s_cbranch_execz .LBB173_6
; %bb.8:                                ;   in Loop: Header=BB173_7 Depth=1
	v_ashrrev_i32_e32 v1, 31, v0
	s_mov_b32 s20, 0
	s_delay_alu instid0(VALU_DEP_1) | instskip(SKIP_3) | instid1(VALU_DEP_1)
	v_add_nc_u64_e32 v[8:9], s[10:11], v[0:1]
	global_load_i8 v1, v[8:9], off
	s_wait_loadcnt 0x0
	v_cvt_f32_i32_e32 v1, v1
	v_mul_f32_e32 v1, s12, v1
.LBB173_9:                              ;   Parent Loop BB173_7 Depth=1
                                        ; =>  This Inner Loop Header: Depth=2
	s_clause 0x1
	global_load_i8 v7, v6, s[8:9]
	global_load_b32 v8, v6, s[6:7] scale_offset
	s_wait_xcnt 0x0
	v_add_nc_u32_e32 v6, 16, v6
	s_delay_alu instid0(VALU_DEP_1)
	v_cmp_ge_i32_e32 vcc_lo, v6, v5
	s_or_b32 s20, vcc_lo, s20
	s_wait_loadcnt 0x1
	v_cvt_f32_i32_e32 v7, v7
	s_wait_loadcnt 0x0
	v_subrev_nc_u32_e32 v8, s2, v8
	s_delay_alu instid0(VALU_DEP_2)
	v_mul_f32_e32 v7, v1, v7
	global_atomic_add_f32 v8, v7, s[18:19] scale_offset scope:SCOPE_DEV
	s_wait_xcnt 0x0
	s_and_not1_b32 exec_lo, exec_lo, s20
	s_cbranch_execnz .LBB173_9
	s_branch .LBB173_6
.LBB173_10:
	s_or_b32 exec_lo, exec_lo, s3
	s_mov_b32 s3, 0
.LBB173_11:
	s_delay_alu instid0(SALU_CYCLE_1)
	s_and_not1_b32 vcc_lo, exec_lo, s3
	s_cbranch_vccnz .LBB173_20
; %bb.12:
	s_and_saveexec_b32 s3, s0
	s_cbranch_execz .LBB173_20
; %bb.13:
	v_subrev_nc_u32_e32 v4, s2, v3
	s_mov_b32 s0, 0
	s_branch .LBB173_15
.LBB173_14:                             ;   in Loop: Header=BB173_15 Depth=1
	s_or_b32 exec_lo, exec_lo, s3
	v_add_nc_u32_e32 v2, s1, v2
	s_delay_alu instid0(VALU_DEP_1) | instskip(SKIP_1) | instid1(SALU_CYCLE_1)
	v_cmp_le_i32_e32 vcc_lo, s17, v2
	s_or_b32 s0, vcc_lo, s0
	s_and_not1_b32 exec_lo, exec_lo, s0
	s_cbranch_execz .LBB173_20
.LBB173_15:                             ; =>This Loop Header: Depth=1
                                        ;     Child Loop BB173_18 Depth 2
	s_clause 0x1
	global_load_b32 v0, v2, s[4:5] scale_offset
	global_load_b32 v1, v2, s[14:15] scale_offset
	s_mov_b32 s3, exec_lo
	s_wait_loadcnt 0x1
	v_subrev_nc_u32_e32 v5, s2, v0
	s_wait_loadcnt 0x0
	v_add_nc_u32_e32 v0, v1, v4
	s_wait_xcnt 0x0
	s_delay_alu instid0(VALU_DEP_1)
	v_cmpx_lt_i32_e64 v0, v5
	s_cbranch_execz .LBB173_14
; %bb.16:                               ;   in Loop: Header=BB173_15 Depth=1
	v_ashrrev_i32_e32 v3, 31, v2
	s_mov_b32 s13, 0
	s_delay_alu instid0(VALU_DEP_1) | instskip(SKIP_3) | instid1(VALU_DEP_1)
	v_add_nc_u64_e32 v[6:7], s[10:11], v[2:3]
	global_load_i8 v1, v[6:7], off
	s_wait_loadcnt 0x0
	v_cvt_f32_i32_e32 v1, v1
	v_mul_f32_e32 v3, s12, v1
	s_branch .LBB173_18
.LBB173_17:                             ;   in Loop: Header=BB173_18 Depth=2
	s_wait_xcnt 0x0
	s_or_b32 exec_lo, exec_lo, s16
	v_add_nc_u32_e32 v0, 16, v0
	s_delay_alu instid0(VALU_DEP_1) | instskip(SKIP_1) | instid1(SALU_CYCLE_1)
	v_cmp_ge_i32_e32 vcc_lo, v0, v5
	s_or_b32 s13, vcc_lo, s13
	s_and_not1_b32 exec_lo, exec_lo, s13
	s_cbranch_execz .LBB173_14
.LBB173_18:                             ;   Parent Loop BB173_15 Depth=1
                                        ; =>  This Inner Loop Header: Depth=2
	global_load_b32 v1, v0, s[6:7] scale_offset
	s_mov_b32 s16, exec_lo
	s_wait_loadcnt 0x0
	s_wait_xcnt 0x1
	v_subrev_nc_u32_e32 v6, s2, v1
	v_ashrrev_i32_e32 v1, 31, v0
	s_wait_xcnt 0x0
	s_delay_alu instid0(VALU_DEP_2)
	v_cmpx_ne_u32_e64 v6, v2
	s_cbranch_execz .LBB173_17
; %bb.19:                               ;   in Loop: Header=BB173_18 Depth=2
	s_delay_alu instid0(VALU_DEP_2) | instskip(SKIP_3) | instid1(VALU_DEP_1)
	v_add_nc_u64_e32 v[8:9], s[8:9], v[0:1]
	global_load_i8 v1, v[8:9], off
	s_wait_loadcnt 0x0
	v_cvt_f32_i32_e32 v1, v1
	v_mul_f32_e32 v1, v3, v1
	s_wait_xcnt 0x0
	global_atomic_add_f32 v6, v1, s[18:19] scale_offset scope:SCOPE_DEV
	s_branch .LBB173_17
.LBB173_20:
	s_endpgm
	.section	.rodata,"a",@progbits
	.p2align	6, 0x0
	.amdhsa_kernel _ZN9rocsparseL21csrmvt_general_kernelILj256ELj16EiiaaffEEvbbT2_NS_24const_host_device_scalarIT6_EEPKT1_S7_PKS1_PKT3_PKT4_PT5_21rocsparse_index_base_b
		.amdhsa_group_segment_fixed_size 0
		.amdhsa_private_segment_fixed_size 0
		.amdhsa_kernarg_size 328
		.amdhsa_user_sgpr_count 2
		.amdhsa_user_sgpr_dispatch_ptr 0
		.amdhsa_user_sgpr_queue_ptr 0
		.amdhsa_user_sgpr_kernarg_segment_ptr 1
		.amdhsa_user_sgpr_dispatch_id 0
		.amdhsa_user_sgpr_kernarg_preload_length 0
		.amdhsa_user_sgpr_kernarg_preload_offset 0
		.amdhsa_user_sgpr_private_segment_size 0
		.amdhsa_wavefront_size32 1
		.amdhsa_uses_dynamic_stack 0
		.amdhsa_enable_private_segment 0
		.amdhsa_system_sgpr_workgroup_id_x 1
		.amdhsa_system_sgpr_workgroup_id_y 0
		.amdhsa_system_sgpr_workgroup_id_z 0
		.amdhsa_system_sgpr_workgroup_info 0
		.amdhsa_system_vgpr_workitem_id 0
		.amdhsa_next_free_vgpr 10
		.amdhsa_next_free_sgpr 21
		.amdhsa_named_barrier_count 0
		.amdhsa_reserve_vcc 1
		.amdhsa_float_round_mode_32 0
		.amdhsa_float_round_mode_16_64 0
		.amdhsa_float_denorm_mode_32 3
		.amdhsa_float_denorm_mode_16_64 3
		.amdhsa_fp16_overflow 0
		.amdhsa_memory_ordered 1
		.amdhsa_forward_progress 1
		.amdhsa_inst_pref_size 7
		.amdhsa_round_robin_scheduling 0
		.amdhsa_exception_fp_ieee_invalid_op 0
		.amdhsa_exception_fp_denorm_src 0
		.amdhsa_exception_fp_ieee_div_zero 0
		.amdhsa_exception_fp_ieee_overflow 0
		.amdhsa_exception_fp_ieee_underflow 0
		.amdhsa_exception_fp_ieee_inexact 0
		.amdhsa_exception_int_div_zero 0
	.end_amdhsa_kernel
	.section	.text._ZN9rocsparseL21csrmvt_general_kernelILj256ELj16EiiaaffEEvbbT2_NS_24const_host_device_scalarIT6_EEPKT1_S7_PKS1_PKT3_PKT4_PT5_21rocsparse_index_base_b,"axG",@progbits,_ZN9rocsparseL21csrmvt_general_kernelILj256ELj16EiiaaffEEvbbT2_NS_24const_host_device_scalarIT6_EEPKT1_S7_PKS1_PKT3_PKT4_PT5_21rocsparse_index_base_b,comdat
.Lfunc_end173:
	.size	_ZN9rocsparseL21csrmvt_general_kernelILj256ELj16EiiaaffEEvbbT2_NS_24const_host_device_scalarIT6_EEPKT1_S7_PKS1_PKT3_PKT4_PT5_21rocsparse_index_base_b, .Lfunc_end173-_ZN9rocsparseL21csrmvt_general_kernelILj256ELj16EiiaaffEEvbbT2_NS_24const_host_device_scalarIT6_EEPKT1_S7_PKS1_PKT3_PKT4_PT5_21rocsparse_index_base_b
                                        ; -- End function
	.set _ZN9rocsparseL21csrmvt_general_kernelILj256ELj16EiiaaffEEvbbT2_NS_24const_host_device_scalarIT6_EEPKT1_S7_PKS1_PKT3_PKT4_PT5_21rocsparse_index_base_b.num_vgpr, 10
	.set _ZN9rocsparseL21csrmvt_general_kernelILj256ELj16EiiaaffEEvbbT2_NS_24const_host_device_scalarIT6_EEPKT1_S7_PKS1_PKT3_PKT4_PT5_21rocsparse_index_base_b.num_agpr, 0
	.set _ZN9rocsparseL21csrmvt_general_kernelILj256ELj16EiiaaffEEvbbT2_NS_24const_host_device_scalarIT6_EEPKT1_S7_PKS1_PKT3_PKT4_PT5_21rocsparse_index_base_b.numbered_sgpr, 21
	.set _ZN9rocsparseL21csrmvt_general_kernelILj256ELj16EiiaaffEEvbbT2_NS_24const_host_device_scalarIT6_EEPKT1_S7_PKS1_PKT3_PKT4_PT5_21rocsparse_index_base_b.num_named_barrier, 0
	.set _ZN9rocsparseL21csrmvt_general_kernelILj256ELj16EiiaaffEEvbbT2_NS_24const_host_device_scalarIT6_EEPKT1_S7_PKS1_PKT3_PKT4_PT5_21rocsparse_index_base_b.private_seg_size, 0
	.set _ZN9rocsparseL21csrmvt_general_kernelILj256ELj16EiiaaffEEvbbT2_NS_24const_host_device_scalarIT6_EEPKT1_S7_PKS1_PKT3_PKT4_PT5_21rocsparse_index_base_b.uses_vcc, 1
	.set _ZN9rocsparseL21csrmvt_general_kernelILj256ELj16EiiaaffEEvbbT2_NS_24const_host_device_scalarIT6_EEPKT1_S7_PKS1_PKT3_PKT4_PT5_21rocsparse_index_base_b.uses_flat_scratch, 0
	.set _ZN9rocsparseL21csrmvt_general_kernelILj256ELj16EiiaaffEEvbbT2_NS_24const_host_device_scalarIT6_EEPKT1_S7_PKS1_PKT3_PKT4_PT5_21rocsparse_index_base_b.has_dyn_sized_stack, 0
	.set _ZN9rocsparseL21csrmvt_general_kernelILj256ELj16EiiaaffEEvbbT2_NS_24const_host_device_scalarIT6_EEPKT1_S7_PKS1_PKT3_PKT4_PT5_21rocsparse_index_base_b.has_recursion, 0
	.set _ZN9rocsparseL21csrmvt_general_kernelILj256ELj16EiiaaffEEvbbT2_NS_24const_host_device_scalarIT6_EEPKT1_S7_PKS1_PKT3_PKT4_PT5_21rocsparse_index_base_b.has_indirect_call, 0
	.section	.AMDGPU.csdata,"",@progbits
; Kernel info:
; codeLenInByte = 772
; TotalNumSgprs: 23
; NumVgprs: 10
; ScratchSize: 0
; MemoryBound: 0
; FloatMode: 240
; IeeeMode: 1
; LDSByteSize: 0 bytes/workgroup (compile time only)
; SGPRBlocks: 0
; VGPRBlocks: 0
; NumSGPRsForWavesPerEU: 23
; NumVGPRsForWavesPerEU: 10
; NamedBarCnt: 0
; Occupancy: 16
; WaveLimiterHint : 1
; COMPUTE_PGM_RSRC2:SCRATCH_EN: 0
; COMPUTE_PGM_RSRC2:USER_SGPR: 2
; COMPUTE_PGM_RSRC2:TRAP_HANDLER: 0
; COMPUTE_PGM_RSRC2:TGID_X_EN: 1
; COMPUTE_PGM_RSRC2:TGID_Y_EN: 0
; COMPUTE_PGM_RSRC2:TGID_Z_EN: 0
; COMPUTE_PGM_RSRC2:TIDIG_COMP_CNT: 0
	.section	.text._ZN9rocsparseL21csrmvt_general_kernelILj256ELj32EiiaaffEEvbbT2_NS_24const_host_device_scalarIT6_EEPKT1_S7_PKS1_PKT3_PKT4_PT5_21rocsparse_index_base_b,"axG",@progbits,_ZN9rocsparseL21csrmvt_general_kernelILj256ELj32EiiaaffEEvbbT2_NS_24const_host_device_scalarIT6_EEPKT1_S7_PKS1_PKT3_PKT4_PT5_21rocsparse_index_base_b,comdat
	.globl	_ZN9rocsparseL21csrmvt_general_kernelILj256ELj32EiiaaffEEvbbT2_NS_24const_host_device_scalarIT6_EEPKT1_S7_PKS1_PKT3_PKT4_PT5_21rocsparse_index_base_b ; -- Begin function _ZN9rocsparseL21csrmvt_general_kernelILj256ELj32EiiaaffEEvbbT2_NS_24const_host_device_scalarIT6_EEPKT1_S7_PKS1_PKT3_PKT4_PT5_21rocsparse_index_base_b
	.p2align	8
	.type	_ZN9rocsparseL21csrmvt_general_kernelILj256ELj32EiiaaffEEvbbT2_NS_24const_host_device_scalarIT6_EEPKT1_S7_PKS1_PKT3_PKT4_PT5_21rocsparse_index_base_b,@function
_ZN9rocsparseL21csrmvt_general_kernelILj256ELj32EiiaaffEEvbbT2_NS_24const_host_device_scalarIT6_EEPKT1_S7_PKS1_PKT3_PKT4_PT5_21rocsparse_index_base_b: ; @_ZN9rocsparseL21csrmvt_general_kernelILj256ELj32EiiaaffEEvbbT2_NS_24const_host_device_scalarIT6_EEPKT1_S7_PKS1_PKT3_PKT4_PT5_21rocsparse_index_base_b
; %bb.0:
	s_clause 0x1
	s_load_b64 s[2:3], s[0:1], 0x40
	s_load_b128 s[12:15], s[0:1], 0x8
	s_wait_kmcnt 0x0
	s_bitcmp1_b32 s3, 0
	s_cselect_b32 s3, -1, 0
	s_delay_alu instid0(SALU_CYCLE_1)
	s_and_b32 vcc_lo, exec_lo, s3
	s_cbranch_vccnz .LBB174_2
; %bb.1:
	s_load_b32 s12, s[12:13], 0x0
.LBB174_2:
	s_wait_kmcnt 0x0
	s_cmp_eq_f32 s12, 0
	s_cbranch_scc1 .LBB174_20
; %bb.3:
	s_clause 0x3
	s_load_b64 s[16:17], s[0:1], 0x0
	s_load_b32 s3, s[0:1], 0x48
	s_load_b64 s[18:19], s[0:1], 0x38
	s_load_b256 s[4:11], s[0:1], 0x18
	s_wait_xcnt 0x0
	s_bfe_u32 s0, ttmp6, 0x4000c
	s_and_b32 s13, ttmp6, 15
	s_add_co_i32 s0, s0, 1
	s_getreg_b32 s20, hwreg(HW_REG_IB_STS2, 6, 4)
	s_mul_i32 s0, ttmp9, s0
	v_and_b32_e32 v3, 31, v0
	s_add_co_i32 s13, s13, s0
	s_wait_kmcnt 0x0
	s_and_b32 s16, s16, 1
	s_lshl_b32 s1, s3, 3
	s_cmp_eq_u32 s20, 0
	s_mov_b32 s3, -1
	s_cselect_b32 s0, ttmp9, s13
	s_cmp_eq_u32 s16, 0
	v_lshl_or_b32 v1, s0, 8, v0
	s_delay_alu instid0(VALU_DEP_1) | instskip(NEXT) | instid1(VALU_DEP_1)
	v_lshrrev_b32_e32 v2, 5, v1
	v_cmp_gt_i32_e64 s0, s17, v2
	s_cbranch_scc0 .LBB174_11
; %bb.4:
	s_and_saveexec_b32 s3, s0
	s_cbranch_execz .LBB174_10
; %bb.5:
	v_subrev_nc_u32_e32 v4, s2, v3
	v_mov_b32_e32 v0, v2
	s_mov_b32 s13, 0
	s_branch .LBB174_7
.LBB174_6:                              ;   in Loop: Header=BB174_7 Depth=1
	s_or_b32 exec_lo, exec_lo, s16
	v_add_nc_u32_e32 v0, s1, v0
	s_delay_alu instid0(VALU_DEP_1) | instskip(SKIP_1) | instid1(SALU_CYCLE_1)
	v_cmp_le_i32_e32 vcc_lo, s17, v0
	s_or_b32 s13, vcc_lo, s13
	s_and_not1_b32 exec_lo, exec_lo, s13
	s_cbranch_execz .LBB174_10
.LBB174_7:                              ; =>This Loop Header: Depth=1
                                        ;     Child Loop BB174_9 Depth 2
	s_clause 0x1
	global_load_b32 v1, v0, s[4:5] scale_offset
	global_load_b32 v6, v0, s[14:15] scale_offset
	s_mov_b32 s16, exec_lo
	s_wait_loadcnt 0x1
	v_subrev_nc_u32_e32 v5, s2, v1
	s_wait_loadcnt 0x0
	v_add_nc_u32_e32 v6, v6, v4
	s_wait_xcnt 0x0
	s_delay_alu instid0(VALU_DEP_1)
	v_cmpx_lt_i32_e64 v6, v5
	s_cbranch_execz .LBB174_6
; %bb.8:                                ;   in Loop: Header=BB174_7 Depth=1
	v_ashrrev_i32_e32 v1, 31, v0
	s_mov_b32 s20, 0
	s_delay_alu instid0(VALU_DEP_1) | instskip(SKIP_3) | instid1(VALU_DEP_1)
	v_add_nc_u64_e32 v[8:9], s[10:11], v[0:1]
	global_load_i8 v1, v[8:9], off
	s_wait_loadcnt 0x0
	v_cvt_f32_i32_e32 v1, v1
	v_mul_f32_e32 v1, s12, v1
.LBB174_9:                              ;   Parent Loop BB174_7 Depth=1
                                        ; =>  This Inner Loop Header: Depth=2
	s_clause 0x1
	global_load_i8 v7, v6, s[8:9]
	global_load_b32 v8, v6, s[6:7] scale_offset
	s_wait_xcnt 0x0
	v_add_nc_u32_e32 v6, 32, v6
	s_delay_alu instid0(VALU_DEP_1)
	v_cmp_ge_i32_e32 vcc_lo, v6, v5
	s_or_b32 s20, vcc_lo, s20
	s_wait_loadcnt 0x1
	v_cvt_f32_i32_e32 v7, v7
	s_wait_loadcnt 0x0
	v_subrev_nc_u32_e32 v8, s2, v8
	s_delay_alu instid0(VALU_DEP_2)
	v_mul_f32_e32 v7, v1, v7
	global_atomic_add_f32 v8, v7, s[18:19] scale_offset scope:SCOPE_DEV
	s_wait_xcnt 0x0
	s_and_not1_b32 exec_lo, exec_lo, s20
	s_cbranch_execnz .LBB174_9
	s_branch .LBB174_6
.LBB174_10:
	s_or_b32 exec_lo, exec_lo, s3
	s_mov_b32 s3, 0
.LBB174_11:
	s_delay_alu instid0(SALU_CYCLE_1)
	s_and_not1_b32 vcc_lo, exec_lo, s3
	s_cbranch_vccnz .LBB174_20
; %bb.12:
	s_and_saveexec_b32 s3, s0
	s_cbranch_execz .LBB174_20
; %bb.13:
	v_subrev_nc_u32_e32 v4, s2, v3
	s_mov_b32 s0, 0
	s_branch .LBB174_15
.LBB174_14:                             ;   in Loop: Header=BB174_15 Depth=1
	s_or_b32 exec_lo, exec_lo, s3
	v_add_nc_u32_e32 v2, s1, v2
	s_delay_alu instid0(VALU_DEP_1) | instskip(SKIP_1) | instid1(SALU_CYCLE_1)
	v_cmp_le_i32_e32 vcc_lo, s17, v2
	s_or_b32 s0, vcc_lo, s0
	s_and_not1_b32 exec_lo, exec_lo, s0
	s_cbranch_execz .LBB174_20
.LBB174_15:                             ; =>This Loop Header: Depth=1
                                        ;     Child Loop BB174_18 Depth 2
	s_clause 0x1
	global_load_b32 v0, v2, s[4:5] scale_offset
	global_load_b32 v1, v2, s[14:15] scale_offset
	s_mov_b32 s3, exec_lo
	s_wait_loadcnt 0x1
	v_subrev_nc_u32_e32 v5, s2, v0
	s_wait_loadcnt 0x0
	v_add_nc_u32_e32 v0, v1, v4
	s_wait_xcnt 0x0
	s_delay_alu instid0(VALU_DEP_1)
	v_cmpx_lt_i32_e64 v0, v5
	s_cbranch_execz .LBB174_14
; %bb.16:                               ;   in Loop: Header=BB174_15 Depth=1
	v_ashrrev_i32_e32 v3, 31, v2
	s_mov_b32 s13, 0
	s_delay_alu instid0(VALU_DEP_1) | instskip(SKIP_3) | instid1(VALU_DEP_1)
	v_add_nc_u64_e32 v[6:7], s[10:11], v[2:3]
	global_load_i8 v1, v[6:7], off
	s_wait_loadcnt 0x0
	v_cvt_f32_i32_e32 v1, v1
	v_mul_f32_e32 v3, s12, v1
	s_branch .LBB174_18
.LBB174_17:                             ;   in Loop: Header=BB174_18 Depth=2
	s_wait_xcnt 0x0
	s_or_b32 exec_lo, exec_lo, s16
	v_add_nc_u32_e32 v0, 32, v0
	s_delay_alu instid0(VALU_DEP_1) | instskip(SKIP_1) | instid1(SALU_CYCLE_1)
	v_cmp_ge_i32_e32 vcc_lo, v0, v5
	s_or_b32 s13, vcc_lo, s13
	s_and_not1_b32 exec_lo, exec_lo, s13
	s_cbranch_execz .LBB174_14
.LBB174_18:                             ;   Parent Loop BB174_15 Depth=1
                                        ; =>  This Inner Loop Header: Depth=2
	global_load_b32 v1, v0, s[6:7] scale_offset
	s_mov_b32 s16, exec_lo
	s_wait_loadcnt 0x0
	s_wait_xcnt 0x1
	v_subrev_nc_u32_e32 v6, s2, v1
	v_ashrrev_i32_e32 v1, 31, v0
	s_wait_xcnt 0x0
	s_delay_alu instid0(VALU_DEP_2)
	v_cmpx_ne_u32_e64 v6, v2
	s_cbranch_execz .LBB174_17
; %bb.19:                               ;   in Loop: Header=BB174_18 Depth=2
	s_delay_alu instid0(VALU_DEP_2) | instskip(SKIP_3) | instid1(VALU_DEP_1)
	v_add_nc_u64_e32 v[8:9], s[8:9], v[0:1]
	global_load_i8 v1, v[8:9], off
	s_wait_loadcnt 0x0
	v_cvt_f32_i32_e32 v1, v1
	v_mul_f32_e32 v1, v3, v1
	s_wait_xcnt 0x0
	global_atomic_add_f32 v6, v1, s[18:19] scale_offset scope:SCOPE_DEV
	s_branch .LBB174_17
.LBB174_20:
	s_endpgm
	.section	.rodata,"a",@progbits
	.p2align	6, 0x0
	.amdhsa_kernel _ZN9rocsparseL21csrmvt_general_kernelILj256ELj32EiiaaffEEvbbT2_NS_24const_host_device_scalarIT6_EEPKT1_S7_PKS1_PKT3_PKT4_PT5_21rocsparse_index_base_b
		.amdhsa_group_segment_fixed_size 0
		.amdhsa_private_segment_fixed_size 0
		.amdhsa_kernarg_size 328
		.amdhsa_user_sgpr_count 2
		.amdhsa_user_sgpr_dispatch_ptr 0
		.amdhsa_user_sgpr_queue_ptr 0
		.amdhsa_user_sgpr_kernarg_segment_ptr 1
		.amdhsa_user_sgpr_dispatch_id 0
		.amdhsa_user_sgpr_kernarg_preload_length 0
		.amdhsa_user_sgpr_kernarg_preload_offset 0
		.amdhsa_user_sgpr_private_segment_size 0
		.amdhsa_wavefront_size32 1
		.amdhsa_uses_dynamic_stack 0
		.amdhsa_enable_private_segment 0
		.amdhsa_system_sgpr_workgroup_id_x 1
		.amdhsa_system_sgpr_workgroup_id_y 0
		.amdhsa_system_sgpr_workgroup_id_z 0
		.amdhsa_system_sgpr_workgroup_info 0
		.amdhsa_system_vgpr_workitem_id 0
		.amdhsa_next_free_vgpr 10
		.amdhsa_next_free_sgpr 21
		.amdhsa_named_barrier_count 0
		.amdhsa_reserve_vcc 1
		.amdhsa_float_round_mode_32 0
		.amdhsa_float_round_mode_16_64 0
		.amdhsa_float_denorm_mode_32 3
		.amdhsa_float_denorm_mode_16_64 3
		.amdhsa_fp16_overflow 0
		.amdhsa_memory_ordered 1
		.amdhsa_forward_progress 1
		.amdhsa_inst_pref_size 7
		.amdhsa_round_robin_scheduling 0
		.amdhsa_exception_fp_ieee_invalid_op 0
		.amdhsa_exception_fp_denorm_src 0
		.amdhsa_exception_fp_ieee_div_zero 0
		.amdhsa_exception_fp_ieee_overflow 0
		.amdhsa_exception_fp_ieee_underflow 0
		.amdhsa_exception_fp_ieee_inexact 0
		.amdhsa_exception_int_div_zero 0
	.end_amdhsa_kernel
	.section	.text._ZN9rocsparseL21csrmvt_general_kernelILj256ELj32EiiaaffEEvbbT2_NS_24const_host_device_scalarIT6_EEPKT1_S7_PKS1_PKT3_PKT4_PT5_21rocsparse_index_base_b,"axG",@progbits,_ZN9rocsparseL21csrmvt_general_kernelILj256ELj32EiiaaffEEvbbT2_NS_24const_host_device_scalarIT6_EEPKT1_S7_PKS1_PKT3_PKT4_PT5_21rocsparse_index_base_b,comdat
.Lfunc_end174:
	.size	_ZN9rocsparseL21csrmvt_general_kernelILj256ELj32EiiaaffEEvbbT2_NS_24const_host_device_scalarIT6_EEPKT1_S7_PKS1_PKT3_PKT4_PT5_21rocsparse_index_base_b, .Lfunc_end174-_ZN9rocsparseL21csrmvt_general_kernelILj256ELj32EiiaaffEEvbbT2_NS_24const_host_device_scalarIT6_EEPKT1_S7_PKS1_PKT3_PKT4_PT5_21rocsparse_index_base_b
                                        ; -- End function
	.set _ZN9rocsparseL21csrmvt_general_kernelILj256ELj32EiiaaffEEvbbT2_NS_24const_host_device_scalarIT6_EEPKT1_S7_PKS1_PKT3_PKT4_PT5_21rocsparse_index_base_b.num_vgpr, 10
	.set _ZN9rocsparseL21csrmvt_general_kernelILj256ELj32EiiaaffEEvbbT2_NS_24const_host_device_scalarIT6_EEPKT1_S7_PKS1_PKT3_PKT4_PT5_21rocsparse_index_base_b.num_agpr, 0
	.set _ZN9rocsparseL21csrmvt_general_kernelILj256ELj32EiiaaffEEvbbT2_NS_24const_host_device_scalarIT6_EEPKT1_S7_PKS1_PKT3_PKT4_PT5_21rocsparse_index_base_b.numbered_sgpr, 21
	.set _ZN9rocsparseL21csrmvt_general_kernelILj256ELj32EiiaaffEEvbbT2_NS_24const_host_device_scalarIT6_EEPKT1_S7_PKS1_PKT3_PKT4_PT5_21rocsparse_index_base_b.num_named_barrier, 0
	.set _ZN9rocsparseL21csrmvt_general_kernelILj256ELj32EiiaaffEEvbbT2_NS_24const_host_device_scalarIT6_EEPKT1_S7_PKS1_PKT3_PKT4_PT5_21rocsparse_index_base_b.private_seg_size, 0
	.set _ZN9rocsparseL21csrmvt_general_kernelILj256ELj32EiiaaffEEvbbT2_NS_24const_host_device_scalarIT6_EEPKT1_S7_PKS1_PKT3_PKT4_PT5_21rocsparse_index_base_b.uses_vcc, 1
	.set _ZN9rocsparseL21csrmvt_general_kernelILj256ELj32EiiaaffEEvbbT2_NS_24const_host_device_scalarIT6_EEPKT1_S7_PKS1_PKT3_PKT4_PT5_21rocsparse_index_base_b.uses_flat_scratch, 0
	.set _ZN9rocsparseL21csrmvt_general_kernelILj256ELj32EiiaaffEEvbbT2_NS_24const_host_device_scalarIT6_EEPKT1_S7_PKS1_PKT3_PKT4_PT5_21rocsparse_index_base_b.has_dyn_sized_stack, 0
	.set _ZN9rocsparseL21csrmvt_general_kernelILj256ELj32EiiaaffEEvbbT2_NS_24const_host_device_scalarIT6_EEPKT1_S7_PKS1_PKT3_PKT4_PT5_21rocsparse_index_base_b.has_recursion, 0
	.set _ZN9rocsparseL21csrmvt_general_kernelILj256ELj32EiiaaffEEvbbT2_NS_24const_host_device_scalarIT6_EEPKT1_S7_PKS1_PKT3_PKT4_PT5_21rocsparse_index_base_b.has_indirect_call, 0
	.section	.AMDGPU.csdata,"",@progbits
; Kernel info:
; codeLenInByte = 772
; TotalNumSgprs: 23
; NumVgprs: 10
; ScratchSize: 0
; MemoryBound: 0
; FloatMode: 240
; IeeeMode: 1
; LDSByteSize: 0 bytes/workgroup (compile time only)
; SGPRBlocks: 0
; VGPRBlocks: 0
; NumSGPRsForWavesPerEU: 23
; NumVGPRsForWavesPerEU: 10
; NamedBarCnt: 0
; Occupancy: 16
; WaveLimiterHint : 1
; COMPUTE_PGM_RSRC2:SCRATCH_EN: 0
; COMPUTE_PGM_RSRC2:USER_SGPR: 2
; COMPUTE_PGM_RSRC2:TRAP_HANDLER: 0
; COMPUTE_PGM_RSRC2:TGID_X_EN: 1
; COMPUTE_PGM_RSRC2:TGID_Y_EN: 0
; COMPUTE_PGM_RSRC2:TGID_Z_EN: 0
; COMPUTE_PGM_RSRC2:TIDIG_COMP_CNT: 0
	.section	.text._ZN9rocsparseL21csrmvt_general_kernelILj256ELj64EiiaaffEEvbbT2_NS_24const_host_device_scalarIT6_EEPKT1_S7_PKS1_PKT3_PKT4_PT5_21rocsparse_index_base_b,"axG",@progbits,_ZN9rocsparseL21csrmvt_general_kernelILj256ELj64EiiaaffEEvbbT2_NS_24const_host_device_scalarIT6_EEPKT1_S7_PKS1_PKT3_PKT4_PT5_21rocsparse_index_base_b,comdat
	.globl	_ZN9rocsparseL21csrmvt_general_kernelILj256ELj64EiiaaffEEvbbT2_NS_24const_host_device_scalarIT6_EEPKT1_S7_PKS1_PKT3_PKT4_PT5_21rocsparse_index_base_b ; -- Begin function _ZN9rocsparseL21csrmvt_general_kernelILj256ELj64EiiaaffEEvbbT2_NS_24const_host_device_scalarIT6_EEPKT1_S7_PKS1_PKT3_PKT4_PT5_21rocsparse_index_base_b
	.p2align	8
	.type	_ZN9rocsparseL21csrmvt_general_kernelILj256ELj64EiiaaffEEvbbT2_NS_24const_host_device_scalarIT6_EEPKT1_S7_PKS1_PKT3_PKT4_PT5_21rocsparse_index_base_b,@function
_ZN9rocsparseL21csrmvt_general_kernelILj256ELj64EiiaaffEEvbbT2_NS_24const_host_device_scalarIT6_EEPKT1_S7_PKS1_PKT3_PKT4_PT5_21rocsparse_index_base_b: ; @_ZN9rocsparseL21csrmvt_general_kernelILj256ELj64EiiaaffEEvbbT2_NS_24const_host_device_scalarIT6_EEPKT1_S7_PKS1_PKT3_PKT4_PT5_21rocsparse_index_base_b
; %bb.0:
	s_clause 0x1
	s_load_b64 s[2:3], s[0:1], 0x40
	s_load_b128 s[12:15], s[0:1], 0x8
	s_wait_kmcnt 0x0
	s_bitcmp1_b32 s3, 0
	s_cselect_b32 s3, -1, 0
	s_delay_alu instid0(SALU_CYCLE_1)
	s_and_b32 vcc_lo, exec_lo, s3
	s_cbranch_vccnz .LBB175_2
; %bb.1:
	s_load_b32 s12, s[12:13], 0x0
.LBB175_2:
	s_wait_kmcnt 0x0
	s_cmp_eq_f32 s12, 0
	s_cbranch_scc1 .LBB175_20
; %bb.3:
	s_clause 0x3
	s_load_b64 s[16:17], s[0:1], 0x0
	s_load_b32 s3, s[0:1], 0x48
	s_load_b64 s[18:19], s[0:1], 0x38
	s_load_b256 s[4:11], s[0:1], 0x18
	s_wait_xcnt 0x0
	s_bfe_u32 s0, ttmp6, 0x4000c
	s_and_b32 s13, ttmp6, 15
	s_add_co_i32 s0, s0, 1
	s_getreg_b32 s20, hwreg(HW_REG_IB_STS2, 6, 4)
	s_mul_i32 s0, ttmp9, s0
	v_and_b32_e32 v3, 63, v0
	s_add_co_i32 s13, s13, s0
	s_wait_kmcnt 0x0
	s_and_b32 s16, s16, 1
	s_lshl_b32 s1, s3, 2
	s_cmp_eq_u32 s20, 0
	s_mov_b32 s3, -1
	s_cselect_b32 s0, ttmp9, s13
	s_cmp_eq_u32 s16, 0
	v_lshl_or_b32 v1, s0, 8, v0
	s_delay_alu instid0(VALU_DEP_1) | instskip(NEXT) | instid1(VALU_DEP_1)
	v_lshrrev_b32_e32 v2, 6, v1
	v_cmp_gt_i32_e64 s0, s17, v2
	s_cbranch_scc0 .LBB175_11
; %bb.4:
	s_and_saveexec_b32 s3, s0
	s_cbranch_execz .LBB175_10
; %bb.5:
	v_subrev_nc_u32_e32 v4, s2, v3
	v_mov_b32_e32 v0, v2
	s_mov_b32 s13, 0
	s_branch .LBB175_7
.LBB175_6:                              ;   in Loop: Header=BB175_7 Depth=1
	s_or_b32 exec_lo, exec_lo, s16
	v_add_nc_u32_e32 v0, s1, v0
	s_delay_alu instid0(VALU_DEP_1) | instskip(SKIP_1) | instid1(SALU_CYCLE_1)
	v_cmp_le_i32_e32 vcc_lo, s17, v0
	s_or_b32 s13, vcc_lo, s13
	s_and_not1_b32 exec_lo, exec_lo, s13
	s_cbranch_execz .LBB175_10
.LBB175_7:                              ; =>This Loop Header: Depth=1
                                        ;     Child Loop BB175_9 Depth 2
	s_clause 0x1
	global_load_b32 v1, v0, s[4:5] scale_offset
	global_load_b32 v6, v0, s[14:15] scale_offset
	s_mov_b32 s16, exec_lo
	s_wait_loadcnt 0x1
	v_subrev_nc_u32_e32 v5, s2, v1
	s_wait_loadcnt 0x0
	v_add_nc_u32_e32 v6, v6, v4
	s_wait_xcnt 0x0
	s_delay_alu instid0(VALU_DEP_1)
	v_cmpx_lt_i32_e64 v6, v5
	s_cbranch_execz .LBB175_6
; %bb.8:                                ;   in Loop: Header=BB175_7 Depth=1
	v_ashrrev_i32_e32 v1, 31, v0
	s_mov_b32 s20, 0
	s_delay_alu instid0(VALU_DEP_1) | instskip(SKIP_3) | instid1(VALU_DEP_1)
	v_add_nc_u64_e32 v[8:9], s[10:11], v[0:1]
	global_load_i8 v1, v[8:9], off
	s_wait_loadcnt 0x0
	v_cvt_f32_i32_e32 v1, v1
	v_mul_f32_e32 v1, s12, v1
.LBB175_9:                              ;   Parent Loop BB175_7 Depth=1
                                        ; =>  This Inner Loop Header: Depth=2
	s_clause 0x1
	global_load_i8 v7, v6, s[8:9]
	global_load_b32 v8, v6, s[6:7] scale_offset
	s_wait_xcnt 0x0
	v_add_nc_u32_e32 v6, 64, v6
	s_delay_alu instid0(VALU_DEP_1)
	v_cmp_ge_i32_e32 vcc_lo, v6, v5
	s_or_b32 s20, vcc_lo, s20
	s_wait_loadcnt 0x1
	v_cvt_f32_i32_e32 v7, v7
	s_wait_loadcnt 0x0
	v_subrev_nc_u32_e32 v8, s2, v8
	s_delay_alu instid0(VALU_DEP_2)
	v_mul_f32_e32 v7, v1, v7
	global_atomic_add_f32 v8, v7, s[18:19] scale_offset scope:SCOPE_DEV
	s_wait_xcnt 0x0
	s_and_not1_b32 exec_lo, exec_lo, s20
	s_cbranch_execnz .LBB175_9
	s_branch .LBB175_6
.LBB175_10:
	s_or_b32 exec_lo, exec_lo, s3
	s_mov_b32 s3, 0
.LBB175_11:
	s_delay_alu instid0(SALU_CYCLE_1)
	s_and_not1_b32 vcc_lo, exec_lo, s3
	s_cbranch_vccnz .LBB175_20
; %bb.12:
	s_and_saveexec_b32 s3, s0
	s_cbranch_execz .LBB175_20
; %bb.13:
	v_subrev_nc_u32_e32 v4, s2, v3
	s_mov_b32 s0, 0
	s_branch .LBB175_15
.LBB175_14:                             ;   in Loop: Header=BB175_15 Depth=1
	s_or_b32 exec_lo, exec_lo, s3
	v_add_nc_u32_e32 v2, s1, v2
	s_delay_alu instid0(VALU_DEP_1) | instskip(SKIP_1) | instid1(SALU_CYCLE_1)
	v_cmp_le_i32_e32 vcc_lo, s17, v2
	s_or_b32 s0, vcc_lo, s0
	s_and_not1_b32 exec_lo, exec_lo, s0
	s_cbranch_execz .LBB175_20
.LBB175_15:                             ; =>This Loop Header: Depth=1
                                        ;     Child Loop BB175_18 Depth 2
	s_clause 0x1
	global_load_b32 v0, v2, s[4:5] scale_offset
	global_load_b32 v1, v2, s[14:15] scale_offset
	s_mov_b32 s3, exec_lo
	s_wait_loadcnt 0x1
	v_subrev_nc_u32_e32 v5, s2, v0
	s_wait_loadcnt 0x0
	v_add_nc_u32_e32 v0, v1, v4
	s_wait_xcnt 0x0
	s_delay_alu instid0(VALU_DEP_1)
	v_cmpx_lt_i32_e64 v0, v5
	s_cbranch_execz .LBB175_14
; %bb.16:                               ;   in Loop: Header=BB175_15 Depth=1
	v_ashrrev_i32_e32 v3, 31, v2
	s_mov_b32 s13, 0
	s_delay_alu instid0(VALU_DEP_1) | instskip(SKIP_3) | instid1(VALU_DEP_1)
	v_add_nc_u64_e32 v[6:7], s[10:11], v[2:3]
	global_load_i8 v1, v[6:7], off
	s_wait_loadcnt 0x0
	v_cvt_f32_i32_e32 v1, v1
	v_mul_f32_e32 v3, s12, v1
	s_branch .LBB175_18
.LBB175_17:                             ;   in Loop: Header=BB175_18 Depth=2
	s_wait_xcnt 0x0
	s_or_b32 exec_lo, exec_lo, s16
	v_add_nc_u32_e32 v0, 64, v0
	s_delay_alu instid0(VALU_DEP_1) | instskip(SKIP_1) | instid1(SALU_CYCLE_1)
	v_cmp_ge_i32_e32 vcc_lo, v0, v5
	s_or_b32 s13, vcc_lo, s13
	s_and_not1_b32 exec_lo, exec_lo, s13
	s_cbranch_execz .LBB175_14
.LBB175_18:                             ;   Parent Loop BB175_15 Depth=1
                                        ; =>  This Inner Loop Header: Depth=2
	global_load_b32 v1, v0, s[6:7] scale_offset
	s_mov_b32 s16, exec_lo
	s_wait_loadcnt 0x0
	s_wait_xcnt 0x1
	v_subrev_nc_u32_e32 v6, s2, v1
	v_ashrrev_i32_e32 v1, 31, v0
	s_wait_xcnt 0x0
	s_delay_alu instid0(VALU_DEP_2)
	v_cmpx_ne_u32_e64 v6, v2
	s_cbranch_execz .LBB175_17
; %bb.19:                               ;   in Loop: Header=BB175_18 Depth=2
	s_delay_alu instid0(VALU_DEP_2) | instskip(SKIP_3) | instid1(VALU_DEP_1)
	v_add_nc_u64_e32 v[8:9], s[8:9], v[0:1]
	global_load_i8 v1, v[8:9], off
	s_wait_loadcnt 0x0
	v_cvt_f32_i32_e32 v1, v1
	v_mul_f32_e32 v1, v3, v1
	s_wait_xcnt 0x0
	global_atomic_add_f32 v6, v1, s[18:19] scale_offset scope:SCOPE_DEV
	s_branch .LBB175_17
.LBB175_20:
	s_endpgm
	.section	.rodata,"a",@progbits
	.p2align	6, 0x0
	.amdhsa_kernel _ZN9rocsparseL21csrmvt_general_kernelILj256ELj64EiiaaffEEvbbT2_NS_24const_host_device_scalarIT6_EEPKT1_S7_PKS1_PKT3_PKT4_PT5_21rocsparse_index_base_b
		.amdhsa_group_segment_fixed_size 0
		.amdhsa_private_segment_fixed_size 0
		.amdhsa_kernarg_size 328
		.amdhsa_user_sgpr_count 2
		.amdhsa_user_sgpr_dispatch_ptr 0
		.amdhsa_user_sgpr_queue_ptr 0
		.amdhsa_user_sgpr_kernarg_segment_ptr 1
		.amdhsa_user_sgpr_dispatch_id 0
		.amdhsa_user_sgpr_kernarg_preload_length 0
		.amdhsa_user_sgpr_kernarg_preload_offset 0
		.amdhsa_user_sgpr_private_segment_size 0
		.amdhsa_wavefront_size32 1
		.amdhsa_uses_dynamic_stack 0
		.amdhsa_enable_private_segment 0
		.amdhsa_system_sgpr_workgroup_id_x 1
		.amdhsa_system_sgpr_workgroup_id_y 0
		.amdhsa_system_sgpr_workgroup_id_z 0
		.amdhsa_system_sgpr_workgroup_info 0
		.amdhsa_system_vgpr_workitem_id 0
		.amdhsa_next_free_vgpr 10
		.amdhsa_next_free_sgpr 21
		.amdhsa_named_barrier_count 0
		.amdhsa_reserve_vcc 1
		.amdhsa_float_round_mode_32 0
		.amdhsa_float_round_mode_16_64 0
		.amdhsa_float_denorm_mode_32 3
		.amdhsa_float_denorm_mode_16_64 3
		.amdhsa_fp16_overflow 0
		.amdhsa_memory_ordered 1
		.amdhsa_forward_progress 1
		.amdhsa_inst_pref_size 7
		.amdhsa_round_robin_scheduling 0
		.amdhsa_exception_fp_ieee_invalid_op 0
		.amdhsa_exception_fp_denorm_src 0
		.amdhsa_exception_fp_ieee_div_zero 0
		.amdhsa_exception_fp_ieee_overflow 0
		.amdhsa_exception_fp_ieee_underflow 0
		.amdhsa_exception_fp_ieee_inexact 0
		.amdhsa_exception_int_div_zero 0
	.end_amdhsa_kernel
	.section	.text._ZN9rocsparseL21csrmvt_general_kernelILj256ELj64EiiaaffEEvbbT2_NS_24const_host_device_scalarIT6_EEPKT1_S7_PKS1_PKT3_PKT4_PT5_21rocsparse_index_base_b,"axG",@progbits,_ZN9rocsparseL21csrmvt_general_kernelILj256ELj64EiiaaffEEvbbT2_NS_24const_host_device_scalarIT6_EEPKT1_S7_PKS1_PKT3_PKT4_PT5_21rocsparse_index_base_b,comdat
.Lfunc_end175:
	.size	_ZN9rocsparseL21csrmvt_general_kernelILj256ELj64EiiaaffEEvbbT2_NS_24const_host_device_scalarIT6_EEPKT1_S7_PKS1_PKT3_PKT4_PT5_21rocsparse_index_base_b, .Lfunc_end175-_ZN9rocsparseL21csrmvt_general_kernelILj256ELj64EiiaaffEEvbbT2_NS_24const_host_device_scalarIT6_EEPKT1_S7_PKS1_PKT3_PKT4_PT5_21rocsparse_index_base_b
                                        ; -- End function
	.set _ZN9rocsparseL21csrmvt_general_kernelILj256ELj64EiiaaffEEvbbT2_NS_24const_host_device_scalarIT6_EEPKT1_S7_PKS1_PKT3_PKT4_PT5_21rocsparse_index_base_b.num_vgpr, 10
	.set _ZN9rocsparseL21csrmvt_general_kernelILj256ELj64EiiaaffEEvbbT2_NS_24const_host_device_scalarIT6_EEPKT1_S7_PKS1_PKT3_PKT4_PT5_21rocsparse_index_base_b.num_agpr, 0
	.set _ZN9rocsparseL21csrmvt_general_kernelILj256ELj64EiiaaffEEvbbT2_NS_24const_host_device_scalarIT6_EEPKT1_S7_PKS1_PKT3_PKT4_PT5_21rocsparse_index_base_b.numbered_sgpr, 21
	.set _ZN9rocsparseL21csrmvt_general_kernelILj256ELj64EiiaaffEEvbbT2_NS_24const_host_device_scalarIT6_EEPKT1_S7_PKS1_PKT3_PKT4_PT5_21rocsparse_index_base_b.num_named_barrier, 0
	.set _ZN9rocsparseL21csrmvt_general_kernelILj256ELj64EiiaaffEEvbbT2_NS_24const_host_device_scalarIT6_EEPKT1_S7_PKS1_PKT3_PKT4_PT5_21rocsparse_index_base_b.private_seg_size, 0
	.set _ZN9rocsparseL21csrmvt_general_kernelILj256ELj64EiiaaffEEvbbT2_NS_24const_host_device_scalarIT6_EEPKT1_S7_PKS1_PKT3_PKT4_PT5_21rocsparse_index_base_b.uses_vcc, 1
	.set _ZN9rocsparseL21csrmvt_general_kernelILj256ELj64EiiaaffEEvbbT2_NS_24const_host_device_scalarIT6_EEPKT1_S7_PKS1_PKT3_PKT4_PT5_21rocsparse_index_base_b.uses_flat_scratch, 0
	.set _ZN9rocsparseL21csrmvt_general_kernelILj256ELj64EiiaaffEEvbbT2_NS_24const_host_device_scalarIT6_EEPKT1_S7_PKS1_PKT3_PKT4_PT5_21rocsparse_index_base_b.has_dyn_sized_stack, 0
	.set _ZN9rocsparseL21csrmvt_general_kernelILj256ELj64EiiaaffEEvbbT2_NS_24const_host_device_scalarIT6_EEPKT1_S7_PKS1_PKT3_PKT4_PT5_21rocsparse_index_base_b.has_recursion, 0
	.set _ZN9rocsparseL21csrmvt_general_kernelILj256ELj64EiiaaffEEvbbT2_NS_24const_host_device_scalarIT6_EEPKT1_S7_PKS1_PKT3_PKT4_PT5_21rocsparse_index_base_b.has_indirect_call, 0
	.section	.AMDGPU.csdata,"",@progbits
; Kernel info:
; codeLenInByte = 772
; TotalNumSgprs: 23
; NumVgprs: 10
; ScratchSize: 0
; MemoryBound: 0
; FloatMode: 240
; IeeeMode: 1
; LDSByteSize: 0 bytes/workgroup (compile time only)
; SGPRBlocks: 0
; VGPRBlocks: 0
; NumSGPRsForWavesPerEU: 23
; NumVGPRsForWavesPerEU: 10
; NamedBarCnt: 0
; Occupancy: 16
; WaveLimiterHint : 1
; COMPUTE_PGM_RSRC2:SCRATCH_EN: 0
; COMPUTE_PGM_RSRC2:USER_SGPR: 2
; COMPUTE_PGM_RSRC2:TRAP_HANDLER: 0
; COMPUTE_PGM_RSRC2:TGID_X_EN: 1
; COMPUTE_PGM_RSRC2:TGID_Y_EN: 0
; COMPUTE_PGM_RSRC2:TGID_Z_EN: 0
; COMPUTE_PGM_RSRC2:TIDIG_COMP_CNT: 0
	.section	.text._ZN9rocsparseL21csrmvn_general_kernelILj256ELj2EliaaffEEvbT2_NS_24const_host_device_scalarIT6_EEPKT1_S7_PKS1_PKT3_PKT4_S4_PT5_21rocsparse_index_base_b,"axG",@progbits,_ZN9rocsparseL21csrmvn_general_kernelILj256ELj2EliaaffEEvbT2_NS_24const_host_device_scalarIT6_EEPKT1_S7_PKS1_PKT3_PKT4_S4_PT5_21rocsparse_index_base_b,comdat
	.globl	_ZN9rocsparseL21csrmvn_general_kernelILj256ELj2EliaaffEEvbT2_NS_24const_host_device_scalarIT6_EEPKT1_S7_PKS1_PKT3_PKT4_S4_PT5_21rocsparse_index_base_b ; -- Begin function _ZN9rocsparseL21csrmvn_general_kernelILj256ELj2EliaaffEEvbT2_NS_24const_host_device_scalarIT6_EEPKT1_S7_PKS1_PKT3_PKT4_S4_PT5_21rocsparse_index_base_b
	.p2align	8
	.type	_ZN9rocsparseL21csrmvn_general_kernelILj256ELj2EliaaffEEvbT2_NS_24const_host_device_scalarIT6_EEPKT1_S7_PKS1_PKT3_PKT4_S4_PT5_21rocsparse_index_base_b,@function
_ZN9rocsparseL21csrmvn_general_kernelILj256ELj2EliaaffEEvbT2_NS_24const_host_device_scalarIT6_EEPKT1_S7_PKS1_PKT3_PKT4_S4_PT5_21rocsparse_index_base_b: ; @_ZN9rocsparseL21csrmvn_general_kernelILj256ELj2EliaaffEEvbT2_NS_24const_host_device_scalarIT6_EEPKT1_S7_PKS1_PKT3_PKT4_S4_PT5_21rocsparse_index_base_b
; %bb.0:
	s_clause 0x2
	s_load_b64 s[2:3], s[0:1], 0x48
	s_load_b128 s[12:15], s[0:1], 0x8
	s_load_b64 s[16:17], s[0:1], 0x38
	s_wait_kmcnt 0x0
	s_bitcmp1_b32 s3, 0
	s_cselect_b32 s3, -1, 0
	s_delay_alu instid0(SALU_CYCLE_1)
	s_and_b32 vcc_lo, exec_lo, s3
	s_xor_b32 s3, s3, -1
	s_cbranch_vccnz .LBB176_2
; %bb.1:
	s_load_b32 s12, s[12:13], 0x0
.LBB176_2:
	s_and_not1_b32 vcc_lo, exec_lo, s3
	s_cbranch_vccnz .LBB176_4
; %bb.3:
	s_load_b32 s16, s[16:17], 0x0
.LBB176_4:
	s_wait_kmcnt 0x0
	s_cmp_neq_f32 s12, 0
	s_cselect_b32 s3, -1, 0
	s_cmp_neq_f32 s16, 1.0
	s_cselect_b32 s4, -1, 0
	s_delay_alu instid0(SALU_CYCLE_1) | instskip(NEXT) | instid1(SALU_CYCLE_1)
	s_or_b32 s3, s3, s4
	s_and_not1_b32 vcc_lo, exec_lo, s3
	s_cbranch_vccnz .LBB176_16
; %bb.5:
	s_bfe_u32 s3, ttmp6, 0x4000c
	s_load_b32 s13, s[0:1], 0x4
	s_add_co_i32 s3, s3, 1
	s_and_b32 s4, ttmp6, 15
	s_mul_i32 s3, ttmp9, s3
	s_getreg_b32 s5, hwreg(HW_REG_IB_STS2, 6, 4)
	s_add_co_i32 s4, s4, s3
	s_cmp_eq_u32 s5, 0
	s_cselect_b32 s3, ttmp9, s4
	s_delay_alu instid0(SALU_CYCLE_1) | instskip(SKIP_1) | instid1(VALU_DEP_1)
	v_lshl_or_b32 v1, s3, 8, v0
	s_mov_b32 s3, exec_lo
	v_lshrrev_b32_e32 v2, 1, v1
	s_wait_kmcnt 0x0
	s_delay_alu instid0(VALU_DEP_1)
	v_cmpx_gt_i32_e64 s13, v2
	s_cbranch_execz .LBB176_16
; %bb.6:
	s_clause 0x1
	s_load_b32 s17, s[0:1], 0x50
	s_load_b256 s[4:11], s[0:1], 0x18
	v_mbcnt_lo_u32_b32 v1, -1, 0
	s_load_b64 s[18:19], s[0:1], 0x40
	v_dual_mov_b32 v5, 0 :: v_dual_bitop2_b32 v4, 1, v0 bitop3:0x40
	s_mov_b32 s3, 0
	s_delay_alu instid0(VALU_DEP_2) | instskip(SKIP_3) | instid1(SALU_CYCLE_1)
	v_xor_b32_e32 v0, 1, v1
	s_wait_xcnt 0x0
	s_ashr_i32 s1, s2, 31
	s_mov_b32 s0, s2
	s_sub_nc_u64 s[20:21], 0, s[0:1]
	v_cmp_gt_i32_e32 vcc_lo, 32, v0
	v_cmp_eq_u32_e64 s0, 1, v4
	v_cndmask_b32_e32 v3, v1, v0, vcc_lo
	v_sub_nc_u64_e64 v[0:1], v[4:5], s[2:3]
	s_wait_kmcnt 0x0
	s_lshl_b32 s1, s17, 7
	s_cmp_neq_f32 s16, 0
	v_lshlrev_b32_e32 v10, 2, v3
	s_add_nc_u64 s[10:11], s[10:11], s[20:21]
	s_mov_b32 s20, s3
	s_cselect_b32 s17, -1, 0
	s_branch .LBB176_9
.LBB176_7:                              ;   in Loop: Header=BB176_9 Depth=1
	global_store_b32 v[4:5], v6, off
.LBB176_8:                              ;   in Loop: Header=BB176_9 Depth=1
	s_wait_xcnt 0x0
	s_or_b32 exec_lo, exec_lo, s21
	v_add_nc_u32_e32 v2, s1, v2
	s_delay_alu instid0(VALU_DEP_1) | instskip(SKIP_1) | instid1(SALU_CYCLE_1)
	v_cmp_le_i32_e32 vcc_lo, s13, v2
	s_or_b32 s20, vcc_lo, s20
	s_and_not1_b32 exec_lo, exec_lo, s20
	s_cbranch_execz .LBB176_16
.LBB176_9:                              ; =>This Loop Header: Depth=1
                                        ;     Child Loop BB176_11 Depth 2
	s_wait_dscnt 0x0
	s_clause 0x1
	global_load_b64 v[4:5], v2, s[4:5] scale_offset
	global_load_b64 v[6:7], v2, s[14:15] scale_offset
	v_mov_b32_e32 v11, 0
	s_mov_b32 s21, exec_lo
	s_wait_loadcnt 0x1
	v_sub_nc_u64_e64 v[4:5], v[4:5], s[2:3]
	s_wait_loadcnt 0x0
	v_add_nc_u64_e32 v[6:7], v[6:7], v[0:1]
	s_wait_xcnt 0x0
	s_delay_alu instid0(VALU_DEP_1)
	v_cmpx_lt_i64_e64 v[6:7], v[4:5]
	s_cbranch_execz .LBB176_13
; %bb.10:                               ;   in Loop: Header=BB176_9 Depth=1
	v_lshl_add_u64 v[8:9], v[6:7], 2, s[6:7]
	v_mov_b32_e32 v11, 0
	s_mov_b32 s22, 0
.LBB176_11:                             ;   Parent Loop BB176_9 Depth=1
                                        ; =>  This Inner Loop Header: Depth=2
	global_load_b32 v3, v[8:9], off
	v_add_nc_u64_e32 v[12:13], s[8:9], v[6:7]
	v_add_nc_u64_e32 v[6:7], 2, v[6:7]
	s_wait_xcnt 0x0
	v_add_nc_u64_e32 v[8:9], 8, v[8:9]
	global_load_i8 v14, v[12:13], off
	s_wait_loadcnt 0x1
	global_load_i8 v15, v3, s[10:11]
	v_cmp_ge_i64_e32 vcc_lo, v[6:7], v[4:5]
	s_or_b32 s22, vcc_lo, s22
	s_wait_loadcnt 0x1
	s_wait_xcnt 0x0
	v_cvt_f32_i32_e32 v3, v14
	s_wait_loadcnt 0x0
	v_cvt_f32_i32_e32 v12, v15
	s_delay_alu instid0(VALU_DEP_2) | instskip(NEXT) | instid1(VALU_DEP_1)
	v_mul_f32_e32 v3, s12, v3
	v_fmac_f32_e32 v11, v3, v12
	s_and_not1_b32 exec_lo, exec_lo, s22
	s_cbranch_execnz .LBB176_11
; %bb.12:                               ;   in Loop: Header=BB176_9 Depth=1
	s_or_b32 exec_lo, exec_lo, s22
.LBB176_13:                             ;   in Loop: Header=BB176_9 Depth=1
	s_delay_alu instid0(SALU_CYCLE_1)
	s_or_b32 exec_lo, exec_lo, s21
	ds_bpermute_b32 v4, v10, v11
	v_ashrrev_i32_e32 v3, 31, v2
	s_and_saveexec_b32 s21, s0
	s_cbranch_execz .LBB176_8
; %bb.14:                               ;   in Loop: Header=BB176_9 Depth=1
	s_wait_dscnt 0x0
	v_add_f32_e32 v6, v11, v4
	v_lshl_add_u64 v[4:5], v[2:3], 2, s[18:19]
	s_and_not1_b32 vcc_lo, exec_lo, s17
	s_cbranch_vccnz .LBB176_7
; %bb.15:                               ;   in Loop: Header=BB176_9 Depth=1
	global_load_b32 v3, v[4:5], off
	s_wait_loadcnt 0x0
	v_fmac_f32_e32 v6, s16, v3
	s_branch .LBB176_7
.LBB176_16:
	s_endpgm
	.section	.rodata,"a",@progbits
	.p2align	6, 0x0
	.amdhsa_kernel _ZN9rocsparseL21csrmvn_general_kernelILj256ELj2EliaaffEEvbT2_NS_24const_host_device_scalarIT6_EEPKT1_S7_PKS1_PKT3_PKT4_S4_PT5_21rocsparse_index_base_b
		.amdhsa_group_segment_fixed_size 0
		.amdhsa_private_segment_fixed_size 0
		.amdhsa_kernarg_size 336
		.amdhsa_user_sgpr_count 2
		.amdhsa_user_sgpr_dispatch_ptr 0
		.amdhsa_user_sgpr_queue_ptr 0
		.amdhsa_user_sgpr_kernarg_segment_ptr 1
		.amdhsa_user_sgpr_dispatch_id 0
		.amdhsa_user_sgpr_kernarg_preload_length 0
		.amdhsa_user_sgpr_kernarg_preload_offset 0
		.amdhsa_user_sgpr_private_segment_size 0
		.amdhsa_wavefront_size32 1
		.amdhsa_uses_dynamic_stack 0
		.amdhsa_enable_private_segment 0
		.amdhsa_system_sgpr_workgroup_id_x 1
		.amdhsa_system_sgpr_workgroup_id_y 0
		.amdhsa_system_sgpr_workgroup_id_z 0
		.amdhsa_system_sgpr_workgroup_info 0
		.amdhsa_system_vgpr_workitem_id 0
		.amdhsa_next_free_vgpr 16
		.amdhsa_next_free_sgpr 23
		.amdhsa_named_barrier_count 0
		.amdhsa_reserve_vcc 1
		.amdhsa_float_round_mode_32 0
		.amdhsa_float_round_mode_16_64 0
		.amdhsa_float_denorm_mode_32 3
		.amdhsa_float_denorm_mode_16_64 3
		.amdhsa_fp16_overflow 0
		.amdhsa_memory_ordered 1
		.amdhsa_forward_progress 1
		.amdhsa_inst_pref_size 6
		.amdhsa_round_robin_scheduling 0
		.amdhsa_exception_fp_ieee_invalid_op 0
		.amdhsa_exception_fp_denorm_src 0
		.amdhsa_exception_fp_ieee_div_zero 0
		.amdhsa_exception_fp_ieee_overflow 0
		.amdhsa_exception_fp_ieee_underflow 0
		.amdhsa_exception_fp_ieee_inexact 0
		.amdhsa_exception_int_div_zero 0
	.end_amdhsa_kernel
	.section	.text._ZN9rocsparseL21csrmvn_general_kernelILj256ELj2EliaaffEEvbT2_NS_24const_host_device_scalarIT6_EEPKT1_S7_PKS1_PKT3_PKT4_S4_PT5_21rocsparse_index_base_b,"axG",@progbits,_ZN9rocsparseL21csrmvn_general_kernelILj256ELj2EliaaffEEvbT2_NS_24const_host_device_scalarIT6_EEPKT1_S7_PKS1_PKT3_PKT4_S4_PT5_21rocsparse_index_base_b,comdat
.Lfunc_end176:
	.size	_ZN9rocsparseL21csrmvn_general_kernelILj256ELj2EliaaffEEvbT2_NS_24const_host_device_scalarIT6_EEPKT1_S7_PKS1_PKT3_PKT4_S4_PT5_21rocsparse_index_base_b, .Lfunc_end176-_ZN9rocsparseL21csrmvn_general_kernelILj256ELj2EliaaffEEvbT2_NS_24const_host_device_scalarIT6_EEPKT1_S7_PKS1_PKT3_PKT4_S4_PT5_21rocsparse_index_base_b
                                        ; -- End function
	.set _ZN9rocsparseL21csrmvn_general_kernelILj256ELj2EliaaffEEvbT2_NS_24const_host_device_scalarIT6_EEPKT1_S7_PKS1_PKT3_PKT4_S4_PT5_21rocsparse_index_base_b.num_vgpr, 16
	.set _ZN9rocsparseL21csrmvn_general_kernelILj256ELj2EliaaffEEvbT2_NS_24const_host_device_scalarIT6_EEPKT1_S7_PKS1_PKT3_PKT4_S4_PT5_21rocsparse_index_base_b.num_agpr, 0
	.set _ZN9rocsparseL21csrmvn_general_kernelILj256ELj2EliaaffEEvbT2_NS_24const_host_device_scalarIT6_EEPKT1_S7_PKS1_PKT3_PKT4_S4_PT5_21rocsparse_index_base_b.numbered_sgpr, 23
	.set _ZN9rocsparseL21csrmvn_general_kernelILj256ELj2EliaaffEEvbT2_NS_24const_host_device_scalarIT6_EEPKT1_S7_PKS1_PKT3_PKT4_S4_PT5_21rocsparse_index_base_b.num_named_barrier, 0
	.set _ZN9rocsparseL21csrmvn_general_kernelILj256ELj2EliaaffEEvbT2_NS_24const_host_device_scalarIT6_EEPKT1_S7_PKS1_PKT3_PKT4_S4_PT5_21rocsparse_index_base_b.private_seg_size, 0
	.set _ZN9rocsparseL21csrmvn_general_kernelILj256ELj2EliaaffEEvbT2_NS_24const_host_device_scalarIT6_EEPKT1_S7_PKS1_PKT3_PKT4_S4_PT5_21rocsparse_index_base_b.uses_vcc, 1
	.set _ZN9rocsparseL21csrmvn_general_kernelILj256ELj2EliaaffEEvbT2_NS_24const_host_device_scalarIT6_EEPKT1_S7_PKS1_PKT3_PKT4_S4_PT5_21rocsparse_index_base_b.uses_flat_scratch, 0
	.set _ZN9rocsparseL21csrmvn_general_kernelILj256ELj2EliaaffEEvbT2_NS_24const_host_device_scalarIT6_EEPKT1_S7_PKS1_PKT3_PKT4_S4_PT5_21rocsparse_index_base_b.has_dyn_sized_stack, 0
	.set _ZN9rocsparseL21csrmvn_general_kernelILj256ELj2EliaaffEEvbT2_NS_24const_host_device_scalarIT6_EEPKT1_S7_PKS1_PKT3_PKT4_S4_PT5_21rocsparse_index_base_b.has_recursion, 0
	.set _ZN9rocsparseL21csrmvn_general_kernelILj256ELj2EliaaffEEvbT2_NS_24const_host_device_scalarIT6_EEPKT1_S7_PKS1_PKT3_PKT4_S4_PT5_21rocsparse_index_base_b.has_indirect_call, 0
	.section	.AMDGPU.csdata,"",@progbits
; Kernel info:
; codeLenInByte = 660
; TotalNumSgprs: 25
; NumVgprs: 16
; ScratchSize: 0
; MemoryBound: 0
; FloatMode: 240
; IeeeMode: 1
; LDSByteSize: 0 bytes/workgroup (compile time only)
; SGPRBlocks: 0
; VGPRBlocks: 0
; NumSGPRsForWavesPerEU: 25
; NumVGPRsForWavesPerEU: 16
; NamedBarCnt: 0
; Occupancy: 16
; WaveLimiterHint : 1
; COMPUTE_PGM_RSRC2:SCRATCH_EN: 0
; COMPUTE_PGM_RSRC2:USER_SGPR: 2
; COMPUTE_PGM_RSRC2:TRAP_HANDLER: 0
; COMPUTE_PGM_RSRC2:TGID_X_EN: 1
; COMPUTE_PGM_RSRC2:TGID_Y_EN: 0
; COMPUTE_PGM_RSRC2:TGID_Z_EN: 0
; COMPUTE_PGM_RSRC2:TIDIG_COMP_CNT: 0
	.section	.text._ZN9rocsparseL21csrmvn_general_kernelILj256ELj4EliaaffEEvbT2_NS_24const_host_device_scalarIT6_EEPKT1_S7_PKS1_PKT3_PKT4_S4_PT5_21rocsparse_index_base_b,"axG",@progbits,_ZN9rocsparseL21csrmvn_general_kernelILj256ELj4EliaaffEEvbT2_NS_24const_host_device_scalarIT6_EEPKT1_S7_PKS1_PKT3_PKT4_S4_PT5_21rocsparse_index_base_b,comdat
	.globl	_ZN9rocsparseL21csrmvn_general_kernelILj256ELj4EliaaffEEvbT2_NS_24const_host_device_scalarIT6_EEPKT1_S7_PKS1_PKT3_PKT4_S4_PT5_21rocsparse_index_base_b ; -- Begin function _ZN9rocsparseL21csrmvn_general_kernelILj256ELj4EliaaffEEvbT2_NS_24const_host_device_scalarIT6_EEPKT1_S7_PKS1_PKT3_PKT4_S4_PT5_21rocsparse_index_base_b
	.p2align	8
	.type	_ZN9rocsparseL21csrmvn_general_kernelILj256ELj4EliaaffEEvbT2_NS_24const_host_device_scalarIT6_EEPKT1_S7_PKS1_PKT3_PKT4_S4_PT5_21rocsparse_index_base_b,@function
_ZN9rocsparseL21csrmvn_general_kernelILj256ELj4EliaaffEEvbT2_NS_24const_host_device_scalarIT6_EEPKT1_S7_PKS1_PKT3_PKT4_S4_PT5_21rocsparse_index_base_b: ; @_ZN9rocsparseL21csrmvn_general_kernelILj256ELj4EliaaffEEvbT2_NS_24const_host_device_scalarIT6_EEPKT1_S7_PKS1_PKT3_PKT4_S4_PT5_21rocsparse_index_base_b
; %bb.0:
	s_clause 0x2
	s_load_b64 s[2:3], s[0:1], 0x48
	s_load_b128 s[12:15], s[0:1], 0x8
	s_load_b64 s[16:17], s[0:1], 0x38
	s_wait_kmcnt 0x0
	s_bitcmp1_b32 s3, 0
	s_cselect_b32 s3, -1, 0
	s_delay_alu instid0(SALU_CYCLE_1)
	s_and_b32 vcc_lo, exec_lo, s3
	s_xor_b32 s3, s3, -1
	s_cbranch_vccnz .LBB177_2
; %bb.1:
	s_load_b32 s12, s[12:13], 0x0
.LBB177_2:
	s_and_not1_b32 vcc_lo, exec_lo, s3
	s_cbranch_vccnz .LBB177_4
; %bb.3:
	s_load_b32 s16, s[16:17], 0x0
.LBB177_4:
	s_wait_kmcnt 0x0
	s_cmp_neq_f32 s12, 0
	s_cselect_b32 s3, -1, 0
	s_cmp_neq_f32 s16, 1.0
	s_cselect_b32 s4, -1, 0
	s_delay_alu instid0(SALU_CYCLE_1) | instskip(NEXT) | instid1(SALU_CYCLE_1)
	s_or_b32 s3, s3, s4
	s_and_not1_b32 vcc_lo, exec_lo, s3
	s_cbranch_vccnz .LBB177_16
; %bb.5:
	s_bfe_u32 s3, ttmp6, 0x4000c
	s_load_b32 s13, s[0:1], 0x4
	s_add_co_i32 s3, s3, 1
	s_and_b32 s4, ttmp6, 15
	s_mul_i32 s3, ttmp9, s3
	s_getreg_b32 s5, hwreg(HW_REG_IB_STS2, 6, 4)
	s_add_co_i32 s4, s4, s3
	s_cmp_eq_u32 s5, 0
	s_cselect_b32 s3, ttmp9, s4
	s_delay_alu instid0(SALU_CYCLE_1) | instskip(SKIP_1) | instid1(VALU_DEP_1)
	v_lshl_or_b32 v1, s3, 8, v0
	s_mov_b32 s3, exec_lo
	v_lshrrev_b32_e32 v2, 2, v1
	s_wait_kmcnt 0x0
	s_delay_alu instid0(VALU_DEP_1)
	v_cmpx_gt_i32_e64 s13, v2
	s_cbranch_execz .LBB177_16
; %bb.6:
	v_mbcnt_lo_u32_b32 v3, -1, 0
	s_clause 0x2
	s_load_b32 s17, s[0:1], 0x50
	s_load_b64 s[18:19], s[0:1], 0x40
	s_load_b256 s[4:11], s[0:1], 0x18
	v_dual_mov_b32 v5, 0 :: v_dual_bitop2_b32 v4, 3, v0 bitop3:0x40
	s_mov_b32 s3, 0
	v_xor_b32_e32 v6, 2, v3
	s_wait_xcnt 0x0
	s_ashr_i32 s1, s2, 31
	s_mov_b32 s0, s2
	v_sub_nc_u64_e64 v[0:1], v[4:5], s[2:3]
	s_sub_nc_u64 s[20:21], 0, s[0:1]
	v_cmp_gt_i32_e32 vcc_lo, 32, v6
	v_xor_b32_e32 v7, 1, v3
	v_cmp_eq_u32_e64 s0, 3, v4
	v_cndmask_b32_e32 v5, v3, v6, vcc_lo
	s_delay_alu instid0(VALU_DEP_3)
	v_cmp_gt_i32_e32 vcc_lo, 32, v7
	s_wait_kmcnt 0x0
	s_lshl_b32 s1, s17, 6
	s_cmp_neq_f32 s16, 0
	v_dual_cndmask_b32 v3, v3, v7 :: v_dual_lshlrev_b32 v10, 2, v5
	s_add_nc_u64 s[10:11], s[10:11], s[20:21]
	s_cselect_b32 s17, -1, 0
	s_mov_b32 s20, s3
	s_delay_alu instid0(VALU_DEP_1)
	v_lshlrev_b32_e32 v11, 2, v3
	s_branch .LBB177_9
.LBB177_7:                              ;   in Loop: Header=BB177_9 Depth=1
	global_store_b32 v[4:5], v6, off
.LBB177_8:                              ;   in Loop: Header=BB177_9 Depth=1
	s_wait_xcnt 0x0
	s_or_b32 exec_lo, exec_lo, s21
	v_add_nc_u32_e32 v2, s1, v2
	s_delay_alu instid0(VALU_DEP_1) | instskip(SKIP_1) | instid1(SALU_CYCLE_1)
	v_cmp_le_i32_e32 vcc_lo, s13, v2
	s_or_b32 s20, vcc_lo, s20
	s_and_not1_b32 exec_lo, exec_lo, s20
	s_cbranch_execz .LBB177_16
.LBB177_9:                              ; =>This Loop Header: Depth=1
                                        ;     Child Loop BB177_11 Depth 2
	s_wait_dscnt 0x0
	s_clause 0x1
	global_load_b64 v[4:5], v2, s[4:5] scale_offset
	global_load_b64 v[6:7], v2, s[14:15] scale_offset
	v_mov_b32_e32 v12, 0
	s_mov_b32 s21, exec_lo
	s_wait_loadcnt 0x1
	v_sub_nc_u64_e64 v[4:5], v[4:5], s[2:3]
	s_wait_loadcnt 0x0
	v_add_nc_u64_e32 v[6:7], v[6:7], v[0:1]
	s_wait_xcnt 0x0
	s_delay_alu instid0(VALU_DEP_1)
	v_cmpx_lt_i64_e64 v[6:7], v[4:5]
	s_cbranch_execz .LBB177_13
; %bb.10:                               ;   in Loop: Header=BB177_9 Depth=1
	v_lshl_add_u64 v[8:9], v[6:7], 2, s[6:7]
	v_mov_b32_e32 v12, 0
	s_mov_b32 s22, 0
.LBB177_11:                             ;   Parent Loop BB177_9 Depth=1
                                        ; =>  This Inner Loop Header: Depth=2
	global_load_b32 v3, v[8:9], off
	v_add_nc_u64_e32 v[14:15], s[8:9], v[6:7]
	v_add_nc_u64_e32 v[6:7], 4, v[6:7]
	s_wait_xcnt 0x0
	v_add_nc_u64_e32 v[8:9], 16, v[8:9]
	global_load_i8 v13, v[14:15], off
	s_wait_loadcnt 0x1
	global_load_i8 v16, v3, s[10:11]
	v_cmp_ge_i64_e32 vcc_lo, v[6:7], v[4:5]
	s_or_b32 s22, vcc_lo, s22
	s_wait_loadcnt 0x1
	s_wait_xcnt 0x0
	v_cvt_f32_i32_e32 v3, v13
	s_wait_loadcnt 0x0
	v_cvt_f32_i32_e32 v13, v16
	s_delay_alu instid0(VALU_DEP_2) | instskip(NEXT) | instid1(VALU_DEP_1)
	v_mul_f32_e32 v3, s12, v3
	v_fmac_f32_e32 v12, v3, v13
	s_and_not1_b32 exec_lo, exec_lo, s22
	s_cbranch_execnz .LBB177_11
; %bb.12:                               ;   in Loop: Header=BB177_9 Depth=1
	s_or_b32 exec_lo, exec_lo, s22
.LBB177_13:                             ;   in Loop: Header=BB177_9 Depth=1
	s_delay_alu instid0(SALU_CYCLE_1)
	s_or_b32 exec_lo, exec_lo, s21
	ds_bpermute_b32 v4, v10, v12
	s_wait_dscnt 0x0
	v_dual_add_f32 v4, v12, v4 :: v_dual_ashrrev_i32 v3, 31, v2
	ds_bpermute_b32 v5, v11, v4
	s_and_saveexec_b32 s21, s0
	s_cbranch_execz .LBB177_8
; %bb.14:                               ;   in Loop: Header=BB177_9 Depth=1
	s_wait_dscnt 0x0
	v_add_f32_e32 v6, v4, v5
	v_lshl_add_u64 v[4:5], v[2:3], 2, s[18:19]
	s_and_not1_b32 vcc_lo, exec_lo, s17
	s_cbranch_vccnz .LBB177_7
; %bb.15:                               ;   in Loop: Header=BB177_9 Depth=1
	global_load_b32 v3, v[4:5], off
	s_wait_loadcnt 0x0
	v_fmac_f32_e32 v6, s16, v3
	s_branch .LBB177_7
.LBB177_16:
	s_endpgm
	.section	.rodata,"a",@progbits
	.p2align	6, 0x0
	.amdhsa_kernel _ZN9rocsparseL21csrmvn_general_kernelILj256ELj4EliaaffEEvbT2_NS_24const_host_device_scalarIT6_EEPKT1_S7_PKS1_PKT3_PKT4_S4_PT5_21rocsparse_index_base_b
		.amdhsa_group_segment_fixed_size 0
		.amdhsa_private_segment_fixed_size 0
		.amdhsa_kernarg_size 336
		.amdhsa_user_sgpr_count 2
		.amdhsa_user_sgpr_dispatch_ptr 0
		.amdhsa_user_sgpr_queue_ptr 0
		.amdhsa_user_sgpr_kernarg_segment_ptr 1
		.amdhsa_user_sgpr_dispatch_id 0
		.amdhsa_user_sgpr_kernarg_preload_length 0
		.amdhsa_user_sgpr_kernarg_preload_offset 0
		.amdhsa_user_sgpr_private_segment_size 0
		.amdhsa_wavefront_size32 1
		.amdhsa_uses_dynamic_stack 0
		.amdhsa_enable_private_segment 0
		.amdhsa_system_sgpr_workgroup_id_x 1
		.amdhsa_system_sgpr_workgroup_id_y 0
		.amdhsa_system_sgpr_workgroup_id_z 0
		.amdhsa_system_sgpr_workgroup_info 0
		.amdhsa_system_vgpr_workitem_id 0
		.amdhsa_next_free_vgpr 17
		.amdhsa_next_free_sgpr 23
		.amdhsa_named_barrier_count 0
		.amdhsa_reserve_vcc 1
		.amdhsa_float_round_mode_32 0
		.amdhsa_float_round_mode_16_64 0
		.amdhsa_float_denorm_mode_32 3
		.amdhsa_float_denorm_mode_16_64 3
		.amdhsa_fp16_overflow 0
		.amdhsa_memory_ordered 1
		.amdhsa_forward_progress 1
		.amdhsa_inst_pref_size 6
		.amdhsa_round_robin_scheduling 0
		.amdhsa_exception_fp_ieee_invalid_op 0
		.amdhsa_exception_fp_denorm_src 0
		.amdhsa_exception_fp_ieee_div_zero 0
		.amdhsa_exception_fp_ieee_overflow 0
		.amdhsa_exception_fp_ieee_underflow 0
		.amdhsa_exception_fp_ieee_inexact 0
		.amdhsa_exception_int_div_zero 0
	.end_amdhsa_kernel
	.section	.text._ZN9rocsparseL21csrmvn_general_kernelILj256ELj4EliaaffEEvbT2_NS_24const_host_device_scalarIT6_EEPKT1_S7_PKS1_PKT3_PKT4_S4_PT5_21rocsparse_index_base_b,"axG",@progbits,_ZN9rocsparseL21csrmvn_general_kernelILj256ELj4EliaaffEEvbT2_NS_24const_host_device_scalarIT6_EEPKT1_S7_PKS1_PKT3_PKT4_S4_PT5_21rocsparse_index_base_b,comdat
.Lfunc_end177:
	.size	_ZN9rocsparseL21csrmvn_general_kernelILj256ELj4EliaaffEEvbT2_NS_24const_host_device_scalarIT6_EEPKT1_S7_PKS1_PKT3_PKT4_S4_PT5_21rocsparse_index_base_b, .Lfunc_end177-_ZN9rocsparseL21csrmvn_general_kernelILj256ELj4EliaaffEEvbT2_NS_24const_host_device_scalarIT6_EEPKT1_S7_PKS1_PKT3_PKT4_S4_PT5_21rocsparse_index_base_b
                                        ; -- End function
	.set _ZN9rocsparseL21csrmvn_general_kernelILj256ELj4EliaaffEEvbT2_NS_24const_host_device_scalarIT6_EEPKT1_S7_PKS1_PKT3_PKT4_S4_PT5_21rocsparse_index_base_b.num_vgpr, 17
	.set _ZN9rocsparseL21csrmvn_general_kernelILj256ELj4EliaaffEEvbT2_NS_24const_host_device_scalarIT6_EEPKT1_S7_PKS1_PKT3_PKT4_S4_PT5_21rocsparse_index_base_b.num_agpr, 0
	.set _ZN9rocsparseL21csrmvn_general_kernelILj256ELj4EliaaffEEvbT2_NS_24const_host_device_scalarIT6_EEPKT1_S7_PKS1_PKT3_PKT4_S4_PT5_21rocsparse_index_base_b.numbered_sgpr, 23
	.set _ZN9rocsparseL21csrmvn_general_kernelILj256ELj4EliaaffEEvbT2_NS_24const_host_device_scalarIT6_EEPKT1_S7_PKS1_PKT3_PKT4_S4_PT5_21rocsparse_index_base_b.num_named_barrier, 0
	.set _ZN9rocsparseL21csrmvn_general_kernelILj256ELj4EliaaffEEvbT2_NS_24const_host_device_scalarIT6_EEPKT1_S7_PKS1_PKT3_PKT4_S4_PT5_21rocsparse_index_base_b.private_seg_size, 0
	.set _ZN9rocsparseL21csrmvn_general_kernelILj256ELj4EliaaffEEvbT2_NS_24const_host_device_scalarIT6_EEPKT1_S7_PKS1_PKT3_PKT4_S4_PT5_21rocsparse_index_base_b.uses_vcc, 1
	.set _ZN9rocsparseL21csrmvn_general_kernelILj256ELj4EliaaffEEvbT2_NS_24const_host_device_scalarIT6_EEPKT1_S7_PKS1_PKT3_PKT4_S4_PT5_21rocsparse_index_base_b.uses_flat_scratch, 0
	.set _ZN9rocsparseL21csrmvn_general_kernelILj256ELj4EliaaffEEvbT2_NS_24const_host_device_scalarIT6_EEPKT1_S7_PKS1_PKT3_PKT4_S4_PT5_21rocsparse_index_base_b.has_dyn_sized_stack, 0
	.set _ZN9rocsparseL21csrmvn_general_kernelILj256ELj4EliaaffEEvbT2_NS_24const_host_device_scalarIT6_EEPKT1_S7_PKS1_PKT3_PKT4_S4_PT5_21rocsparse_index_base_b.has_recursion, 0
	.set _ZN9rocsparseL21csrmvn_general_kernelILj256ELj4EliaaffEEvbT2_NS_24const_host_device_scalarIT6_EEPKT1_S7_PKS1_PKT3_PKT4_S4_PT5_21rocsparse_index_base_b.has_indirect_call, 0
	.section	.AMDGPU.csdata,"",@progbits
; Kernel info:
; codeLenInByte = 696
; TotalNumSgprs: 25
; NumVgprs: 17
; ScratchSize: 0
; MemoryBound: 0
; FloatMode: 240
; IeeeMode: 1
; LDSByteSize: 0 bytes/workgroup (compile time only)
; SGPRBlocks: 0
; VGPRBlocks: 1
; NumSGPRsForWavesPerEU: 25
; NumVGPRsForWavesPerEU: 17
; NamedBarCnt: 0
; Occupancy: 16
; WaveLimiterHint : 1
; COMPUTE_PGM_RSRC2:SCRATCH_EN: 0
; COMPUTE_PGM_RSRC2:USER_SGPR: 2
; COMPUTE_PGM_RSRC2:TRAP_HANDLER: 0
; COMPUTE_PGM_RSRC2:TGID_X_EN: 1
; COMPUTE_PGM_RSRC2:TGID_Y_EN: 0
; COMPUTE_PGM_RSRC2:TGID_Z_EN: 0
; COMPUTE_PGM_RSRC2:TIDIG_COMP_CNT: 0
	.section	.text._ZN9rocsparseL21csrmvn_general_kernelILj256ELj8EliaaffEEvbT2_NS_24const_host_device_scalarIT6_EEPKT1_S7_PKS1_PKT3_PKT4_S4_PT5_21rocsparse_index_base_b,"axG",@progbits,_ZN9rocsparseL21csrmvn_general_kernelILj256ELj8EliaaffEEvbT2_NS_24const_host_device_scalarIT6_EEPKT1_S7_PKS1_PKT3_PKT4_S4_PT5_21rocsparse_index_base_b,comdat
	.globl	_ZN9rocsparseL21csrmvn_general_kernelILj256ELj8EliaaffEEvbT2_NS_24const_host_device_scalarIT6_EEPKT1_S7_PKS1_PKT3_PKT4_S4_PT5_21rocsparse_index_base_b ; -- Begin function _ZN9rocsparseL21csrmvn_general_kernelILj256ELj8EliaaffEEvbT2_NS_24const_host_device_scalarIT6_EEPKT1_S7_PKS1_PKT3_PKT4_S4_PT5_21rocsparse_index_base_b
	.p2align	8
	.type	_ZN9rocsparseL21csrmvn_general_kernelILj256ELj8EliaaffEEvbT2_NS_24const_host_device_scalarIT6_EEPKT1_S7_PKS1_PKT3_PKT4_S4_PT5_21rocsparse_index_base_b,@function
_ZN9rocsparseL21csrmvn_general_kernelILj256ELj8EliaaffEEvbT2_NS_24const_host_device_scalarIT6_EEPKT1_S7_PKS1_PKT3_PKT4_S4_PT5_21rocsparse_index_base_b: ; @_ZN9rocsparseL21csrmvn_general_kernelILj256ELj8EliaaffEEvbT2_NS_24const_host_device_scalarIT6_EEPKT1_S7_PKS1_PKT3_PKT4_S4_PT5_21rocsparse_index_base_b
; %bb.0:
	s_clause 0x2
	s_load_b64 s[2:3], s[0:1], 0x48
	s_load_b128 s[12:15], s[0:1], 0x8
	s_load_b64 s[16:17], s[0:1], 0x38
	s_wait_kmcnt 0x0
	s_bitcmp1_b32 s3, 0
	s_cselect_b32 s3, -1, 0
	s_delay_alu instid0(SALU_CYCLE_1)
	s_and_b32 vcc_lo, exec_lo, s3
	s_xor_b32 s3, s3, -1
	s_cbranch_vccnz .LBB178_2
; %bb.1:
	s_load_b32 s12, s[12:13], 0x0
.LBB178_2:
	s_and_not1_b32 vcc_lo, exec_lo, s3
	s_cbranch_vccnz .LBB178_4
; %bb.3:
	s_load_b32 s16, s[16:17], 0x0
.LBB178_4:
	s_wait_kmcnt 0x0
	s_cmp_neq_f32 s12, 0
	s_cselect_b32 s3, -1, 0
	s_cmp_neq_f32 s16, 1.0
	s_cselect_b32 s4, -1, 0
	s_delay_alu instid0(SALU_CYCLE_1) | instskip(NEXT) | instid1(SALU_CYCLE_1)
	s_or_b32 s3, s3, s4
	s_and_not1_b32 vcc_lo, exec_lo, s3
	s_cbranch_vccnz .LBB178_16
; %bb.5:
	s_bfe_u32 s3, ttmp6, 0x4000c
	s_load_b32 s13, s[0:1], 0x4
	s_add_co_i32 s3, s3, 1
	s_and_b32 s4, ttmp6, 15
	s_mul_i32 s3, ttmp9, s3
	s_getreg_b32 s5, hwreg(HW_REG_IB_STS2, 6, 4)
	s_add_co_i32 s4, s4, s3
	s_cmp_eq_u32 s5, 0
	s_cselect_b32 s3, ttmp9, s4
	s_delay_alu instid0(SALU_CYCLE_1) | instskip(SKIP_1) | instid1(VALU_DEP_1)
	v_lshl_or_b32 v1, s3, 8, v0
	s_mov_b32 s3, exec_lo
	v_lshrrev_b32_e32 v2, 3, v1
	s_wait_kmcnt 0x0
	s_delay_alu instid0(VALU_DEP_1)
	v_cmpx_gt_i32_e64 s13, v2
	s_cbranch_execz .LBB178_16
; %bb.6:
	v_dual_mov_b32 v5, 0 :: v_dual_bitop2_b32 v4, 7, v0 bitop3:0x40
	v_mbcnt_lo_u32_b32 v3, -1, 0
	s_mov_b32 s3, 0
	s_clause 0x2
	s_load_b32 s17, s[0:1], 0x50
	s_load_b64 s[18:19], s[0:1], 0x40
	s_load_b256 s[4:11], s[0:1], 0x18
	s_wait_xcnt 0x0
	s_ashr_i32 s1, s2, 31
	v_sub_nc_u64_e64 v[0:1], v[4:5], s[2:3]
	v_xor_b32_e32 v5, 1, v3
	v_xor_b32_e32 v6, 4, v3
	s_mov_b32 s0, s2
	s_delay_alu instid0(SALU_CYCLE_1) | instskip(SKIP_1) | instid1(VALU_DEP_2)
	s_sub_nc_u64 s[20:21], 0, s[0:1]
	v_cmp_eq_u32_e64 s0, 7, v4
	v_cmp_gt_i32_e32 vcc_lo, 32, v6
	v_dual_cndmask_b32 v6, v3, v6, vcc_lo :: v_dual_bitop2_b32 v7, 2, v3 bitop3:0x14
	s_delay_alu instid0(VALU_DEP_1) | instskip(SKIP_2) | instid1(VALU_DEP_2)
	v_cmp_gt_i32_e32 vcc_lo, 32, v7
	s_wait_kmcnt 0x0
	s_lshl_b32 s1, s17, 5
	v_dual_cndmask_b32 v7, v3, v7 :: v_dual_lshlrev_b32 v10, 2, v6
	v_cmp_gt_i32_e32 vcc_lo, 32, v5
	s_cmp_neq_f32 s16, 0
	s_add_nc_u64 s[10:11], s[10:11], s[20:21]
	s_mov_b32 s20, s3
	v_dual_lshlrev_b32 v11, 2, v7 :: v_dual_cndmask_b32 v3, v3, v5, vcc_lo
	s_cselect_b32 s17, -1, 0
	s_delay_alu instid0(VALU_DEP_1)
	v_lshlrev_b32_e32 v12, 2, v3
	s_branch .LBB178_9
.LBB178_7:                              ;   in Loop: Header=BB178_9 Depth=1
	global_store_b32 v[4:5], v6, off
.LBB178_8:                              ;   in Loop: Header=BB178_9 Depth=1
	s_wait_xcnt 0x0
	s_or_b32 exec_lo, exec_lo, s21
	v_add_nc_u32_e32 v2, s1, v2
	s_delay_alu instid0(VALU_DEP_1) | instskip(SKIP_1) | instid1(SALU_CYCLE_1)
	v_cmp_le_i32_e32 vcc_lo, s13, v2
	s_or_b32 s20, vcc_lo, s20
	s_and_not1_b32 exec_lo, exec_lo, s20
	s_cbranch_execz .LBB178_16
.LBB178_9:                              ; =>This Loop Header: Depth=1
                                        ;     Child Loop BB178_11 Depth 2
	s_wait_dscnt 0x0
	s_clause 0x1
	global_load_b64 v[4:5], v2, s[4:5] scale_offset
	global_load_b64 v[6:7], v2, s[14:15] scale_offset
	v_mov_b32_e32 v13, 0
	s_mov_b32 s21, exec_lo
	s_wait_loadcnt 0x1
	v_sub_nc_u64_e64 v[4:5], v[4:5], s[2:3]
	s_wait_loadcnt 0x0
	v_add_nc_u64_e32 v[6:7], v[6:7], v[0:1]
	s_wait_xcnt 0x0
	s_delay_alu instid0(VALU_DEP_1)
	v_cmpx_lt_i64_e64 v[6:7], v[4:5]
	s_cbranch_execz .LBB178_13
; %bb.10:                               ;   in Loop: Header=BB178_9 Depth=1
	v_lshl_add_u64 v[8:9], v[6:7], 2, s[6:7]
	v_mov_b32_e32 v13, 0
	s_mov_b32 s22, 0
.LBB178_11:                             ;   Parent Loop BB178_9 Depth=1
                                        ; =>  This Inner Loop Header: Depth=2
	global_load_b32 v3, v[8:9], off
	v_add_nc_u64_e32 v[14:15], s[8:9], v[6:7]
	v_add_nc_u64_e32 v[6:7], 8, v[6:7]
	s_wait_xcnt 0x0
	v_add_nc_u64_e32 v[8:9], 32, v[8:9]
	global_load_i8 v16, v[14:15], off
	s_wait_loadcnt 0x1
	global_load_i8 v17, v3, s[10:11]
	v_cmp_ge_i64_e32 vcc_lo, v[6:7], v[4:5]
	s_or_b32 s22, vcc_lo, s22
	s_wait_loadcnt 0x1
	s_wait_xcnt 0x0
	v_cvt_f32_i32_e32 v3, v16
	s_wait_loadcnt 0x0
	v_cvt_f32_i32_e32 v14, v17
	s_delay_alu instid0(VALU_DEP_2) | instskip(NEXT) | instid1(VALU_DEP_1)
	v_mul_f32_e32 v3, s12, v3
	v_fmac_f32_e32 v13, v3, v14
	s_and_not1_b32 exec_lo, exec_lo, s22
	s_cbranch_execnz .LBB178_11
; %bb.12:                               ;   in Loop: Header=BB178_9 Depth=1
	s_or_b32 exec_lo, exec_lo, s22
.LBB178_13:                             ;   in Loop: Header=BB178_9 Depth=1
	s_delay_alu instid0(SALU_CYCLE_1)
	s_or_b32 exec_lo, exec_lo, s21
	ds_bpermute_b32 v4, v10, v13
	s_wait_dscnt 0x0
	v_dual_add_f32 v4, v13, v4 :: v_dual_ashrrev_i32 v3, 31, v2
	ds_bpermute_b32 v5, v11, v4
	s_wait_dscnt 0x0
	v_add_f32_e32 v4, v4, v5
	ds_bpermute_b32 v5, v12, v4
	s_and_saveexec_b32 s21, s0
	s_cbranch_execz .LBB178_8
; %bb.14:                               ;   in Loop: Header=BB178_9 Depth=1
	s_wait_dscnt 0x0
	v_add_f32_e32 v6, v4, v5
	v_lshl_add_u64 v[4:5], v[2:3], 2, s[18:19]
	s_and_not1_b32 vcc_lo, exec_lo, s17
	s_cbranch_vccnz .LBB178_7
; %bb.15:                               ;   in Loop: Header=BB178_9 Depth=1
	global_load_b32 v3, v[4:5], off
	s_wait_loadcnt 0x0
	v_fmac_f32_e32 v6, s16, v3
	s_branch .LBB178_7
.LBB178_16:
	s_endpgm
	.section	.rodata,"a",@progbits
	.p2align	6, 0x0
	.amdhsa_kernel _ZN9rocsparseL21csrmvn_general_kernelILj256ELj8EliaaffEEvbT2_NS_24const_host_device_scalarIT6_EEPKT1_S7_PKS1_PKT3_PKT4_S4_PT5_21rocsparse_index_base_b
		.amdhsa_group_segment_fixed_size 0
		.amdhsa_private_segment_fixed_size 0
		.amdhsa_kernarg_size 336
		.amdhsa_user_sgpr_count 2
		.amdhsa_user_sgpr_dispatch_ptr 0
		.amdhsa_user_sgpr_queue_ptr 0
		.amdhsa_user_sgpr_kernarg_segment_ptr 1
		.amdhsa_user_sgpr_dispatch_id 0
		.amdhsa_user_sgpr_kernarg_preload_length 0
		.amdhsa_user_sgpr_kernarg_preload_offset 0
		.amdhsa_user_sgpr_private_segment_size 0
		.amdhsa_wavefront_size32 1
		.amdhsa_uses_dynamic_stack 0
		.amdhsa_enable_private_segment 0
		.amdhsa_system_sgpr_workgroup_id_x 1
		.amdhsa_system_sgpr_workgroup_id_y 0
		.amdhsa_system_sgpr_workgroup_id_z 0
		.amdhsa_system_sgpr_workgroup_info 0
		.amdhsa_system_vgpr_workitem_id 0
		.amdhsa_next_free_vgpr 18
		.amdhsa_next_free_sgpr 23
		.amdhsa_named_barrier_count 0
		.amdhsa_reserve_vcc 1
		.amdhsa_float_round_mode_32 0
		.amdhsa_float_round_mode_16_64 0
		.amdhsa_float_denorm_mode_32 3
		.amdhsa_float_denorm_mode_16_64 3
		.amdhsa_fp16_overflow 0
		.amdhsa_memory_ordered 1
		.amdhsa_forward_progress 1
		.amdhsa_inst_pref_size 6
		.amdhsa_round_robin_scheduling 0
		.amdhsa_exception_fp_ieee_invalid_op 0
		.amdhsa_exception_fp_denorm_src 0
		.amdhsa_exception_fp_ieee_div_zero 0
		.amdhsa_exception_fp_ieee_overflow 0
		.amdhsa_exception_fp_ieee_underflow 0
		.amdhsa_exception_fp_ieee_inexact 0
		.amdhsa_exception_int_div_zero 0
	.end_amdhsa_kernel
	.section	.text._ZN9rocsparseL21csrmvn_general_kernelILj256ELj8EliaaffEEvbT2_NS_24const_host_device_scalarIT6_EEPKT1_S7_PKS1_PKT3_PKT4_S4_PT5_21rocsparse_index_base_b,"axG",@progbits,_ZN9rocsparseL21csrmvn_general_kernelILj256ELj8EliaaffEEvbT2_NS_24const_host_device_scalarIT6_EEPKT1_S7_PKS1_PKT3_PKT4_S4_PT5_21rocsparse_index_base_b,comdat
.Lfunc_end178:
	.size	_ZN9rocsparseL21csrmvn_general_kernelILj256ELj8EliaaffEEvbT2_NS_24const_host_device_scalarIT6_EEPKT1_S7_PKS1_PKT3_PKT4_S4_PT5_21rocsparse_index_base_b, .Lfunc_end178-_ZN9rocsparseL21csrmvn_general_kernelILj256ELj8EliaaffEEvbT2_NS_24const_host_device_scalarIT6_EEPKT1_S7_PKS1_PKT3_PKT4_S4_PT5_21rocsparse_index_base_b
                                        ; -- End function
	.set _ZN9rocsparseL21csrmvn_general_kernelILj256ELj8EliaaffEEvbT2_NS_24const_host_device_scalarIT6_EEPKT1_S7_PKS1_PKT3_PKT4_S4_PT5_21rocsparse_index_base_b.num_vgpr, 18
	.set _ZN9rocsparseL21csrmvn_general_kernelILj256ELj8EliaaffEEvbT2_NS_24const_host_device_scalarIT6_EEPKT1_S7_PKS1_PKT3_PKT4_S4_PT5_21rocsparse_index_base_b.num_agpr, 0
	.set _ZN9rocsparseL21csrmvn_general_kernelILj256ELj8EliaaffEEvbT2_NS_24const_host_device_scalarIT6_EEPKT1_S7_PKS1_PKT3_PKT4_S4_PT5_21rocsparse_index_base_b.numbered_sgpr, 23
	.set _ZN9rocsparseL21csrmvn_general_kernelILj256ELj8EliaaffEEvbT2_NS_24const_host_device_scalarIT6_EEPKT1_S7_PKS1_PKT3_PKT4_S4_PT5_21rocsparse_index_base_b.num_named_barrier, 0
	.set _ZN9rocsparseL21csrmvn_general_kernelILj256ELj8EliaaffEEvbT2_NS_24const_host_device_scalarIT6_EEPKT1_S7_PKS1_PKT3_PKT4_S4_PT5_21rocsparse_index_base_b.private_seg_size, 0
	.set _ZN9rocsparseL21csrmvn_general_kernelILj256ELj8EliaaffEEvbT2_NS_24const_host_device_scalarIT6_EEPKT1_S7_PKS1_PKT3_PKT4_S4_PT5_21rocsparse_index_base_b.uses_vcc, 1
	.set _ZN9rocsparseL21csrmvn_general_kernelILj256ELj8EliaaffEEvbT2_NS_24const_host_device_scalarIT6_EEPKT1_S7_PKS1_PKT3_PKT4_S4_PT5_21rocsparse_index_base_b.uses_flat_scratch, 0
	.set _ZN9rocsparseL21csrmvn_general_kernelILj256ELj8EliaaffEEvbT2_NS_24const_host_device_scalarIT6_EEPKT1_S7_PKS1_PKT3_PKT4_S4_PT5_21rocsparse_index_base_b.has_dyn_sized_stack, 0
	.set _ZN9rocsparseL21csrmvn_general_kernelILj256ELj8EliaaffEEvbT2_NS_24const_host_device_scalarIT6_EEPKT1_S7_PKS1_PKT3_PKT4_S4_PT5_21rocsparse_index_base_b.has_recursion, 0
	.set _ZN9rocsparseL21csrmvn_general_kernelILj256ELj8EliaaffEEvbT2_NS_24const_host_device_scalarIT6_EEPKT1_S7_PKS1_PKT3_PKT4_S4_PT5_21rocsparse_index_base_b.has_indirect_call, 0
	.section	.AMDGPU.csdata,"",@progbits
; Kernel info:
; codeLenInByte = 740
; TotalNumSgprs: 25
; NumVgprs: 18
; ScratchSize: 0
; MemoryBound: 0
; FloatMode: 240
; IeeeMode: 1
; LDSByteSize: 0 bytes/workgroup (compile time only)
; SGPRBlocks: 0
; VGPRBlocks: 1
; NumSGPRsForWavesPerEU: 25
; NumVGPRsForWavesPerEU: 18
; NamedBarCnt: 0
; Occupancy: 16
; WaveLimiterHint : 1
; COMPUTE_PGM_RSRC2:SCRATCH_EN: 0
; COMPUTE_PGM_RSRC2:USER_SGPR: 2
; COMPUTE_PGM_RSRC2:TRAP_HANDLER: 0
; COMPUTE_PGM_RSRC2:TGID_X_EN: 1
; COMPUTE_PGM_RSRC2:TGID_Y_EN: 0
; COMPUTE_PGM_RSRC2:TGID_Z_EN: 0
; COMPUTE_PGM_RSRC2:TIDIG_COMP_CNT: 0
	.section	.text._ZN9rocsparseL21csrmvn_general_kernelILj256ELj16EliaaffEEvbT2_NS_24const_host_device_scalarIT6_EEPKT1_S7_PKS1_PKT3_PKT4_S4_PT5_21rocsparse_index_base_b,"axG",@progbits,_ZN9rocsparseL21csrmvn_general_kernelILj256ELj16EliaaffEEvbT2_NS_24const_host_device_scalarIT6_EEPKT1_S7_PKS1_PKT3_PKT4_S4_PT5_21rocsparse_index_base_b,comdat
	.globl	_ZN9rocsparseL21csrmvn_general_kernelILj256ELj16EliaaffEEvbT2_NS_24const_host_device_scalarIT6_EEPKT1_S7_PKS1_PKT3_PKT4_S4_PT5_21rocsparse_index_base_b ; -- Begin function _ZN9rocsparseL21csrmvn_general_kernelILj256ELj16EliaaffEEvbT2_NS_24const_host_device_scalarIT6_EEPKT1_S7_PKS1_PKT3_PKT4_S4_PT5_21rocsparse_index_base_b
	.p2align	8
	.type	_ZN9rocsparseL21csrmvn_general_kernelILj256ELj16EliaaffEEvbT2_NS_24const_host_device_scalarIT6_EEPKT1_S7_PKS1_PKT3_PKT4_S4_PT5_21rocsparse_index_base_b,@function
_ZN9rocsparseL21csrmvn_general_kernelILj256ELj16EliaaffEEvbT2_NS_24const_host_device_scalarIT6_EEPKT1_S7_PKS1_PKT3_PKT4_S4_PT5_21rocsparse_index_base_b: ; @_ZN9rocsparseL21csrmvn_general_kernelILj256ELj16EliaaffEEvbT2_NS_24const_host_device_scalarIT6_EEPKT1_S7_PKS1_PKT3_PKT4_S4_PT5_21rocsparse_index_base_b
; %bb.0:
	s_clause 0x2
	s_load_b64 s[2:3], s[0:1], 0x48
	s_load_b128 s[12:15], s[0:1], 0x8
	s_load_b64 s[16:17], s[0:1], 0x38
	s_wait_kmcnt 0x0
	s_bitcmp1_b32 s3, 0
	s_cselect_b32 s3, -1, 0
	s_delay_alu instid0(SALU_CYCLE_1)
	s_and_b32 vcc_lo, exec_lo, s3
	s_xor_b32 s3, s3, -1
	s_cbranch_vccnz .LBB179_2
; %bb.1:
	s_load_b32 s12, s[12:13], 0x0
.LBB179_2:
	s_and_not1_b32 vcc_lo, exec_lo, s3
	s_cbranch_vccnz .LBB179_4
; %bb.3:
	s_load_b32 s16, s[16:17], 0x0
.LBB179_4:
	s_wait_kmcnt 0x0
	s_cmp_neq_f32 s12, 0
	s_cselect_b32 s3, -1, 0
	s_cmp_neq_f32 s16, 1.0
	s_cselect_b32 s4, -1, 0
	s_delay_alu instid0(SALU_CYCLE_1) | instskip(NEXT) | instid1(SALU_CYCLE_1)
	s_or_b32 s3, s3, s4
	s_and_not1_b32 vcc_lo, exec_lo, s3
	s_cbranch_vccnz .LBB179_16
; %bb.5:
	s_bfe_u32 s3, ttmp6, 0x4000c
	s_load_b32 s13, s[0:1], 0x4
	s_add_co_i32 s3, s3, 1
	s_and_b32 s4, ttmp6, 15
	s_mul_i32 s3, ttmp9, s3
	s_getreg_b32 s5, hwreg(HW_REG_IB_STS2, 6, 4)
	s_add_co_i32 s4, s4, s3
	s_cmp_eq_u32 s5, 0
	s_cselect_b32 s3, ttmp9, s4
	s_delay_alu instid0(SALU_CYCLE_1) | instskip(SKIP_1) | instid1(VALU_DEP_1)
	v_lshl_or_b32 v1, s3, 8, v0
	s_mov_b32 s3, exec_lo
	v_lshrrev_b32_e32 v2, 4, v1
	s_wait_kmcnt 0x0
	s_delay_alu instid0(VALU_DEP_1)
	v_cmpx_gt_i32_e64 s13, v2
	s_cbranch_execz .LBB179_16
; %bb.6:
	v_dual_mov_b32 v5, 0 :: v_dual_bitop2_b32 v4, 15, v0 bitop3:0x40
	v_mbcnt_lo_u32_b32 v3, -1, 0
	s_mov_b32 s3, 0
	s_clause 0x2
	s_load_b32 s17, s[0:1], 0x50
	s_load_b64 s[18:19], s[0:1], 0x40
	s_load_b256 s[4:11], s[0:1], 0x18
	s_wait_xcnt 0x0
	s_ashr_i32 s1, s2, 31
	v_sub_nc_u64_e64 v[0:1], v[4:5], s[2:3]
	v_xor_b32_e32 v5, 4, v3
	v_xor_b32_e32 v6, 8, v3
	s_mov_b32 s0, s2
	s_delay_alu instid0(SALU_CYCLE_1) | instskip(SKIP_1) | instid1(VALU_DEP_2)
	s_sub_nc_u64 s[20:21], 0, s[0:1]
	v_cmp_eq_u32_e64 s0, 15, v4
	v_cmp_gt_i32_e32 vcc_lo, 32, v6
	v_dual_cndmask_b32 v6, v3, v6, vcc_lo :: v_dual_bitop2_b32 v8, 1, v3 bitop3:0x14
	v_cmp_gt_i32_e32 vcc_lo, 32, v5
	s_wait_kmcnt 0x0
	s_lshl_b32 s1, s17, 4
	s_delay_alu instid0(VALU_DEP_2)
	v_dual_lshlrev_b32 v10, 2, v6 :: v_dual_bitop2_b32 v7, 2, v3 bitop3:0x14
	v_cndmask_b32_e32 v5, v3, v5, vcc_lo
	s_cmp_neq_f32 s16, 0
	s_add_nc_u64 s[10:11], s[10:11], s[20:21]
	s_mov_b32 s20, s3
	v_cmp_gt_i32_e32 vcc_lo, 32, v7
	v_lshlrev_b32_e32 v11, 2, v5
	s_cselect_b32 s17, -1, 0
	v_cndmask_b32_e32 v7, v3, v7, vcc_lo
	v_cmp_gt_i32_e32 vcc_lo, 32, v8
	s_delay_alu instid0(VALU_DEP_2) | instskip(NEXT) | instid1(VALU_DEP_1)
	v_dual_cndmask_b32 v3, v3, v8 :: v_dual_lshlrev_b32 v12, 2, v7
	v_lshlrev_b32_e32 v13, 2, v3
	s_branch .LBB179_9
.LBB179_7:                              ;   in Loop: Header=BB179_9 Depth=1
	global_store_b32 v[4:5], v6, off
.LBB179_8:                              ;   in Loop: Header=BB179_9 Depth=1
	s_wait_xcnt 0x0
	s_or_b32 exec_lo, exec_lo, s21
	v_add_nc_u32_e32 v2, s1, v2
	s_delay_alu instid0(VALU_DEP_1) | instskip(SKIP_1) | instid1(SALU_CYCLE_1)
	v_cmp_le_i32_e32 vcc_lo, s13, v2
	s_or_b32 s20, vcc_lo, s20
	s_and_not1_b32 exec_lo, exec_lo, s20
	s_cbranch_execz .LBB179_16
.LBB179_9:                              ; =>This Loop Header: Depth=1
                                        ;     Child Loop BB179_11 Depth 2
	s_wait_dscnt 0x0
	s_clause 0x1
	global_load_b64 v[4:5], v2, s[4:5] scale_offset
	global_load_b64 v[6:7], v2, s[14:15] scale_offset
	v_mov_b32_e32 v14, 0
	s_mov_b32 s21, exec_lo
	s_wait_loadcnt 0x1
	v_sub_nc_u64_e64 v[4:5], v[4:5], s[2:3]
	s_wait_loadcnt 0x0
	v_add_nc_u64_e32 v[6:7], v[6:7], v[0:1]
	s_wait_xcnt 0x0
	s_delay_alu instid0(VALU_DEP_1)
	v_cmpx_lt_i64_e64 v[6:7], v[4:5]
	s_cbranch_execz .LBB179_13
; %bb.10:                               ;   in Loop: Header=BB179_9 Depth=1
	v_lshl_add_u64 v[8:9], v[6:7], 2, s[6:7]
	v_mov_b32_e32 v14, 0
	s_mov_b32 s22, 0
.LBB179_11:                             ;   Parent Loop BB179_9 Depth=1
                                        ; =>  This Inner Loop Header: Depth=2
	global_load_b32 v3, v[8:9], off
	v_add_nc_u64_e32 v[16:17], s[8:9], v[6:7]
	v_add_nc_u64_e32 v[6:7], 16, v[6:7]
	s_wait_xcnt 0x0
	v_add_nc_u64_e32 v[8:9], 64, v[8:9]
	global_load_i8 v15, v[16:17], off
	s_wait_loadcnt 0x1
	global_load_i8 v18, v3, s[10:11]
	v_cmp_ge_i64_e32 vcc_lo, v[6:7], v[4:5]
	s_or_b32 s22, vcc_lo, s22
	s_wait_loadcnt 0x1
	s_wait_xcnt 0x0
	v_cvt_f32_i32_e32 v3, v15
	s_wait_loadcnt 0x0
	v_cvt_f32_i32_e32 v15, v18
	s_delay_alu instid0(VALU_DEP_2) | instskip(NEXT) | instid1(VALU_DEP_1)
	v_mul_f32_e32 v3, s12, v3
	v_fmac_f32_e32 v14, v3, v15
	s_and_not1_b32 exec_lo, exec_lo, s22
	s_cbranch_execnz .LBB179_11
; %bb.12:                               ;   in Loop: Header=BB179_9 Depth=1
	s_or_b32 exec_lo, exec_lo, s22
.LBB179_13:                             ;   in Loop: Header=BB179_9 Depth=1
	s_delay_alu instid0(SALU_CYCLE_1)
	s_or_b32 exec_lo, exec_lo, s21
	ds_bpermute_b32 v4, v10, v14
	s_wait_dscnt 0x0
	v_dual_add_f32 v4, v14, v4 :: v_dual_ashrrev_i32 v3, 31, v2
	ds_bpermute_b32 v5, v11, v4
	s_wait_dscnt 0x0
	v_add_f32_e32 v4, v4, v5
	ds_bpermute_b32 v5, v12, v4
	s_wait_dscnt 0x0
	v_add_f32_e32 v4, v4, v5
	ds_bpermute_b32 v5, v13, v4
	s_and_saveexec_b32 s21, s0
	s_cbranch_execz .LBB179_8
; %bb.14:                               ;   in Loop: Header=BB179_9 Depth=1
	s_wait_dscnt 0x0
	v_add_f32_e32 v6, v4, v5
	v_lshl_add_u64 v[4:5], v[2:3], 2, s[18:19]
	s_and_not1_b32 vcc_lo, exec_lo, s17
	s_cbranch_vccnz .LBB179_7
; %bb.15:                               ;   in Loop: Header=BB179_9 Depth=1
	global_load_b32 v3, v[4:5], off
	s_wait_loadcnt 0x0
	v_fmac_f32_e32 v6, s16, v3
	s_branch .LBB179_7
.LBB179_16:
	s_endpgm
	.section	.rodata,"a",@progbits
	.p2align	6, 0x0
	.amdhsa_kernel _ZN9rocsparseL21csrmvn_general_kernelILj256ELj16EliaaffEEvbT2_NS_24const_host_device_scalarIT6_EEPKT1_S7_PKS1_PKT3_PKT4_S4_PT5_21rocsparse_index_base_b
		.amdhsa_group_segment_fixed_size 0
		.amdhsa_private_segment_fixed_size 0
		.amdhsa_kernarg_size 336
		.amdhsa_user_sgpr_count 2
		.amdhsa_user_sgpr_dispatch_ptr 0
		.amdhsa_user_sgpr_queue_ptr 0
		.amdhsa_user_sgpr_kernarg_segment_ptr 1
		.amdhsa_user_sgpr_dispatch_id 0
		.amdhsa_user_sgpr_kernarg_preload_length 0
		.amdhsa_user_sgpr_kernarg_preload_offset 0
		.amdhsa_user_sgpr_private_segment_size 0
		.amdhsa_wavefront_size32 1
		.amdhsa_uses_dynamic_stack 0
		.amdhsa_enable_private_segment 0
		.amdhsa_system_sgpr_workgroup_id_x 1
		.amdhsa_system_sgpr_workgroup_id_y 0
		.amdhsa_system_sgpr_workgroup_id_z 0
		.amdhsa_system_sgpr_workgroup_info 0
		.amdhsa_system_vgpr_workitem_id 0
		.amdhsa_next_free_vgpr 19
		.amdhsa_next_free_sgpr 23
		.amdhsa_named_barrier_count 0
		.amdhsa_reserve_vcc 1
		.amdhsa_float_round_mode_32 0
		.amdhsa_float_round_mode_16_64 0
		.amdhsa_float_denorm_mode_32 3
		.amdhsa_float_denorm_mode_16_64 3
		.amdhsa_fp16_overflow 0
		.amdhsa_memory_ordered 1
		.amdhsa_forward_progress 1
		.amdhsa_inst_pref_size 7
		.amdhsa_round_robin_scheduling 0
		.amdhsa_exception_fp_ieee_invalid_op 0
		.amdhsa_exception_fp_denorm_src 0
		.amdhsa_exception_fp_ieee_div_zero 0
		.amdhsa_exception_fp_ieee_overflow 0
		.amdhsa_exception_fp_ieee_underflow 0
		.amdhsa_exception_fp_ieee_inexact 0
		.amdhsa_exception_int_div_zero 0
	.end_amdhsa_kernel
	.section	.text._ZN9rocsparseL21csrmvn_general_kernelILj256ELj16EliaaffEEvbT2_NS_24const_host_device_scalarIT6_EEPKT1_S7_PKS1_PKT3_PKT4_S4_PT5_21rocsparse_index_base_b,"axG",@progbits,_ZN9rocsparseL21csrmvn_general_kernelILj256ELj16EliaaffEEvbT2_NS_24const_host_device_scalarIT6_EEPKT1_S7_PKS1_PKT3_PKT4_S4_PT5_21rocsparse_index_base_b,comdat
.Lfunc_end179:
	.size	_ZN9rocsparseL21csrmvn_general_kernelILj256ELj16EliaaffEEvbT2_NS_24const_host_device_scalarIT6_EEPKT1_S7_PKS1_PKT3_PKT4_S4_PT5_21rocsparse_index_base_b, .Lfunc_end179-_ZN9rocsparseL21csrmvn_general_kernelILj256ELj16EliaaffEEvbT2_NS_24const_host_device_scalarIT6_EEPKT1_S7_PKS1_PKT3_PKT4_S4_PT5_21rocsparse_index_base_b
                                        ; -- End function
	.set _ZN9rocsparseL21csrmvn_general_kernelILj256ELj16EliaaffEEvbT2_NS_24const_host_device_scalarIT6_EEPKT1_S7_PKS1_PKT3_PKT4_S4_PT5_21rocsparse_index_base_b.num_vgpr, 19
	.set _ZN9rocsparseL21csrmvn_general_kernelILj256ELj16EliaaffEEvbT2_NS_24const_host_device_scalarIT6_EEPKT1_S7_PKS1_PKT3_PKT4_S4_PT5_21rocsparse_index_base_b.num_agpr, 0
	.set _ZN9rocsparseL21csrmvn_general_kernelILj256ELj16EliaaffEEvbT2_NS_24const_host_device_scalarIT6_EEPKT1_S7_PKS1_PKT3_PKT4_S4_PT5_21rocsparse_index_base_b.numbered_sgpr, 23
	.set _ZN9rocsparseL21csrmvn_general_kernelILj256ELj16EliaaffEEvbT2_NS_24const_host_device_scalarIT6_EEPKT1_S7_PKS1_PKT3_PKT4_S4_PT5_21rocsparse_index_base_b.num_named_barrier, 0
	.set _ZN9rocsparseL21csrmvn_general_kernelILj256ELj16EliaaffEEvbT2_NS_24const_host_device_scalarIT6_EEPKT1_S7_PKS1_PKT3_PKT4_S4_PT5_21rocsparse_index_base_b.private_seg_size, 0
	.set _ZN9rocsparseL21csrmvn_general_kernelILj256ELj16EliaaffEEvbT2_NS_24const_host_device_scalarIT6_EEPKT1_S7_PKS1_PKT3_PKT4_S4_PT5_21rocsparse_index_base_b.uses_vcc, 1
	.set _ZN9rocsparseL21csrmvn_general_kernelILj256ELj16EliaaffEEvbT2_NS_24const_host_device_scalarIT6_EEPKT1_S7_PKS1_PKT3_PKT4_S4_PT5_21rocsparse_index_base_b.uses_flat_scratch, 0
	.set _ZN9rocsparseL21csrmvn_general_kernelILj256ELj16EliaaffEEvbT2_NS_24const_host_device_scalarIT6_EEPKT1_S7_PKS1_PKT3_PKT4_S4_PT5_21rocsparse_index_base_b.has_dyn_sized_stack, 0
	.set _ZN9rocsparseL21csrmvn_general_kernelILj256ELj16EliaaffEEvbT2_NS_24const_host_device_scalarIT6_EEPKT1_S7_PKS1_PKT3_PKT4_S4_PT5_21rocsparse_index_base_b.has_recursion, 0
	.set _ZN9rocsparseL21csrmvn_general_kernelILj256ELj16EliaaffEEvbT2_NS_24const_host_device_scalarIT6_EEPKT1_S7_PKS1_PKT3_PKT4_S4_PT5_21rocsparse_index_base_b.has_indirect_call, 0
	.section	.AMDGPU.csdata,"",@progbits
; Kernel info:
; codeLenInByte = 772
; TotalNumSgprs: 25
; NumVgprs: 19
; ScratchSize: 0
; MemoryBound: 0
; FloatMode: 240
; IeeeMode: 1
; LDSByteSize: 0 bytes/workgroup (compile time only)
; SGPRBlocks: 0
; VGPRBlocks: 1
; NumSGPRsForWavesPerEU: 25
; NumVGPRsForWavesPerEU: 19
; NamedBarCnt: 0
; Occupancy: 16
; WaveLimiterHint : 1
; COMPUTE_PGM_RSRC2:SCRATCH_EN: 0
; COMPUTE_PGM_RSRC2:USER_SGPR: 2
; COMPUTE_PGM_RSRC2:TRAP_HANDLER: 0
; COMPUTE_PGM_RSRC2:TGID_X_EN: 1
; COMPUTE_PGM_RSRC2:TGID_Y_EN: 0
; COMPUTE_PGM_RSRC2:TGID_Z_EN: 0
; COMPUTE_PGM_RSRC2:TIDIG_COMP_CNT: 0
	.section	.text._ZN9rocsparseL21csrmvn_general_kernelILj256ELj32EliaaffEEvbT2_NS_24const_host_device_scalarIT6_EEPKT1_S7_PKS1_PKT3_PKT4_S4_PT5_21rocsparse_index_base_b,"axG",@progbits,_ZN9rocsparseL21csrmvn_general_kernelILj256ELj32EliaaffEEvbT2_NS_24const_host_device_scalarIT6_EEPKT1_S7_PKS1_PKT3_PKT4_S4_PT5_21rocsparse_index_base_b,comdat
	.globl	_ZN9rocsparseL21csrmvn_general_kernelILj256ELj32EliaaffEEvbT2_NS_24const_host_device_scalarIT6_EEPKT1_S7_PKS1_PKT3_PKT4_S4_PT5_21rocsparse_index_base_b ; -- Begin function _ZN9rocsparseL21csrmvn_general_kernelILj256ELj32EliaaffEEvbT2_NS_24const_host_device_scalarIT6_EEPKT1_S7_PKS1_PKT3_PKT4_S4_PT5_21rocsparse_index_base_b
	.p2align	8
	.type	_ZN9rocsparseL21csrmvn_general_kernelILj256ELj32EliaaffEEvbT2_NS_24const_host_device_scalarIT6_EEPKT1_S7_PKS1_PKT3_PKT4_S4_PT5_21rocsparse_index_base_b,@function
_ZN9rocsparseL21csrmvn_general_kernelILj256ELj32EliaaffEEvbT2_NS_24const_host_device_scalarIT6_EEPKT1_S7_PKS1_PKT3_PKT4_S4_PT5_21rocsparse_index_base_b: ; @_ZN9rocsparseL21csrmvn_general_kernelILj256ELj32EliaaffEEvbT2_NS_24const_host_device_scalarIT6_EEPKT1_S7_PKS1_PKT3_PKT4_S4_PT5_21rocsparse_index_base_b
; %bb.0:
	s_clause 0x2
	s_load_b64 s[2:3], s[0:1], 0x48
	s_load_b128 s[12:15], s[0:1], 0x8
	s_load_b64 s[16:17], s[0:1], 0x38
	s_wait_kmcnt 0x0
	s_bitcmp1_b32 s3, 0
	s_cselect_b32 s3, -1, 0
	s_delay_alu instid0(SALU_CYCLE_1)
	s_and_b32 vcc_lo, exec_lo, s3
	s_xor_b32 s3, s3, -1
	s_cbranch_vccnz .LBB180_2
; %bb.1:
	s_load_b32 s12, s[12:13], 0x0
.LBB180_2:
	s_and_not1_b32 vcc_lo, exec_lo, s3
	s_cbranch_vccnz .LBB180_4
; %bb.3:
	s_load_b32 s16, s[16:17], 0x0
.LBB180_4:
	s_wait_kmcnt 0x0
	s_cmp_neq_f32 s12, 0
	s_cselect_b32 s3, -1, 0
	s_cmp_neq_f32 s16, 1.0
	s_cselect_b32 s4, -1, 0
	s_delay_alu instid0(SALU_CYCLE_1) | instskip(NEXT) | instid1(SALU_CYCLE_1)
	s_or_b32 s3, s3, s4
	s_and_not1_b32 vcc_lo, exec_lo, s3
	s_cbranch_vccnz .LBB180_16
; %bb.5:
	s_bfe_u32 s3, ttmp6, 0x4000c
	s_load_b32 s13, s[0:1], 0x4
	s_add_co_i32 s3, s3, 1
	s_and_b32 s4, ttmp6, 15
	s_mul_i32 s3, ttmp9, s3
	s_getreg_b32 s5, hwreg(HW_REG_IB_STS2, 6, 4)
	s_add_co_i32 s4, s4, s3
	s_cmp_eq_u32 s5, 0
	s_cselect_b32 s3, ttmp9, s4
	s_delay_alu instid0(SALU_CYCLE_1) | instskip(SKIP_1) | instid1(VALU_DEP_1)
	v_lshl_or_b32 v1, s3, 8, v0
	s_mov_b32 s3, exec_lo
	v_lshrrev_b32_e32 v2, 5, v1
	s_wait_kmcnt 0x0
	s_delay_alu instid0(VALU_DEP_1)
	v_cmpx_gt_i32_e64 s13, v2
	s_cbranch_execz .LBB180_16
; %bb.6:
	v_mbcnt_lo_u32_b32 v3, -1, 0
	v_dual_mov_b32 v5, 0 :: v_dual_bitop2_b32 v4, 31, v0 bitop3:0x40
	s_mov_b32 s3, 0
	s_clause 0x2
	s_load_b32 s17, s[0:1], 0x50
	s_load_b64 s[18:19], s[0:1], 0x40
	s_load_b256 s[4:11], s[0:1], 0x18
	s_wait_xcnt 0x0
	s_ashr_i32 s1, s2, 31
	s_mov_b32 s0, s2
	v_sub_nc_u64_e64 v[0:1], v[4:5], s[2:3]
	v_xor_b32_e32 v5, 8, v3
	v_xor_b32_e32 v6, 16, v3
	s_sub_nc_u64 s[20:21], 0, s[0:1]
	v_cmp_eq_u32_e64 s0, 31, v4
	s_delay_alu instid0(VALU_DEP_2)
	v_cmp_gt_i32_e32 vcc_lo, 32, v6
	v_dual_cndmask_b32 v6, v3, v6, vcc_lo :: v_dual_bitop2_b32 v7, 4, v3 bitop3:0x14
	v_cmp_gt_i32_e32 vcc_lo, 32, v5
	s_wait_kmcnt 0x0
	s_lshl_b32 s1, s17, 3
	s_cmp_neq_f32 s16, 0
	v_dual_lshlrev_b32 v10, 2, v6 :: v_dual_bitop2_b32 v6, 1, v3 bitop3:0x14
	v_dual_cndmask_b32 v5, v3, v5, vcc_lo :: v_dual_bitop2_b32 v8, 2, v3 bitop3:0x14
	v_cmp_gt_i32_e32 vcc_lo, 32, v7
	s_cselect_b32 s17, -1, 0
	s_add_nc_u64 s[10:11], s[10:11], s[20:21]
	s_mov_b32 s20, s3
	v_dual_lshlrev_b32 v11, 2, v5 :: v_dual_cndmask_b32 v7, v3, v7, vcc_lo
	v_cmp_gt_i32_e32 vcc_lo, 32, v8
	v_cndmask_b32_e32 v8, v3, v8, vcc_lo
	v_cmp_gt_i32_e32 vcc_lo, 32, v6
	s_delay_alu instid0(VALU_DEP_2) | instskip(SKIP_1) | instid1(VALU_DEP_1)
	v_dual_lshlrev_b32 v12, 2, v7 :: v_dual_lshlrev_b32 v13, 2, v8
	v_cndmask_b32_e32 v3, v3, v6, vcc_lo
	v_lshlrev_b32_e32 v14, 2, v3
	s_branch .LBB180_9
.LBB180_7:                              ;   in Loop: Header=BB180_9 Depth=1
	global_store_b32 v[4:5], v6, off
.LBB180_8:                              ;   in Loop: Header=BB180_9 Depth=1
	s_wait_xcnt 0x0
	s_or_b32 exec_lo, exec_lo, s21
	v_add_nc_u32_e32 v2, s1, v2
	s_delay_alu instid0(VALU_DEP_1) | instskip(SKIP_1) | instid1(SALU_CYCLE_1)
	v_cmp_le_i32_e32 vcc_lo, s13, v2
	s_or_b32 s20, vcc_lo, s20
	s_and_not1_b32 exec_lo, exec_lo, s20
	s_cbranch_execz .LBB180_16
.LBB180_9:                              ; =>This Loop Header: Depth=1
                                        ;     Child Loop BB180_11 Depth 2
	s_wait_dscnt 0x0
	s_clause 0x1
	global_load_b64 v[4:5], v2, s[4:5] scale_offset
	global_load_b64 v[6:7], v2, s[14:15] scale_offset
	v_mov_b32_e32 v15, 0
	s_mov_b32 s21, exec_lo
	s_wait_loadcnt 0x1
	v_sub_nc_u64_e64 v[4:5], v[4:5], s[2:3]
	s_wait_loadcnt 0x0
	v_add_nc_u64_e32 v[6:7], v[6:7], v[0:1]
	s_wait_xcnt 0x0
	s_delay_alu instid0(VALU_DEP_1)
	v_cmpx_lt_i64_e64 v[6:7], v[4:5]
	s_cbranch_execz .LBB180_13
; %bb.10:                               ;   in Loop: Header=BB180_9 Depth=1
	v_lshl_add_u64 v[8:9], v[6:7], 2, s[6:7]
	v_mov_b32_e32 v15, 0
	s_mov_b32 s22, 0
.LBB180_11:                             ;   Parent Loop BB180_9 Depth=1
                                        ; =>  This Inner Loop Header: Depth=2
	global_load_b32 v3, v[8:9], off
	v_add_nc_u64_e32 v[16:17], s[8:9], v[6:7]
	v_add_nc_u64_e32 v[6:7], 32, v[6:7]
	s_wait_xcnt 0x0
	v_add_nc_u64_e32 v[8:9], 0x80, v[8:9]
	global_load_i8 v18, v[16:17], off
	s_wait_loadcnt 0x1
	global_load_i8 v19, v3, s[10:11]
	v_cmp_ge_i64_e32 vcc_lo, v[6:7], v[4:5]
	s_or_b32 s22, vcc_lo, s22
	s_wait_loadcnt 0x1
	s_wait_xcnt 0x0
	v_cvt_f32_i32_e32 v3, v18
	s_wait_loadcnt 0x0
	v_cvt_f32_i32_e32 v16, v19
	s_delay_alu instid0(VALU_DEP_2) | instskip(NEXT) | instid1(VALU_DEP_1)
	v_mul_f32_e32 v3, s12, v3
	v_fmac_f32_e32 v15, v3, v16
	s_and_not1_b32 exec_lo, exec_lo, s22
	s_cbranch_execnz .LBB180_11
; %bb.12:                               ;   in Loop: Header=BB180_9 Depth=1
	s_or_b32 exec_lo, exec_lo, s22
.LBB180_13:                             ;   in Loop: Header=BB180_9 Depth=1
	s_delay_alu instid0(SALU_CYCLE_1)
	s_or_b32 exec_lo, exec_lo, s21
	ds_bpermute_b32 v4, v10, v15
	s_wait_dscnt 0x0
	v_dual_add_f32 v4, v15, v4 :: v_dual_ashrrev_i32 v3, 31, v2
	ds_bpermute_b32 v5, v11, v4
	s_wait_dscnt 0x0
	v_add_f32_e32 v4, v4, v5
	ds_bpermute_b32 v5, v12, v4
	s_wait_dscnt 0x0
	v_add_f32_e32 v4, v4, v5
	;; [unrolled: 3-line block ×3, first 2 shown]
	ds_bpermute_b32 v5, v14, v4
	s_and_saveexec_b32 s21, s0
	s_cbranch_execz .LBB180_8
; %bb.14:                               ;   in Loop: Header=BB180_9 Depth=1
	s_wait_dscnt 0x0
	v_add_f32_e32 v6, v4, v5
	v_lshl_add_u64 v[4:5], v[2:3], 2, s[18:19]
	s_and_not1_b32 vcc_lo, exec_lo, s17
	s_cbranch_vccnz .LBB180_7
; %bb.15:                               ;   in Loop: Header=BB180_9 Depth=1
	global_load_b32 v3, v[4:5], off
	s_wait_loadcnt 0x0
	v_fmac_f32_e32 v6, s16, v3
	s_branch .LBB180_7
.LBB180_16:
	s_endpgm
	.section	.rodata,"a",@progbits
	.p2align	6, 0x0
	.amdhsa_kernel _ZN9rocsparseL21csrmvn_general_kernelILj256ELj32EliaaffEEvbT2_NS_24const_host_device_scalarIT6_EEPKT1_S7_PKS1_PKT3_PKT4_S4_PT5_21rocsparse_index_base_b
		.amdhsa_group_segment_fixed_size 0
		.amdhsa_private_segment_fixed_size 0
		.amdhsa_kernarg_size 336
		.amdhsa_user_sgpr_count 2
		.amdhsa_user_sgpr_dispatch_ptr 0
		.amdhsa_user_sgpr_queue_ptr 0
		.amdhsa_user_sgpr_kernarg_segment_ptr 1
		.amdhsa_user_sgpr_dispatch_id 0
		.amdhsa_user_sgpr_kernarg_preload_length 0
		.amdhsa_user_sgpr_kernarg_preload_offset 0
		.amdhsa_user_sgpr_private_segment_size 0
		.amdhsa_wavefront_size32 1
		.amdhsa_uses_dynamic_stack 0
		.amdhsa_enable_private_segment 0
		.amdhsa_system_sgpr_workgroup_id_x 1
		.amdhsa_system_sgpr_workgroup_id_y 0
		.amdhsa_system_sgpr_workgroup_id_z 0
		.amdhsa_system_sgpr_workgroup_info 0
		.amdhsa_system_vgpr_workitem_id 0
		.amdhsa_next_free_vgpr 20
		.amdhsa_next_free_sgpr 23
		.amdhsa_named_barrier_count 0
		.amdhsa_reserve_vcc 1
		.amdhsa_float_round_mode_32 0
		.amdhsa_float_round_mode_16_64 0
		.amdhsa_float_denorm_mode_32 3
		.amdhsa_float_denorm_mode_16_64 3
		.amdhsa_fp16_overflow 0
		.amdhsa_memory_ordered 1
		.amdhsa_forward_progress 1
		.amdhsa_inst_pref_size 7
		.amdhsa_round_robin_scheduling 0
		.amdhsa_exception_fp_ieee_invalid_op 0
		.amdhsa_exception_fp_denorm_src 0
		.amdhsa_exception_fp_ieee_div_zero 0
		.amdhsa_exception_fp_ieee_overflow 0
		.amdhsa_exception_fp_ieee_underflow 0
		.amdhsa_exception_fp_ieee_inexact 0
		.amdhsa_exception_int_div_zero 0
	.end_amdhsa_kernel
	.section	.text._ZN9rocsparseL21csrmvn_general_kernelILj256ELj32EliaaffEEvbT2_NS_24const_host_device_scalarIT6_EEPKT1_S7_PKS1_PKT3_PKT4_S4_PT5_21rocsparse_index_base_b,"axG",@progbits,_ZN9rocsparseL21csrmvn_general_kernelILj256ELj32EliaaffEEvbT2_NS_24const_host_device_scalarIT6_EEPKT1_S7_PKS1_PKT3_PKT4_S4_PT5_21rocsparse_index_base_b,comdat
.Lfunc_end180:
	.size	_ZN9rocsparseL21csrmvn_general_kernelILj256ELj32EliaaffEEvbT2_NS_24const_host_device_scalarIT6_EEPKT1_S7_PKS1_PKT3_PKT4_S4_PT5_21rocsparse_index_base_b, .Lfunc_end180-_ZN9rocsparseL21csrmvn_general_kernelILj256ELj32EliaaffEEvbT2_NS_24const_host_device_scalarIT6_EEPKT1_S7_PKS1_PKT3_PKT4_S4_PT5_21rocsparse_index_base_b
                                        ; -- End function
	.set _ZN9rocsparseL21csrmvn_general_kernelILj256ELj32EliaaffEEvbT2_NS_24const_host_device_scalarIT6_EEPKT1_S7_PKS1_PKT3_PKT4_S4_PT5_21rocsparse_index_base_b.num_vgpr, 20
	.set _ZN9rocsparseL21csrmvn_general_kernelILj256ELj32EliaaffEEvbT2_NS_24const_host_device_scalarIT6_EEPKT1_S7_PKS1_PKT3_PKT4_S4_PT5_21rocsparse_index_base_b.num_agpr, 0
	.set _ZN9rocsparseL21csrmvn_general_kernelILj256ELj32EliaaffEEvbT2_NS_24const_host_device_scalarIT6_EEPKT1_S7_PKS1_PKT3_PKT4_S4_PT5_21rocsparse_index_base_b.numbered_sgpr, 23
	.set _ZN9rocsparseL21csrmvn_general_kernelILj256ELj32EliaaffEEvbT2_NS_24const_host_device_scalarIT6_EEPKT1_S7_PKS1_PKT3_PKT4_S4_PT5_21rocsparse_index_base_b.num_named_barrier, 0
	.set _ZN9rocsparseL21csrmvn_general_kernelILj256ELj32EliaaffEEvbT2_NS_24const_host_device_scalarIT6_EEPKT1_S7_PKS1_PKT3_PKT4_S4_PT5_21rocsparse_index_base_b.private_seg_size, 0
	.set _ZN9rocsparseL21csrmvn_general_kernelILj256ELj32EliaaffEEvbT2_NS_24const_host_device_scalarIT6_EEPKT1_S7_PKS1_PKT3_PKT4_S4_PT5_21rocsparse_index_base_b.uses_vcc, 1
	.set _ZN9rocsparseL21csrmvn_general_kernelILj256ELj32EliaaffEEvbT2_NS_24const_host_device_scalarIT6_EEPKT1_S7_PKS1_PKT3_PKT4_S4_PT5_21rocsparse_index_base_b.uses_flat_scratch, 0
	.set _ZN9rocsparseL21csrmvn_general_kernelILj256ELj32EliaaffEEvbT2_NS_24const_host_device_scalarIT6_EEPKT1_S7_PKS1_PKT3_PKT4_S4_PT5_21rocsparse_index_base_b.has_dyn_sized_stack, 0
	.set _ZN9rocsparseL21csrmvn_general_kernelILj256ELj32EliaaffEEvbT2_NS_24const_host_device_scalarIT6_EEPKT1_S7_PKS1_PKT3_PKT4_S4_PT5_21rocsparse_index_base_b.has_recursion, 0
	.set _ZN9rocsparseL21csrmvn_general_kernelILj256ELj32EliaaffEEvbT2_NS_24const_host_device_scalarIT6_EEPKT1_S7_PKS1_PKT3_PKT4_S4_PT5_21rocsparse_index_base_b.has_indirect_call, 0
	.section	.AMDGPU.csdata,"",@progbits
; Kernel info:
; codeLenInByte = 816
; TotalNumSgprs: 25
; NumVgprs: 20
; ScratchSize: 0
; MemoryBound: 0
; FloatMode: 240
; IeeeMode: 1
; LDSByteSize: 0 bytes/workgroup (compile time only)
; SGPRBlocks: 0
; VGPRBlocks: 1
; NumSGPRsForWavesPerEU: 25
; NumVGPRsForWavesPerEU: 20
; NamedBarCnt: 0
; Occupancy: 16
; WaveLimiterHint : 1
; COMPUTE_PGM_RSRC2:SCRATCH_EN: 0
; COMPUTE_PGM_RSRC2:USER_SGPR: 2
; COMPUTE_PGM_RSRC2:TRAP_HANDLER: 0
; COMPUTE_PGM_RSRC2:TGID_X_EN: 1
; COMPUTE_PGM_RSRC2:TGID_Y_EN: 0
; COMPUTE_PGM_RSRC2:TGID_Z_EN: 0
; COMPUTE_PGM_RSRC2:TIDIG_COMP_CNT: 0
	.section	.text._ZN9rocsparseL21csrmvn_general_kernelILj256ELj64EliaaffEEvbT2_NS_24const_host_device_scalarIT6_EEPKT1_S7_PKS1_PKT3_PKT4_S4_PT5_21rocsparse_index_base_b,"axG",@progbits,_ZN9rocsparseL21csrmvn_general_kernelILj256ELj64EliaaffEEvbT2_NS_24const_host_device_scalarIT6_EEPKT1_S7_PKS1_PKT3_PKT4_S4_PT5_21rocsparse_index_base_b,comdat
	.globl	_ZN9rocsparseL21csrmvn_general_kernelILj256ELj64EliaaffEEvbT2_NS_24const_host_device_scalarIT6_EEPKT1_S7_PKS1_PKT3_PKT4_S4_PT5_21rocsparse_index_base_b ; -- Begin function _ZN9rocsparseL21csrmvn_general_kernelILj256ELj64EliaaffEEvbT2_NS_24const_host_device_scalarIT6_EEPKT1_S7_PKS1_PKT3_PKT4_S4_PT5_21rocsparse_index_base_b
	.p2align	8
	.type	_ZN9rocsparseL21csrmvn_general_kernelILj256ELj64EliaaffEEvbT2_NS_24const_host_device_scalarIT6_EEPKT1_S7_PKS1_PKT3_PKT4_S4_PT5_21rocsparse_index_base_b,@function
_ZN9rocsparseL21csrmvn_general_kernelILj256ELj64EliaaffEEvbT2_NS_24const_host_device_scalarIT6_EEPKT1_S7_PKS1_PKT3_PKT4_S4_PT5_21rocsparse_index_base_b: ; @_ZN9rocsparseL21csrmvn_general_kernelILj256ELj64EliaaffEEvbT2_NS_24const_host_device_scalarIT6_EEPKT1_S7_PKS1_PKT3_PKT4_S4_PT5_21rocsparse_index_base_b
; %bb.0:
	s_clause 0x2
	s_load_b64 s[2:3], s[0:1], 0x48
	s_load_b128 s[12:15], s[0:1], 0x8
	s_load_b64 s[16:17], s[0:1], 0x38
	s_wait_kmcnt 0x0
	s_bitcmp1_b32 s3, 0
	s_cselect_b32 s3, -1, 0
	s_delay_alu instid0(SALU_CYCLE_1)
	s_and_b32 vcc_lo, exec_lo, s3
	s_xor_b32 s3, s3, -1
	s_cbranch_vccnz .LBB181_2
; %bb.1:
	s_load_b32 s12, s[12:13], 0x0
.LBB181_2:
	s_and_not1_b32 vcc_lo, exec_lo, s3
	s_cbranch_vccnz .LBB181_4
; %bb.3:
	s_load_b32 s16, s[16:17], 0x0
.LBB181_4:
	s_wait_kmcnt 0x0
	s_cmp_neq_f32 s12, 0
	s_cselect_b32 s3, -1, 0
	s_cmp_neq_f32 s16, 1.0
	s_cselect_b32 s4, -1, 0
	s_delay_alu instid0(SALU_CYCLE_1) | instskip(NEXT) | instid1(SALU_CYCLE_1)
	s_or_b32 s3, s3, s4
	s_and_not1_b32 vcc_lo, exec_lo, s3
	s_cbranch_vccnz .LBB181_16
; %bb.5:
	s_bfe_u32 s3, ttmp6, 0x4000c
	s_load_b32 s13, s[0:1], 0x4
	s_add_co_i32 s3, s3, 1
	s_and_b32 s4, ttmp6, 15
	s_mul_i32 s3, ttmp9, s3
	s_getreg_b32 s5, hwreg(HW_REG_IB_STS2, 6, 4)
	s_add_co_i32 s4, s4, s3
	s_cmp_eq_u32 s5, 0
	s_cselect_b32 s3, ttmp9, s4
	s_delay_alu instid0(SALU_CYCLE_1) | instskip(SKIP_1) | instid1(VALU_DEP_1)
	v_lshl_or_b32 v1, s3, 8, v0
	s_mov_b32 s3, exec_lo
	v_lshrrev_b32_e32 v2, 6, v1
	s_wait_kmcnt 0x0
	s_delay_alu instid0(VALU_DEP_1)
	v_cmpx_gt_i32_e64 s13, v2
	s_cbranch_execz .LBB181_16
; %bb.6:
	v_mbcnt_lo_u32_b32 v3, -1, 0
	v_dual_mov_b32 v5, 0 :: v_dual_bitop2_b32 v4, 63, v0 bitop3:0x40
	s_mov_b32 s3, 0
	s_load_b32 s17, s[0:1], 0x50
	s_delay_alu instid0(VALU_DEP_2)
	v_xor_b32_e32 v1, 16, v3
	v_or_b32_e32 v0, 32, v3
	s_clause 0x1
	s_load_b64 s[18:19], s[0:1], 0x40
	s_load_b256 s[4:11], s[0:1], 0x18
	s_wait_xcnt 0x0
	s_ashr_i32 s1, s2, 31
	s_mov_b32 s0, s2
	v_cmp_gt_i32_e32 vcc_lo, 32, v0
	s_sub_nc_u64 s[20:21], 0, s[0:1]
	v_cmp_eq_u32_e64 s0, 63, v4
	v_cndmask_b32_e32 v6, v3, v0, vcc_lo
	v_cmp_gt_i32_e32 vcc_lo, 32, v1
	s_delay_alu instid0(VALU_DEP_2)
	v_dual_cndmask_b32 v7, v3, v1 :: v_dual_lshlrev_b32 v10, 2, v6
	v_sub_nc_u64_e64 v[0:1], v[4:5], s[2:3]
	v_xor_b32_e32 v5, 8, v3
	s_wait_kmcnt 0x0
	s_lshl_b32 s1, s17, 2
	s_cmp_neq_f32 s16, 0
	s_add_nc_u64 s[10:11], s[10:11], s[20:21]
	s_mov_b32 s20, s3
	v_cmp_gt_i32_e32 vcc_lo, 32, v5
	v_lshlrev_b32_e32 v11, 2, v7
	s_cselect_b32 s17, -1, 0
	v_dual_cndmask_b32 v5, v3, v5, vcc_lo :: v_dual_bitop2_b32 v8, 1, v3 bitop3:0x14
	s_delay_alu instid0(VALU_DEP_1) | instskip(NEXT) | instid1(VALU_DEP_1)
	v_dual_lshlrev_b32 v12, 2, v5 :: v_dual_bitop2_b32 v6, 4, v3 bitop3:0x14
	v_cmp_gt_i32_e32 vcc_lo, 32, v6
	v_dual_cndmask_b32 v6, v3, v6, vcc_lo :: v_dual_bitop2_b32 v7, 2, v3 bitop3:0x14
	s_delay_alu instid0(VALU_DEP_1) | instskip(NEXT) | instid1(VALU_DEP_2)
	v_cmp_gt_i32_e32 vcc_lo, 32, v7
	v_dual_lshlrev_b32 v13, 2, v6 :: v_dual_cndmask_b32 v7, v3, v7, vcc_lo
	v_cmp_gt_i32_e32 vcc_lo, 32, v8
	s_delay_alu instid0(VALU_DEP_2) | instskip(NEXT) | instid1(VALU_DEP_1)
	v_dual_cndmask_b32 v3, v3, v8 :: v_dual_lshlrev_b32 v14, 2, v7
	v_lshlrev_b32_e32 v15, 2, v3
	s_branch .LBB181_9
.LBB181_7:                              ;   in Loop: Header=BB181_9 Depth=1
	global_store_b32 v[4:5], v6, off
.LBB181_8:                              ;   in Loop: Header=BB181_9 Depth=1
	s_wait_xcnt 0x0
	s_or_b32 exec_lo, exec_lo, s21
	v_add_nc_u32_e32 v2, s1, v2
	s_delay_alu instid0(VALU_DEP_1) | instskip(SKIP_1) | instid1(SALU_CYCLE_1)
	v_cmp_le_i32_e32 vcc_lo, s13, v2
	s_or_b32 s20, vcc_lo, s20
	s_and_not1_b32 exec_lo, exec_lo, s20
	s_cbranch_execz .LBB181_16
.LBB181_9:                              ; =>This Loop Header: Depth=1
                                        ;     Child Loop BB181_11 Depth 2
	s_wait_dscnt 0x0
	s_clause 0x1
	global_load_b64 v[4:5], v2, s[4:5] scale_offset
	global_load_b64 v[6:7], v2, s[14:15] scale_offset
	v_mov_b32_e32 v16, 0
	s_mov_b32 s21, exec_lo
	s_wait_loadcnt 0x1
	v_sub_nc_u64_e64 v[4:5], v[4:5], s[2:3]
	s_wait_loadcnt 0x0
	v_add_nc_u64_e32 v[6:7], v[6:7], v[0:1]
	s_wait_xcnt 0x0
	s_delay_alu instid0(VALU_DEP_1)
	v_cmpx_lt_i64_e64 v[6:7], v[4:5]
	s_cbranch_execz .LBB181_13
; %bb.10:                               ;   in Loop: Header=BB181_9 Depth=1
	v_lshl_add_u64 v[8:9], v[6:7], 2, s[6:7]
	v_mov_b32_e32 v16, 0
	s_mov_b32 s22, 0
.LBB181_11:                             ;   Parent Loop BB181_9 Depth=1
                                        ; =>  This Inner Loop Header: Depth=2
	global_load_b32 v3, v[8:9], off
	v_add_nc_u64_e32 v[18:19], s[8:9], v[6:7]
	v_add_nc_u64_e32 v[6:7], 64, v[6:7]
	s_wait_xcnt 0x0
	v_add_nc_u64_e32 v[8:9], 0x100, v[8:9]
	global_load_i8 v17, v[18:19], off
	s_wait_loadcnt 0x1
	global_load_i8 v20, v3, s[10:11]
	v_cmp_ge_i64_e32 vcc_lo, v[6:7], v[4:5]
	s_or_b32 s22, vcc_lo, s22
	s_wait_loadcnt 0x1
	s_wait_xcnt 0x0
	v_cvt_f32_i32_e32 v3, v17
	s_wait_loadcnt 0x0
	v_cvt_f32_i32_e32 v17, v20
	s_delay_alu instid0(VALU_DEP_2) | instskip(NEXT) | instid1(VALU_DEP_1)
	v_mul_f32_e32 v3, s12, v3
	v_fmac_f32_e32 v16, v3, v17
	s_and_not1_b32 exec_lo, exec_lo, s22
	s_cbranch_execnz .LBB181_11
; %bb.12:                               ;   in Loop: Header=BB181_9 Depth=1
	s_or_b32 exec_lo, exec_lo, s22
.LBB181_13:                             ;   in Loop: Header=BB181_9 Depth=1
	s_delay_alu instid0(SALU_CYCLE_1)
	s_or_b32 exec_lo, exec_lo, s21
	ds_bpermute_b32 v4, v10, v16
	s_wait_dscnt 0x0
	v_dual_add_f32 v4, v16, v4 :: v_dual_ashrrev_i32 v3, 31, v2
	ds_bpermute_b32 v5, v11, v4
	s_wait_dscnt 0x0
	v_add_f32_e32 v4, v4, v5
	ds_bpermute_b32 v5, v12, v4
	s_wait_dscnt 0x0
	v_add_f32_e32 v4, v4, v5
	;; [unrolled: 3-line block ×4, first 2 shown]
	ds_bpermute_b32 v5, v15, v4
	s_and_saveexec_b32 s21, s0
	s_cbranch_execz .LBB181_8
; %bb.14:                               ;   in Loop: Header=BB181_9 Depth=1
	s_wait_dscnt 0x0
	v_add_f32_e32 v6, v4, v5
	v_lshl_add_u64 v[4:5], v[2:3], 2, s[18:19]
	s_and_not1_b32 vcc_lo, exec_lo, s17
	s_cbranch_vccnz .LBB181_7
; %bb.15:                               ;   in Loop: Header=BB181_9 Depth=1
	global_load_b32 v3, v[4:5], off
	s_wait_loadcnt 0x0
	v_fmac_f32_e32 v6, s16, v3
	s_branch .LBB181_7
.LBB181_16:
	s_endpgm
	.section	.rodata,"a",@progbits
	.p2align	6, 0x0
	.amdhsa_kernel _ZN9rocsparseL21csrmvn_general_kernelILj256ELj64EliaaffEEvbT2_NS_24const_host_device_scalarIT6_EEPKT1_S7_PKS1_PKT3_PKT4_S4_PT5_21rocsparse_index_base_b
		.amdhsa_group_segment_fixed_size 0
		.amdhsa_private_segment_fixed_size 0
		.amdhsa_kernarg_size 336
		.amdhsa_user_sgpr_count 2
		.amdhsa_user_sgpr_dispatch_ptr 0
		.amdhsa_user_sgpr_queue_ptr 0
		.amdhsa_user_sgpr_kernarg_segment_ptr 1
		.amdhsa_user_sgpr_dispatch_id 0
		.amdhsa_user_sgpr_kernarg_preload_length 0
		.amdhsa_user_sgpr_kernarg_preload_offset 0
		.amdhsa_user_sgpr_private_segment_size 0
		.amdhsa_wavefront_size32 1
		.amdhsa_uses_dynamic_stack 0
		.amdhsa_enable_private_segment 0
		.amdhsa_system_sgpr_workgroup_id_x 1
		.amdhsa_system_sgpr_workgroup_id_y 0
		.amdhsa_system_sgpr_workgroup_id_z 0
		.amdhsa_system_sgpr_workgroup_info 0
		.amdhsa_system_vgpr_workitem_id 0
		.amdhsa_next_free_vgpr 21
		.amdhsa_next_free_sgpr 23
		.amdhsa_named_barrier_count 0
		.amdhsa_reserve_vcc 1
		.amdhsa_float_round_mode_32 0
		.amdhsa_float_round_mode_16_64 0
		.amdhsa_float_denorm_mode_32 3
		.amdhsa_float_denorm_mode_16_64 3
		.amdhsa_fp16_overflow 0
		.amdhsa_memory_ordered 1
		.amdhsa_forward_progress 1
		.amdhsa_inst_pref_size 7
		.amdhsa_round_robin_scheduling 0
		.amdhsa_exception_fp_ieee_invalid_op 0
		.amdhsa_exception_fp_denorm_src 0
		.amdhsa_exception_fp_ieee_div_zero 0
		.amdhsa_exception_fp_ieee_overflow 0
		.amdhsa_exception_fp_ieee_underflow 0
		.amdhsa_exception_fp_ieee_inexact 0
		.amdhsa_exception_int_div_zero 0
	.end_amdhsa_kernel
	.section	.text._ZN9rocsparseL21csrmvn_general_kernelILj256ELj64EliaaffEEvbT2_NS_24const_host_device_scalarIT6_EEPKT1_S7_PKS1_PKT3_PKT4_S4_PT5_21rocsparse_index_base_b,"axG",@progbits,_ZN9rocsparseL21csrmvn_general_kernelILj256ELj64EliaaffEEvbT2_NS_24const_host_device_scalarIT6_EEPKT1_S7_PKS1_PKT3_PKT4_S4_PT5_21rocsparse_index_base_b,comdat
.Lfunc_end181:
	.size	_ZN9rocsparseL21csrmvn_general_kernelILj256ELj64EliaaffEEvbT2_NS_24const_host_device_scalarIT6_EEPKT1_S7_PKS1_PKT3_PKT4_S4_PT5_21rocsparse_index_base_b, .Lfunc_end181-_ZN9rocsparseL21csrmvn_general_kernelILj256ELj64EliaaffEEvbT2_NS_24const_host_device_scalarIT6_EEPKT1_S7_PKS1_PKT3_PKT4_S4_PT5_21rocsparse_index_base_b
                                        ; -- End function
	.set _ZN9rocsparseL21csrmvn_general_kernelILj256ELj64EliaaffEEvbT2_NS_24const_host_device_scalarIT6_EEPKT1_S7_PKS1_PKT3_PKT4_S4_PT5_21rocsparse_index_base_b.num_vgpr, 21
	.set _ZN9rocsparseL21csrmvn_general_kernelILj256ELj64EliaaffEEvbT2_NS_24const_host_device_scalarIT6_EEPKT1_S7_PKS1_PKT3_PKT4_S4_PT5_21rocsparse_index_base_b.num_agpr, 0
	.set _ZN9rocsparseL21csrmvn_general_kernelILj256ELj64EliaaffEEvbT2_NS_24const_host_device_scalarIT6_EEPKT1_S7_PKS1_PKT3_PKT4_S4_PT5_21rocsparse_index_base_b.numbered_sgpr, 23
	.set _ZN9rocsparseL21csrmvn_general_kernelILj256ELj64EliaaffEEvbT2_NS_24const_host_device_scalarIT6_EEPKT1_S7_PKS1_PKT3_PKT4_S4_PT5_21rocsparse_index_base_b.num_named_barrier, 0
	.set _ZN9rocsparseL21csrmvn_general_kernelILj256ELj64EliaaffEEvbT2_NS_24const_host_device_scalarIT6_EEPKT1_S7_PKS1_PKT3_PKT4_S4_PT5_21rocsparse_index_base_b.private_seg_size, 0
	.set _ZN9rocsparseL21csrmvn_general_kernelILj256ELj64EliaaffEEvbT2_NS_24const_host_device_scalarIT6_EEPKT1_S7_PKS1_PKT3_PKT4_S4_PT5_21rocsparse_index_base_b.uses_vcc, 1
	.set _ZN9rocsparseL21csrmvn_general_kernelILj256ELj64EliaaffEEvbT2_NS_24const_host_device_scalarIT6_EEPKT1_S7_PKS1_PKT3_PKT4_S4_PT5_21rocsparse_index_base_b.uses_flat_scratch, 0
	.set _ZN9rocsparseL21csrmvn_general_kernelILj256ELj64EliaaffEEvbT2_NS_24const_host_device_scalarIT6_EEPKT1_S7_PKS1_PKT3_PKT4_S4_PT5_21rocsparse_index_base_b.has_dyn_sized_stack, 0
	.set _ZN9rocsparseL21csrmvn_general_kernelILj256ELj64EliaaffEEvbT2_NS_24const_host_device_scalarIT6_EEPKT1_S7_PKS1_PKT3_PKT4_S4_PT5_21rocsparse_index_base_b.has_recursion, 0
	.set _ZN9rocsparseL21csrmvn_general_kernelILj256ELj64EliaaffEEvbT2_NS_24const_host_device_scalarIT6_EEPKT1_S7_PKS1_PKT3_PKT4_S4_PT5_21rocsparse_index_base_b.has_indirect_call, 0
	.section	.AMDGPU.csdata,"",@progbits
; Kernel info:
; codeLenInByte = 856
; TotalNumSgprs: 25
; NumVgprs: 21
; ScratchSize: 0
; MemoryBound: 0
; FloatMode: 240
; IeeeMode: 1
; LDSByteSize: 0 bytes/workgroup (compile time only)
; SGPRBlocks: 0
; VGPRBlocks: 1
; NumSGPRsForWavesPerEU: 25
; NumVGPRsForWavesPerEU: 21
; NamedBarCnt: 0
; Occupancy: 16
; WaveLimiterHint : 1
; COMPUTE_PGM_RSRC2:SCRATCH_EN: 0
; COMPUTE_PGM_RSRC2:USER_SGPR: 2
; COMPUTE_PGM_RSRC2:TRAP_HANDLER: 0
; COMPUTE_PGM_RSRC2:TGID_X_EN: 1
; COMPUTE_PGM_RSRC2:TGID_Y_EN: 0
; COMPUTE_PGM_RSRC2:TGID_Z_EN: 0
; COMPUTE_PGM_RSRC2:TIDIG_COMP_CNT: 0
	.section	.text._ZN9rocsparseL21csrmvt_general_kernelILj256ELj4EliaaffEEvbbT2_NS_24const_host_device_scalarIT6_EEPKT1_S7_PKS1_PKT3_PKT4_PT5_21rocsparse_index_base_b,"axG",@progbits,_ZN9rocsparseL21csrmvt_general_kernelILj256ELj4EliaaffEEvbbT2_NS_24const_host_device_scalarIT6_EEPKT1_S7_PKS1_PKT3_PKT4_PT5_21rocsparse_index_base_b,comdat
	.globl	_ZN9rocsparseL21csrmvt_general_kernelILj256ELj4EliaaffEEvbbT2_NS_24const_host_device_scalarIT6_EEPKT1_S7_PKS1_PKT3_PKT4_PT5_21rocsparse_index_base_b ; -- Begin function _ZN9rocsparseL21csrmvt_general_kernelILj256ELj4EliaaffEEvbbT2_NS_24const_host_device_scalarIT6_EEPKT1_S7_PKS1_PKT3_PKT4_PT5_21rocsparse_index_base_b
	.p2align	8
	.type	_ZN9rocsparseL21csrmvt_general_kernelILj256ELj4EliaaffEEvbbT2_NS_24const_host_device_scalarIT6_EEPKT1_S7_PKS1_PKT3_PKT4_PT5_21rocsparse_index_base_b,@function
_ZN9rocsparseL21csrmvt_general_kernelILj256ELj4EliaaffEEvbbT2_NS_24const_host_device_scalarIT6_EEPKT1_S7_PKS1_PKT3_PKT4_PT5_21rocsparse_index_base_b: ; @_ZN9rocsparseL21csrmvt_general_kernelILj256ELj4EliaaffEEvbbT2_NS_24const_host_device_scalarIT6_EEPKT1_S7_PKS1_PKT3_PKT4_PT5_21rocsparse_index_base_b
; %bb.0:
	s_clause 0x1
	s_load_b64 s[2:3], s[0:1], 0x40
	s_load_b128 s[12:15], s[0:1], 0x8
	s_wait_kmcnt 0x0
	s_bitcmp1_b32 s3, 0
	s_cselect_b32 s3, -1, 0
	s_delay_alu instid0(SALU_CYCLE_1)
	s_and_b32 vcc_lo, exec_lo, s3
	s_cbranch_vccnz .LBB182_2
; %bb.1:
	s_load_b32 s12, s[12:13], 0x0
.LBB182_2:
	s_wait_kmcnt 0x0
	s_cmp_eq_f32 s12, 0
	s_cbranch_scc1 .LBB182_20
; %bb.3:
	s_clause 0x3
	s_load_b64 s[16:17], s[0:1], 0x0
	s_load_b32 s3, s[0:1], 0x48
	s_load_b64 s[18:19], s[0:1], 0x38
	s_load_b256 s[4:11], s[0:1], 0x18
	s_wait_xcnt 0x0
	s_bfe_u32 s0, ttmp6, 0x4000c
	s_and_b32 s13, ttmp6, 15
	s_add_co_i32 s0, s0, 1
	s_getreg_b32 s20, hwreg(HW_REG_IB_STS2, 6, 4)
	s_mul_i32 s0, ttmp9, s0
	s_delay_alu instid0(SALU_CYCLE_1)
	s_add_co_i32 s13, s13, s0
	s_wait_kmcnt 0x0
	s_and_b32 s16, s16, 1
	s_lshl_b32 s1, s3, 6
	s_cmp_eq_u32 s20, 0
	s_mov_b32 s3, -1
	s_cselect_b32 s0, ttmp9, s13
	s_cmp_eq_u32 s16, 0
	v_lshl_or_b32 v1, s0, 8, v0
	s_delay_alu instid0(VALU_DEP_1) | instskip(NEXT) | instid1(VALU_DEP_1)
	v_dual_lshrrev_b32 v2, 2, v1 :: v_dual_bitop2_b32 v0, 3, v0 bitop3:0x40
	v_cmp_gt_i32_e64 s0, s17, v2
	s_cbranch_scc0 .LBB182_11
; %bb.4:
	s_and_saveexec_b32 s13, s0
	s_cbranch_execz .LBB182_10
; %bb.5:
	v_dual_mov_b32 v1, 0 :: v_dual_mov_b32 v6, v2
	s_mov_b32 s3, 0
	s_delay_alu instid0(SALU_CYCLE_1) | instskip(NEXT) | instid1(VALU_DEP_1)
	s_mov_b32 s16, s3
	v_sub_nc_u64_e64 v[4:5], v[0:1], s[2:3]
	s_branch .LBB182_7
.LBB182_6:                              ;   in Loop: Header=BB182_7 Depth=1
	s_or_b32 exec_lo, exec_lo, s20
	v_add_nc_u32_e32 v6, s1, v6
	s_delay_alu instid0(VALU_DEP_1) | instskip(SKIP_1) | instid1(SALU_CYCLE_1)
	v_cmp_le_i32_e32 vcc_lo, s17, v6
	s_or_b32 s16, vcc_lo, s16
	s_and_not1_b32 exec_lo, exec_lo, s16
	s_cbranch_execz .LBB182_10
.LBB182_7:                              ; =>This Loop Header: Depth=1
                                        ;     Child Loop BB182_9 Depth 2
	s_clause 0x1
	global_load_b64 v[8:9], v6, s[4:5] scale_offset
	global_load_b64 v[10:11], v6, s[14:15] scale_offset
	s_mov_b32 s20, exec_lo
	s_wait_loadcnt 0x1
	v_sub_nc_u64_e64 v[8:9], v[8:9], s[2:3]
	s_wait_loadcnt 0x0
	v_add_nc_u64_e32 v[10:11], v[10:11], v[4:5]
	s_wait_xcnt 0x0
	s_delay_alu instid0(VALU_DEP_1)
	v_cmpx_lt_i64_e64 v[10:11], v[8:9]
	s_cbranch_execz .LBB182_6
; %bb.8:                                ;   in Loop: Header=BB182_7 Depth=1
	v_ashrrev_i32_e32 v7, 31, v6
	s_mov_b32 s21, 0
	s_delay_alu instid0(VALU_DEP_1)
	v_add_nc_u64_e32 v[12:13], s[10:11], v[6:7]
	global_load_i8 v1, v[12:13], off
	s_wait_xcnt 0x0
	v_lshl_add_u64 v[12:13], v[10:11], 2, s[6:7]
	s_wait_loadcnt 0x0
	v_cvt_f32_i32_e32 v1, v1
	s_delay_alu instid0(VALU_DEP_1)
	v_mul_f32_e32 v1, s12, v1
.LBB182_9:                              ;   Parent Loop BB182_7 Depth=1
                                        ; =>  This Inner Loop Header: Depth=2
	v_add_nc_u64_e32 v[14:15], s[8:9], v[10:11]
	v_add_nc_u64_e32 v[10:11], 4, v[10:11]
	global_load_i8 v3, v[14:15], off
	global_load_b32 v7, v[12:13], off
	v_cmp_ge_i64_e32 vcc_lo, v[10:11], v[8:9]
	s_wait_xcnt 0x0
	v_add_nc_u64_e32 v[12:13], 16, v[12:13]
	s_or_b32 s21, vcc_lo, s21
	s_wait_loadcnt 0x1
	v_cvt_f32_i32_e32 v3, v3
	s_wait_loadcnt 0x0
	v_subrev_nc_u32_e32 v7, s2, v7
	s_delay_alu instid0(VALU_DEP_2)
	v_mul_f32_e32 v3, v1, v3
	global_atomic_add_f32 v7, v3, s[18:19] scale_offset scope:SCOPE_DEV
	s_wait_xcnt 0x0
	s_and_not1_b32 exec_lo, exec_lo, s21
	s_cbranch_execnz .LBB182_9
	s_branch .LBB182_6
.LBB182_10:
	s_or_b32 exec_lo, exec_lo, s13
	s_mov_b32 s3, 0
.LBB182_11:
	s_delay_alu instid0(SALU_CYCLE_1)
	s_and_not1_b32 vcc_lo, exec_lo, s3
	s_cbranch_vccnz .LBB182_20
; %bb.12:
	s_and_saveexec_b32 s3, s0
	s_cbranch_execz .LBB182_20
; %bb.13:
	v_mov_b32_e32 v1, 0
	s_mov_b32 s3, 0
	s_delay_alu instid0(SALU_CYCLE_1) | instskip(NEXT) | instid1(VALU_DEP_1)
	s_mov_b32 s0, s3
	v_sub_nc_u64_e64 v[0:1], v[0:1], s[2:3]
	s_branch .LBB182_15
.LBB182_14:                             ;   in Loop: Header=BB182_15 Depth=1
	s_or_b32 exec_lo, exec_lo, s13
	v_add_nc_u32_e32 v2, s1, v2
	s_delay_alu instid0(VALU_DEP_1) | instskip(SKIP_1) | instid1(SALU_CYCLE_1)
	v_cmp_le_i32_e32 vcc_lo, s17, v2
	s_or_b32 s0, vcc_lo, s0
	s_and_not1_b32 exec_lo, exec_lo, s0
	s_cbranch_execz .LBB182_20
.LBB182_15:                             ; =>This Loop Header: Depth=1
                                        ;     Child Loop BB182_18 Depth 2
	s_clause 0x1
	global_load_b64 v[4:5], v2, s[4:5] scale_offset
	global_load_b64 v[6:7], v2, s[14:15] scale_offset
	s_mov_b32 s13, exec_lo
	s_wait_loadcnt 0x1
	v_sub_nc_u64_e64 v[4:5], v[4:5], s[2:3]
	s_wait_loadcnt 0x0
	v_add_nc_u64_e32 v[6:7], v[6:7], v[0:1]
	s_wait_xcnt 0x0
	s_delay_alu instid0(VALU_DEP_1)
	v_cmpx_lt_i64_e64 v[6:7], v[4:5]
	s_cbranch_execz .LBB182_14
; %bb.16:                               ;   in Loop: Header=BB182_15 Depth=1
	v_ashrrev_i32_e32 v3, 31, v2
	s_mov_b32 s16, 0
	s_delay_alu instid0(VALU_DEP_1)
	v_add_nc_u64_e32 v[8:9], s[10:11], v[2:3]
	global_load_i8 v3, v[8:9], off
	s_wait_xcnt 0x0
	v_lshl_add_u64 v[8:9], v[6:7], 2, s[6:7]
	s_wait_loadcnt 0x0
	v_cvt_f32_i32_e32 v3, v3
	s_delay_alu instid0(VALU_DEP_1)
	v_mul_f32_e32 v3, s12, v3
	s_branch .LBB182_18
.LBB182_17:                             ;   in Loop: Header=BB182_18 Depth=2
	s_wait_xcnt 0x0
	s_or_b32 exec_lo, exec_lo, s20
	v_add_nc_u64_e32 v[6:7], 4, v[6:7]
	v_add_nc_u64_e32 v[8:9], 16, v[8:9]
	s_delay_alu instid0(VALU_DEP_2) | instskip(SKIP_1) | instid1(SALU_CYCLE_1)
	v_cmp_ge_i64_e32 vcc_lo, v[6:7], v[4:5]
	s_or_b32 s16, vcc_lo, s16
	s_and_not1_b32 exec_lo, exec_lo, s16
	s_cbranch_execz .LBB182_14
.LBB182_18:                             ;   Parent Loop BB182_15 Depth=1
                                        ; =>  This Inner Loop Header: Depth=2
	global_load_b32 v10, v[8:9], off
	s_mov_b32 s20, exec_lo
	s_wait_loadcnt 0x0
	v_subrev_nc_u32_e32 v10, s2, v10
	s_wait_xcnt 0x0
	s_delay_alu instid0(VALU_DEP_1)
	v_cmpx_ne_u32_e64 v10, v2
	s_cbranch_execz .LBB182_17
; %bb.19:                               ;   in Loop: Header=BB182_18 Depth=2
	v_add_nc_u64_e32 v[12:13], s[8:9], v[6:7]
	global_load_i8 v11, v[12:13], off
	s_wait_loadcnt 0x0
	v_cvt_f32_i32_e32 v11, v11
	s_delay_alu instid0(VALU_DEP_1)
	v_mul_f32_e32 v11, v3, v11
	s_wait_xcnt 0x0
	global_atomic_add_f32 v10, v11, s[18:19] scale_offset scope:SCOPE_DEV
	s_branch .LBB182_17
.LBB182_20:
	s_endpgm
	.section	.rodata,"a",@progbits
	.p2align	6, 0x0
	.amdhsa_kernel _ZN9rocsparseL21csrmvt_general_kernelILj256ELj4EliaaffEEvbbT2_NS_24const_host_device_scalarIT6_EEPKT1_S7_PKS1_PKT3_PKT4_PT5_21rocsparse_index_base_b
		.amdhsa_group_segment_fixed_size 0
		.amdhsa_private_segment_fixed_size 0
		.amdhsa_kernarg_size 328
		.amdhsa_user_sgpr_count 2
		.amdhsa_user_sgpr_dispatch_ptr 0
		.amdhsa_user_sgpr_queue_ptr 0
		.amdhsa_user_sgpr_kernarg_segment_ptr 1
		.amdhsa_user_sgpr_dispatch_id 0
		.amdhsa_user_sgpr_kernarg_preload_length 0
		.amdhsa_user_sgpr_kernarg_preload_offset 0
		.amdhsa_user_sgpr_private_segment_size 0
		.amdhsa_wavefront_size32 1
		.amdhsa_uses_dynamic_stack 0
		.amdhsa_enable_private_segment 0
		.amdhsa_system_sgpr_workgroup_id_x 1
		.amdhsa_system_sgpr_workgroup_id_y 0
		.amdhsa_system_sgpr_workgroup_id_z 0
		.amdhsa_system_sgpr_workgroup_info 0
		.amdhsa_system_vgpr_workitem_id 0
		.amdhsa_next_free_vgpr 16
		.amdhsa_next_free_sgpr 22
		.amdhsa_named_barrier_count 0
		.amdhsa_reserve_vcc 1
		.amdhsa_float_round_mode_32 0
		.amdhsa_float_round_mode_16_64 0
		.amdhsa_float_denorm_mode_32 3
		.amdhsa_float_denorm_mode_16_64 3
		.amdhsa_fp16_overflow 0
		.amdhsa_memory_ordered 1
		.amdhsa_forward_progress 1
		.amdhsa_inst_pref_size 7
		.amdhsa_round_robin_scheduling 0
		.amdhsa_exception_fp_ieee_invalid_op 0
		.amdhsa_exception_fp_denorm_src 0
		.amdhsa_exception_fp_ieee_div_zero 0
		.amdhsa_exception_fp_ieee_overflow 0
		.amdhsa_exception_fp_ieee_underflow 0
		.amdhsa_exception_fp_ieee_inexact 0
		.amdhsa_exception_int_div_zero 0
	.end_amdhsa_kernel
	.section	.text._ZN9rocsparseL21csrmvt_general_kernelILj256ELj4EliaaffEEvbbT2_NS_24const_host_device_scalarIT6_EEPKT1_S7_PKS1_PKT3_PKT4_PT5_21rocsparse_index_base_b,"axG",@progbits,_ZN9rocsparseL21csrmvt_general_kernelILj256ELj4EliaaffEEvbbT2_NS_24const_host_device_scalarIT6_EEPKT1_S7_PKS1_PKT3_PKT4_PT5_21rocsparse_index_base_b,comdat
.Lfunc_end182:
	.size	_ZN9rocsparseL21csrmvt_general_kernelILj256ELj4EliaaffEEvbbT2_NS_24const_host_device_scalarIT6_EEPKT1_S7_PKS1_PKT3_PKT4_PT5_21rocsparse_index_base_b, .Lfunc_end182-_ZN9rocsparseL21csrmvt_general_kernelILj256ELj4EliaaffEEvbbT2_NS_24const_host_device_scalarIT6_EEPKT1_S7_PKS1_PKT3_PKT4_PT5_21rocsparse_index_base_b
                                        ; -- End function
	.set _ZN9rocsparseL21csrmvt_general_kernelILj256ELj4EliaaffEEvbbT2_NS_24const_host_device_scalarIT6_EEPKT1_S7_PKS1_PKT3_PKT4_PT5_21rocsparse_index_base_b.num_vgpr, 16
	.set _ZN9rocsparseL21csrmvt_general_kernelILj256ELj4EliaaffEEvbbT2_NS_24const_host_device_scalarIT6_EEPKT1_S7_PKS1_PKT3_PKT4_PT5_21rocsparse_index_base_b.num_agpr, 0
	.set _ZN9rocsparseL21csrmvt_general_kernelILj256ELj4EliaaffEEvbbT2_NS_24const_host_device_scalarIT6_EEPKT1_S7_PKS1_PKT3_PKT4_PT5_21rocsparse_index_base_b.numbered_sgpr, 22
	.set _ZN9rocsparseL21csrmvt_general_kernelILj256ELj4EliaaffEEvbbT2_NS_24const_host_device_scalarIT6_EEPKT1_S7_PKS1_PKT3_PKT4_PT5_21rocsparse_index_base_b.num_named_barrier, 0
	.set _ZN9rocsparseL21csrmvt_general_kernelILj256ELj4EliaaffEEvbbT2_NS_24const_host_device_scalarIT6_EEPKT1_S7_PKS1_PKT3_PKT4_PT5_21rocsparse_index_base_b.private_seg_size, 0
	.set _ZN9rocsparseL21csrmvt_general_kernelILj256ELj4EliaaffEEvbbT2_NS_24const_host_device_scalarIT6_EEPKT1_S7_PKS1_PKT3_PKT4_PT5_21rocsparse_index_base_b.uses_vcc, 1
	.set _ZN9rocsparseL21csrmvt_general_kernelILj256ELj4EliaaffEEvbbT2_NS_24const_host_device_scalarIT6_EEPKT1_S7_PKS1_PKT3_PKT4_PT5_21rocsparse_index_base_b.uses_flat_scratch, 0
	.set _ZN9rocsparseL21csrmvt_general_kernelILj256ELj4EliaaffEEvbbT2_NS_24const_host_device_scalarIT6_EEPKT1_S7_PKS1_PKT3_PKT4_PT5_21rocsparse_index_base_b.has_dyn_sized_stack, 0
	.set _ZN9rocsparseL21csrmvt_general_kernelILj256ELj4EliaaffEEvbbT2_NS_24const_host_device_scalarIT6_EEPKT1_S7_PKS1_PKT3_PKT4_PT5_21rocsparse_index_base_b.has_recursion, 0
	.set _ZN9rocsparseL21csrmvt_general_kernelILj256ELj4EliaaffEEvbbT2_NS_24const_host_device_scalarIT6_EEPKT1_S7_PKS1_PKT3_PKT4_PT5_21rocsparse_index_base_b.has_indirect_call, 0
	.section	.AMDGPU.csdata,"",@progbits
; Kernel info:
; codeLenInByte = 848
; TotalNumSgprs: 24
; NumVgprs: 16
; ScratchSize: 0
; MemoryBound: 0
; FloatMode: 240
; IeeeMode: 1
; LDSByteSize: 0 bytes/workgroup (compile time only)
; SGPRBlocks: 0
; VGPRBlocks: 0
; NumSGPRsForWavesPerEU: 24
; NumVGPRsForWavesPerEU: 16
; NamedBarCnt: 0
; Occupancy: 16
; WaveLimiterHint : 1
; COMPUTE_PGM_RSRC2:SCRATCH_EN: 0
; COMPUTE_PGM_RSRC2:USER_SGPR: 2
; COMPUTE_PGM_RSRC2:TRAP_HANDLER: 0
; COMPUTE_PGM_RSRC2:TGID_X_EN: 1
; COMPUTE_PGM_RSRC2:TGID_Y_EN: 0
; COMPUTE_PGM_RSRC2:TGID_Z_EN: 0
; COMPUTE_PGM_RSRC2:TIDIG_COMP_CNT: 0
	.section	.text._ZN9rocsparseL21csrmvt_general_kernelILj256ELj8EliaaffEEvbbT2_NS_24const_host_device_scalarIT6_EEPKT1_S7_PKS1_PKT3_PKT4_PT5_21rocsparse_index_base_b,"axG",@progbits,_ZN9rocsparseL21csrmvt_general_kernelILj256ELj8EliaaffEEvbbT2_NS_24const_host_device_scalarIT6_EEPKT1_S7_PKS1_PKT3_PKT4_PT5_21rocsparse_index_base_b,comdat
	.globl	_ZN9rocsparseL21csrmvt_general_kernelILj256ELj8EliaaffEEvbbT2_NS_24const_host_device_scalarIT6_EEPKT1_S7_PKS1_PKT3_PKT4_PT5_21rocsparse_index_base_b ; -- Begin function _ZN9rocsparseL21csrmvt_general_kernelILj256ELj8EliaaffEEvbbT2_NS_24const_host_device_scalarIT6_EEPKT1_S7_PKS1_PKT3_PKT4_PT5_21rocsparse_index_base_b
	.p2align	8
	.type	_ZN9rocsparseL21csrmvt_general_kernelILj256ELj8EliaaffEEvbbT2_NS_24const_host_device_scalarIT6_EEPKT1_S7_PKS1_PKT3_PKT4_PT5_21rocsparse_index_base_b,@function
_ZN9rocsparseL21csrmvt_general_kernelILj256ELj8EliaaffEEvbbT2_NS_24const_host_device_scalarIT6_EEPKT1_S7_PKS1_PKT3_PKT4_PT5_21rocsparse_index_base_b: ; @_ZN9rocsparseL21csrmvt_general_kernelILj256ELj8EliaaffEEvbbT2_NS_24const_host_device_scalarIT6_EEPKT1_S7_PKS1_PKT3_PKT4_PT5_21rocsparse_index_base_b
; %bb.0:
	s_clause 0x1
	s_load_b64 s[2:3], s[0:1], 0x40
	s_load_b128 s[12:15], s[0:1], 0x8
	s_wait_kmcnt 0x0
	s_bitcmp1_b32 s3, 0
	s_cselect_b32 s3, -1, 0
	s_delay_alu instid0(SALU_CYCLE_1)
	s_and_b32 vcc_lo, exec_lo, s3
	s_cbranch_vccnz .LBB183_2
; %bb.1:
	s_load_b32 s12, s[12:13], 0x0
.LBB183_2:
	s_wait_kmcnt 0x0
	s_cmp_eq_f32 s12, 0
	s_cbranch_scc1 .LBB183_20
; %bb.3:
	s_clause 0x3
	s_load_b64 s[16:17], s[0:1], 0x0
	s_load_b32 s3, s[0:1], 0x48
	s_load_b64 s[18:19], s[0:1], 0x38
	s_load_b256 s[4:11], s[0:1], 0x18
	s_wait_xcnt 0x0
	s_bfe_u32 s0, ttmp6, 0x4000c
	s_and_b32 s13, ttmp6, 15
	s_add_co_i32 s0, s0, 1
	s_getreg_b32 s20, hwreg(HW_REG_IB_STS2, 6, 4)
	s_mul_i32 s0, ttmp9, s0
	s_delay_alu instid0(SALU_CYCLE_1)
	s_add_co_i32 s13, s13, s0
	s_wait_kmcnt 0x0
	s_and_b32 s16, s16, 1
	s_lshl_b32 s1, s3, 5
	s_cmp_eq_u32 s20, 0
	s_mov_b32 s3, -1
	s_cselect_b32 s0, ttmp9, s13
	s_cmp_eq_u32 s16, 0
	v_lshl_or_b32 v1, s0, 8, v0
	s_delay_alu instid0(VALU_DEP_1) | instskip(NEXT) | instid1(VALU_DEP_1)
	v_dual_lshrrev_b32 v2, 3, v1 :: v_dual_bitop2_b32 v0, 7, v0 bitop3:0x40
	v_cmp_gt_i32_e64 s0, s17, v2
	s_cbranch_scc0 .LBB183_11
; %bb.4:
	s_and_saveexec_b32 s13, s0
	s_cbranch_execz .LBB183_10
; %bb.5:
	v_dual_mov_b32 v1, 0 :: v_dual_mov_b32 v6, v2
	s_mov_b32 s3, 0
	s_delay_alu instid0(SALU_CYCLE_1) | instskip(NEXT) | instid1(VALU_DEP_1)
	s_mov_b32 s16, s3
	v_sub_nc_u64_e64 v[4:5], v[0:1], s[2:3]
	s_branch .LBB183_7
.LBB183_6:                              ;   in Loop: Header=BB183_7 Depth=1
	s_or_b32 exec_lo, exec_lo, s20
	v_add_nc_u32_e32 v6, s1, v6
	s_delay_alu instid0(VALU_DEP_1) | instskip(SKIP_1) | instid1(SALU_CYCLE_1)
	v_cmp_le_i32_e32 vcc_lo, s17, v6
	s_or_b32 s16, vcc_lo, s16
	s_and_not1_b32 exec_lo, exec_lo, s16
	s_cbranch_execz .LBB183_10
.LBB183_7:                              ; =>This Loop Header: Depth=1
                                        ;     Child Loop BB183_9 Depth 2
	s_clause 0x1
	global_load_b64 v[8:9], v6, s[4:5] scale_offset
	global_load_b64 v[10:11], v6, s[14:15] scale_offset
	s_mov_b32 s20, exec_lo
	s_wait_loadcnt 0x1
	v_sub_nc_u64_e64 v[8:9], v[8:9], s[2:3]
	s_wait_loadcnt 0x0
	v_add_nc_u64_e32 v[10:11], v[10:11], v[4:5]
	s_wait_xcnt 0x0
	s_delay_alu instid0(VALU_DEP_1)
	v_cmpx_lt_i64_e64 v[10:11], v[8:9]
	s_cbranch_execz .LBB183_6
; %bb.8:                                ;   in Loop: Header=BB183_7 Depth=1
	v_ashrrev_i32_e32 v7, 31, v6
	s_mov_b32 s21, 0
	s_delay_alu instid0(VALU_DEP_1)
	v_add_nc_u64_e32 v[12:13], s[10:11], v[6:7]
	global_load_i8 v1, v[12:13], off
	s_wait_xcnt 0x0
	v_lshl_add_u64 v[12:13], v[10:11], 2, s[6:7]
	s_wait_loadcnt 0x0
	v_cvt_f32_i32_e32 v1, v1
	s_delay_alu instid0(VALU_DEP_1)
	v_mul_f32_e32 v1, s12, v1
.LBB183_9:                              ;   Parent Loop BB183_7 Depth=1
                                        ; =>  This Inner Loop Header: Depth=2
	v_add_nc_u64_e32 v[14:15], s[8:9], v[10:11]
	v_add_nc_u64_e32 v[10:11], 8, v[10:11]
	global_load_i8 v3, v[14:15], off
	global_load_b32 v7, v[12:13], off
	v_cmp_ge_i64_e32 vcc_lo, v[10:11], v[8:9]
	s_wait_xcnt 0x0
	v_add_nc_u64_e32 v[12:13], 32, v[12:13]
	s_or_b32 s21, vcc_lo, s21
	s_wait_loadcnt 0x1
	v_cvt_f32_i32_e32 v3, v3
	s_wait_loadcnt 0x0
	v_subrev_nc_u32_e32 v7, s2, v7
	s_delay_alu instid0(VALU_DEP_2)
	v_mul_f32_e32 v3, v1, v3
	global_atomic_add_f32 v7, v3, s[18:19] scale_offset scope:SCOPE_DEV
	s_wait_xcnt 0x0
	s_and_not1_b32 exec_lo, exec_lo, s21
	s_cbranch_execnz .LBB183_9
	s_branch .LBB183_6
.LBB183_10:
	s_or_b32 exec_lo, exec_lo, s13
	s_mov_b32 s3, 0
.LBB183_11:
	s_delay_alu instid0(SALU_CYCLE_1)
	s_and_not1_b32 vcc_lo, exec_lo, s3
	s_cbranch_vccnz .LBB183_20
; %bb.12:
	s_and_saveexec_b32 s3, s0
	s_cbranch_execz .LBB183_20
; %bb.13:
	v_mov_b32_e32 v1, 0
	s_mov_b32 s3, 0
	s_delay_alu instid0(SALU_CYCLE_1) | instskip(NEXT) | instid1(VALU_DEP_1)
	s_mov_b32 s0, s3
	v_sub_nc_u64_e64 v[0:1], v[0:1], s[2:3]
	s_branch .LBB183_15
.LBB183_14:                             ;   in Loop: Header=BB183_15 Depth=1
	s_or_b32 exec_lo, exec_lo, s13
	v_add_nc_u32_e32 v2, s1, v2
	s_delay_alu instid0(VALU_DEP_1) | instskip(SKIP_1) | instid1(SALU_CYCLE_1)
	v_cmp_le_i32_e32 vcc_lo, s17, v2
	s_or_b32 s0, vcc_lo, s0
	s_and_not1_b32 exec_lo, exec_lo, s0
	s_cbranch_execz .LBB183_20
.LBB183_15:                             ; =>This Loop Header: Depth=1
                                        ;     Child Loop BB183_18 Depth 2
	s_clause 0x1
	global_load_b64 v[4:5], v2, s[4:5] scale_offset
	global_load_b64 v[6:7], v2, s[14:15] scale_offset
	s_mov_b32 s13, exec_lo
	s_wait_loadcnt 0x1
	v_sub_nc_u64_e64 v[4:5], v[4:5], s[2:3]
	s_wait_loadcnt 0x0
	v_add_nc_u64_e32 v[6:7], v[6:7], v[0:1]
	s_wait_xcnt 0x0
	s_delay_alu instid0(VALU_DEP_1)
	v_cmpx_lt_i64_e64 v[6:7], v[4:5]
	s_cbranch_execz .LBB183_14
; %bb.16:                               ;   in Loop: Header=BB183_15 Depth=1
	v_ashrrev_i32_e32 v3, 31, v2
	s_mov_b32 s16, 0
	s_delay_alu instid0(VALU_DEP_1)
	v_add_nc_u64_e32 v[8:9], s[10:11], v[2:3]
	global_load_i8 v3, v[8:9], off
	s_wait_xcnt 0x0
	v_lshl_add_u64 v[8:9], v[6:7], 2, s[6:7]
	s_wait_loadcnt 0x0
	v_cvt_f32_i32_e32 v3, v3
	s_delay_alu instid0(VALU_DEP_1)
	v_mul_f32_e32 v3, s12, v3
	s_branch .LBB183_18
.LBB183_17:                             ;   in Loop: Header=BB183_18 Depth=2
	s_wait_xcnt 0x0
	s_or_b32 exec_lo, exec_lo, s20
	v_add_nc_u64_e32 v[6:7], 8, v[6:7]
	v_add_nc_u64_e32 v[8:9], 32, v[8:9]
	s_delay_alu instid0(VALU_DEP_2) | instskip(SKIP_1) | instid1(SALU_CYCLE_1)
	v_cmp_ge_i64_e32 vcc_lo, v[6:7], v[4:5]
	s_or_b32 s16, vcc_lo, s16
	s_and_not1_b32 exec_lo, exec_lo, s16
	s_cbranch_execz .LBB183_14
.LBB183_18:                             ;   Parent Loop BB183_15 Depth=1
                                        ; =>  This Inner Loop Header: Depth=2
	global_load_b32 v10, v[8:9], off
	s_mov_b32 s20, exec_lo
	s_wait_loadcnt 0x0
	v_subrev_nc_u32_e32 v10, s2, v10
	s_wait_xcnt 0x0
	s_delay_alu instid0(VALU_DEP_1)
	v_cmpx_ne_u32_e64 v10, v2
	s_cbranch_execz .LBB183_17
; %bb.19:                               ;   in Loop: Header=BB183_18 Depth=2
	v_add_nc_u64_e32 v[12:13], s[8:9], v[6:7]
	global_load_i8 v11, v[12:13], off
	s_wait_loadcnt 0x0
	v_cvt_f32_i32_e32 v11, v11
	s_delay_alu instid0(VALU_DEP_1)
	v_mul_f32_e32 v11, v3, v11
	s_wait_xcnt 0x0
	global_atomic_add_f32 v10, v11, s[18:19] scale_offset scope:SCOPE_DEV
	s_branch .LBB183_17
.LBB183_20:
	s_endpgm
	.section	.rodata,"a",@progbits
	.p2align	6, 0x0
	.amdhsa_kernel _ZN9rocsparseL21csrmvt_general_kernelILj256ELj8EliaaffEEvbbT2_NS_24const_host_device_scalarIT6_EEPKT1_S7_PKS1_PKT3_PKT4_PT5_21rocsparse_index_base_b
		.amdhsa_group_segment_fixed_size 0
		.amdhsa_private_segment_fixed_size 0
		.amdhsa_kernarg_size 328
		.amdhsa_user_sgpr_count 2
		.amdhsa_user_sgpr_dispatch_ptr 0
		.amdhsa_user_sgpr_queue_ptr 0
		.amdhsa_user_sgpr_kernarg_segment_ptr 1
		.amdhsa_user_sgpr_dispatch_id 0
		.amdhsa_user_sgpr_kernarg_preload_length 0
		.amdhsa_user_sgpr_kernarg_preload_offset 0
		.amdhsa_user_sgpr_private_segment_size 0
		.amdhsa_wavefront_size32 1
		.amdhsa_uses_dynamic_stack 0
		.amdhsa_enable_private_segment 0
		.amdhsa_system_sgpr_workgroup_id_x 1
		.amdhsa_system_sgpr_workgroup_id_y 0
		.amdhsa_system_sgpr_workgroup_id_z 0
		.amdhsa_system_sgpr_workgroup_info 0
		.amdhsa_system_vgpr_workitem_id 0
		.amdhsa_next_free_vgpr 16
		.amdhsa_next_free_sgpr 22
		.amdhsa_named_barrier_count 0
		.amdhsa_reserve_vcc 1
		.amdhsa_float_round_mode_32 0
		.amdhsa_float_round_mode_16_64 0
		.amdhsa_float_denorm_mode_32 3
		.amdhsa_float_denorm_mode_16_64 3
		.amdhsa_fp16_overflow 0
		.amdhsa_memory_ordered 1
		.amdhsa_forward_progress 1
		.amdhsa_inst_pref_size 7
		.amdhsa_round_robin_scheduling 0
		.amdhsa_exception_fp_ieee_invalid_op 0
		.amdhsa_exception_fp_denorm_src 0
		.amdhsa_exception_fp_ieee_div_zero 0
		.amdhsa_exception_fp_ieee_overflow 0
		.amdhsa_exception_fp_ieee_underflow 0
		.amdhsa_exception_fp_ieee_inexact 0
		.amdhsa_exception_int_div_zero 0
	.end_amdhsa_kernel
	.section	.text._ZN9rocsparseL21csrmvt_general_kernelILj256ELj8EliaaffEEvbbT2_NS_24const_host_device_scalarIT6_EEPKT1_S7_PKS1_PKT3_PKT4_PT5_21rocsparse_index_base_b,"axG",@progbits,_ZN9rocsparseL21csrmvt_general_kernelILj256ELj8EliaaffEEvbbT2_NS_24const_host_device_scalarIT6_EEPKT1_S7_PKS1_PKT3_PKT4_PT5_21rocsparse_index_base_b,comdat
.Lfunc_end183:
	.size	_ZN9rocsparseL21csrmvt_general_kernelILj256ELj8EliaaffEEvbbT2_NS_24const_host_device_scalarIT6_EEPKT1_S7_PKS1_PKT3_PKT4_PT5_21rocsparse_index_base_b, .Lfunc_end183-_ZN9rocsparseL21csrmvt_general_kernelILj256ELj8EliaaffEEvbbT2_NS_24const_host_device_scalarIT6_EEPKT1_S7_PKS1_PKT3_PKT4_PT5_21rocsparse_index_base_b
                                        ; -- End function
	.set _ZN9rocsparseL21csrmvt_general_kernelILj256ELj8EliaaffEEvbbT2_NS_24const_host_device_scalarIT6_EEPKT1_S7_PKS1_PKT3_PKT4_PT5_21rocsparse_index_base_b.num_vgpr, 16
	.set _ZN9rocsparseL21csrmvt_general_kernelILj256ELj8EliaaffEEvbbT2_NS_24const_host_device_scalarIT6_EEPKT1_S7_PKS1_PKT3_PKT4_PT5_21rocsparse_index_base_b.num_agpr, 0
	.set _ZN9rocsparseL21csrmvt_general_kernelILj256ELj8EliaaffEEvbbT2_NS_24const_host_device_scalarIT6_EEPKT1_S7_PKS1_PKT3_PKT4_PT5_21rocsparse_index_base_b.numbered_sgpr, 22
	.set _ZN9rocsparseL21csrmvt_general_kernelILj256ELj8EliaaffEEvbbT2_NS_24const_host_device_scalarIT6_EEPKT1_S7_PKS1_PKT3_PKT4_PT5_21rocsparse_index_base_b.num_named_barrier, 0
	.set _ZN9rocsparseL21csrmvt_general_kernelILj256ELj8EliaaffEEvbbT2_NS_24const_host_device_scalarIT6_EEPKT1_S7_PKS1_PKT3_PKT4_PT5_21rocsparse_index_base_b.private_seg_size, 0
	.set _ZN9rocsparseL21csrmvt_general_kernelILj256ELj8EliaaffEEvbbT2_NS_24const_host_device_scalarIT6_EEPKT1_S7_PKS1_PKT3_PKT4_PT5_21rocsparse_index_base_b.uses_vcc, 1
	.set _ZN9rocsparseL21csrmvt_general_kernelILj256ELj8EliaaffEEvbbT2_NS_24const_host_device_scalarIT6_EEPKT1_S7_PKS1_PKT3_PKT4_PT5_21rocsparse_index_base_b.uses_flat_scratch, 0
	.set _ZN9rocsparseL21csrmvt_general_kernelILj256ELj8EliaaffEEvbbT2_NS_24const_host_device_scalarIT6_EEPKT1_S7_PKS1_PKT3_PKT4_PT5_21rocsparse_index_base_b.has_dyn_sized_stack, 0
	.set _ZN9rocsparseL21csrmvt_general_kernelILj256ELj8EliaaffEEvbbT2_NS_24const_host_device_scalarIT6_EEPKT1_S7_PKS1_PKT3_PKT4_PT5_21rocsparse_index_base_b.has_recursion, 0
	.set _ZN9rocsparseL21csrmvt_general_kernelILj256ELj8EliaaffEEvbbT2_NS_24const_host_device_scalarIT6_EEPKT1_S7_PKS1_PKT3_PKT4_PT5_21rocsparse_index_base_b.has_indirect_call, 0
	.section	.AMDGPU.csdata,"",@progbits
; Kernel info:
; codeLenInByte = 848
; TotalNumSgprs: 24
; NumVgprs: 16
; ScratchSize: 0
; MemoryBound: 0
; FloatMode: 240
; IeeeMode: 1
; LDSByteSize: 0 bytes/workgroup (compile time only)
; SGPRBlocks: 0
; VGPRBlocks: 0
; NumSGPRsForWavesPerEU: 24
; NumVGPRsForWavesPerEU: 16
; NamedBarCnt: 0
; Occupancy: 16
; WaveLimiterHint : 1
; COMPUTE_PGM_RSRC2:SCRATCH_EN: 0
; COMPUTE_PGM_RSRC2:USER_SGPR: 2
; COMPUTE_PGM_RSRC2:TRAP_HANDLER: 0
; COMPUTE_PGM_RSRC2:TGID_X_EN: 1
; COMPUTE_PGM_RSRC2:TGID_Y_EN: 0
; COMPUTE_PGM_RSRC2:TGID_Z_EN: 0
; COMPUTE_PGM_RSRC2:TIDIG_COMP_CNT: 0
	.section	.text._ZN9rocsparseL21csrmvt_general_kernelILj256ELj16EliaaffEEvbbT2_NS_24const_host_device_scalarIT6_EEPKT1_S7_PKS1_PKT3_PKT4_PT5_21rocsparse_index_base_b,"axG",@progbits,_ZN9rocsparseL21csrmvt_general_kernelILj256ELj16EliaaffEEvbbT2_NS_24const_host_device_scalarIT6_EEPKT1_S7_PKS1_PKT3_PKT4_PT5_21rocsparse_index_base_b,comdat
	.globl	_ZN9rocsparseL21csrmvt_general_kernelILj256ELj16EliaaffEEvbbT2_NS_24const_host_device_scalarIT6_EEPKT1_S7_PKS1_PKT3_PKT4_PT5_21rocsparse_index_base_b ; -- Begin function _ZN9rocsparseL21csrmvt_general_kernelILj256ELj16EliaaffEEvbbT2_NS_24const_host_device_scalarIT6_EEPKT1_S7_PKS1_PKT3_PKT4_PT5_21rocsparse_index_base_b
	.p2align	8
	.type	_ZN9rocsparseL21csrmvt_general_kernelILj256ELj16EliaaffEEvbbT2_NS_24const_host_device_scalarIT6_EEPKT1_S7_PKS1_PKT3_PKT4_PT5_21rocsparse_index_base_b,@function
_ZN9rocsparseL21csrmvt_general_kernelILj256ELj16EliaaffEEvbbT2_NS_24const_host_device_scalarIT6_EEPKT1_S7_PKS1_PKT3_PKT4_PT5_21rocsparse_index_base_b: ; @_ZN9rocsparseL21csrmvt_general_kernelILj256ELj16EliaaffEEvbbT2_NS_24const_host_device_scalarIT6_EEPKT1_S7_PKS1_PKT3_PKT4_PT5_21rocsparse_index_base_b
; %bb.0:
	s_clause 0x1
	s_load_b64 s[2:3], s[0:1], 0x40
	s_load_b128 s[12:15], s[0:1], 0x8
	s_wait_kmcnt 0x0
	s_bitcmp1_b32 s3, 0
	s_cselect_b32 s3, -1, 0
	s_delay_alu instid0(SALU_CYCLE_1)
	s_and_b32 vcc_lo, exec_lo, s3
	s_cbranch_vccnz .LBB184_2
; %bb.1:
	s_load_b32 s12, s[12:13], 0x0
.LBB184_2:
	s_wait_kmcnt 0x0
	s_cmp_eq_f32 s12, 0
	s_cbranch_scc1 .LBB184_20
; %bb.3:
	s_clause 0x3
	s_load_b64 s[16:17], s[0:1], 0x0
	s_load_b32 s3, s[0:1], 0x48
	s_load_b64 s[18:19], s[0:1], 0x38
	s_load_b256 s[4:11], s[0:1], 0x18
	s_wait_xcnt 0x0
	s_bfe_u32 s0, ttmp6, 0x4000c
	s_and_b32 s13, ttmp6, 15
	s_add_co_i32 s0, s0, 1
	s_getreg_b32 s20, hwreg(HW_REG_IB_STS2, 6, 4)
	s_mul_i32 s0, ttmp9, s0
	s_delay_alu instid0(SALU_CYCLE_1)
	s_add_co_i32 s13, s13, s0
	s_wait_kmcnt 0x0
	s_and_b32 s16, s16, 1
	s_lshl_b32 s1, s3, 4
	s_cmp_eq_u32 s20, 0
	s_mov_b32 s3, -1
	s_cselect_b32 s0, ttmp9, s13
	s_cmp_eq_u32 s16, 0
	v_lshl_or_b32 v1, s0, 8, v0
	s_delay_alu instid0(VALU_DEP_1) | instskip(NEXT) | instid1(VALU_DEP_1)
	v_dual_lshrrev_b32 v2, 4, v1 :: v_dual_bitop2_b32 v0, 15, v0 bitop3:0x40
	v_cmp_gt_i32_e64 s0, s17, v2
	s_cbranch_scc0 .LBB184_11
; %bb.4:
	s_and_saveexec_b32 s13, s0
	s_cbranch_execz .LBB184_10
; %bb.5:
	v_dual_mov_b32 v1, 0 :: v_dual_mov_b32 v6, v2
	s_mov_b32 s3, 0
	s_delay_alu instid0(SALU_CYCLE_1) | instskip(NEXT) | instid1(VALU_DEP_1)
	s_mov_b32 s16, s3
	v_sub_nc_u64_e64 v[4:5], v[0:1], s[2:3]
	s_branch .LBB184_7
.LBB184_6:                              ;   in Loop: Header=BB184_7 Depth=1
	s_or_b32 exec_lo, exec_lo, s20
	v_add_nc_u32_e32 v6, s1, v6
	s_delay_alu instid0(VALU_DEP_1) | instskip(SKIP_1) | instid1(SALU_CYCLE_1)
	v_cmp_le_i32_e32 vcc_lo, s17, v6
	s_or_b32 s16, vcc_lo, s16
	s_and_not1_b32 exec_lo, exec_lo, s16
	s_cbranch_execz .LBB184_10
.LBB184_7:                              ; =>This Loop Header: Depth=1
                                        ;     Child Loop BB184_9 Depth 2
	s_clause 0x1
	global_load_b64 v[8:9], v6, s[4:5] scale_offset
	global_load_b64 v[10:11], v6, s[14:15] scale_offset
	s_mov_b32 s20, exec_lo
	s_wait_loadcnt 0x1
	v_sub_nc_u64_e64 v[8:9], v[8:9], s[2:3]
	s_wait_loadcnt 0x0
	v_add_nc_u64_e32 v[10:11], v[10:11], v[4:5]
	s_wait_xcnt 0x0
	s_delay_alu instid0(VALU_DEP_1)
	v_cmpx_lt_i64_e64 v[10:11], v[8:9]
	s_cbranch_execz .LBB184_6
; %bb.8:                                ;   in Loop: Header=BB184_7 Depth=1
	v_ashrrev_i32_e32 v7, 31, v6
	s_mov_b32 s21, 0
	s_delay_alu instid0(VALU_DEP_1)
	v_add_nc_u64_e32 v[12:13], s[10:11], v[6:7]
	global_load_i8 v1, v[12:13], off
	s_wait_xcnt 0x0
	v_lshl_add_u64 v[12:13], v[10:11], 2, s[6:7]
	s_wait_loadcnt 0x0
	v_cvt_f32_i32_e32 v1, v1
	s_delay_alu instid0(VALU_DEP_1)
	v_mul_f32_e32 v1, s12, v1
.LBB184_9:                              ;   Parent Loop BB184_7 Depth=1
                                        ; =>  This Inner Loop Header: Depth=2
	v_add_nc_u64_e32 v[14:15], s[8:9], v[10:11]
	v_add_nc_u64_e32 v[10:11], 16, v[10:11]
	global_load_i8 v3, v[14:15], off
	global_load_b32 v7, v[12:13], off
	v_cmp_ge_i64_e32 vcc_lo, v[10:11], v[8:9]
	s_wait_xcnt 0x0
	v_add_nc_u64_e32 v[12:13], 64, v[12:13]
	s_or_b32 s21, vcc_lo, s21
	s_wait_loadcnt 0x1
	v_cvt_f32_i32_e32 v3, v3
	s_wait_loadcnt 0x0
	v_subrev_nc_u32_e32 v7, s2, v7
	s_delay_alu instid0(VALU_DEP_2)
	v_mul_f32_e32 v3, v1, v3
	global_atomic_add_f32 v7, v3, s[18:19] scale_offset scope:SCOPE_DEV
	s_wait_xcnt 0x0
	s_and_not1_b32 exec_lo, exec_lo, s21
	s_cbranch_execnz .LBB184_9
	s_branch .LBB184_6
.LBB184_10:
	s_or_b32 exec_lo, exec_lo, s13
	s_mov_b32 s3, 0
.LBB184_11:
	s_delay_alu instid0(SALU_CYCLE_1)
	s_and_not1_b32 vcc_lo, exec_lo, s3
	s_cbranch_vccnz .LBB184_20
; %bb.12:
	s_and_saveexec_b32 s3, s0
	s_cbranch_execz .LBB184_20
; %bb.13:
	v_mov_b32_e32 v1, 0
	s_mov_b32 s3, 0
	s_delay_alu instid0(SALU_CYCLE_1) | instskip(NEXT) | instid1(VALU_DEP_1)
	s_mov_b32 s0, s3
	v_sub_nc_u64_e64 v[0:1], v[0:1], s[2:3]
	s_branch .LBB184_15
.LBB184_14:                             ;   in Loop: Header=BB184_15 Depth=1
	s_or_b32 exec_lo, exec_lo, s13
	v_add_nc_u32_e32 v2, s1, v2
	s_delay_alu instid0(VALU_DEP_1) | instskip(SKIP_1) | instid1(SALU_CYCLE_1)
	v_cmp_le_i32_e32 vcc_lo, s17, v2
	s_or_b32 s0, vcc_lo, s0
	s_and_not1_b32 exec_lo, exec_lo, s0
	s_cbranch_execz .LBB184_20
.LBB184_15:                             ; =>This Loop Header: Depth=1
                                        ;     Child Loop BB184_18 Depth 2
	s_clause 0x1
	global_load_b64 v[4:5], v2, s[4:5] scale_offset
	global_load_b64 v[6:7], v2, s[14:15] scale_offset
	s_mov_b32 s13, exec_lo
	s_wait_loadcnt 0x1
	v_sub_nc_u64_e64 v[4:5], v[4:5], s[2:3]
	s_wait_loadcnt 0x0
	v_add_nc_u64_e32 v[6:7], v[6:7], v[0:1]
	s_wait_xcnt 0x0
	s_delay_alu instid0(VALU_DEP_1)
	v_cmpx_lt_i64_e64 v[6:7], v[4:5]
	s_cbranch_execz .LBB184_14
; %bb.16:                               ;   in Loop: Header=BB184_15 Depth=1
	v_ashrrev_i32_e32 v3, 31, v2
	s_mov_b32 s16, 0
	s_delay_alu instid0(VALU_DEP_1)
	v_add_nc_u64_e32 v[8:9], s[10:11], v[2:3]
	global_load_i8 v3, v[8:9], off
	s_wait_xcnt 0x0
	v_lshl_add_u64 v[8:9], v[6:7], 2, s[6:7]
	s_wait_loadcnt 0x0
	v_cvt_f32_i32_e32 v3, v3
	s_delay_alu instid0(VALU_DEP_1)
	v_mul_f32_e32 v3, s12, v3
	s_branch .LBB184_18
.LBB184_17:                             ;   in Loop: Header=BB184_18 Depth=2
	s_wait_xcnt 0x0
	s_or_b32 exec_lo, exec_lo, s20
	v_add_nc_u64_e32 v[6:7], 16, v[6:7]
	v_add_nc_u64_e32 v[8:9], 64, v[8:9]
	s_delay_alu instid0(VALU_DEP_2) | instskip(SKIP_1) | instid1(SALU_CYCLE_1)
	v_cmp_ge_i64_e32 vcc_lo, v[6:7], v[4:5]
	s_or_b32 s16, vcc_lo, s16
	s_and_not1_b32 exec_lo, exec_lo, s16
	s_cbranch_execz .LBB184_14
.LBB184_18:                             ;   Parent Loop BB184_15 Depth=1
                                        ; =>  This Inner Loop Header: Depth=2
	global_load_b32 v10, v[8:9], off
	s_mov_b32 s20, exec_lo
	s_wait_loadcnt 0x0
	v_subrev_nc_u32_e32 v10, s2, v10
	s_wait_xcnt 0x0
	s_delay_alu instid0(VALU_DEP_1)
	v_cmpx_ne_u32_e64 v10, v2
	s_cbranch_execz .LBB184_17
; %bb.19:                               ;   in Loop: Header=BB184_18 Depth=2
	v_add_nc_u64_e32 v[12:13], s[8:9], v[6:7]
	global_load_i8 v11, v[12:13], off
	s_wait_loadcnt 0x0
	v_cvt_f32_i32_e32 v11, v11
	s_delay_alu instid0(VALU_DEP_1)
	v_mul_f32_e32 v11, v3, v11
	s_wait_xcnt 0x0
	global_atomic_add_f32 v10, v11, s[18:19] scale_offset scope:SCOPE_DEV
	s_branch .LBB184_17
.LBB184_20:
	s_endpgm
	.section	.rodata,"a",@progbits
	.p2align	6, 0x0
	.amdhsa_kernel _ZN9rocsparseL21csrmvt_general_kernelILj256ELj16EliaaffEEvbbT2_NS_24const_host_device_scalarIT6_EEPKT1_S7_PKS1_PKT3_PKT4_PT5_21rocsparse_index_base_b
		.amdhsa_group_segment_fixed_size 0
		.amdhsa_private_segment_fixed_size 0
		.amdhsa_kernarg_size 328
		.amdhsa_user_sgpr_count 2
		.amdhsa_user_sgpr_dispatch_ptr 0
		.amdhsa_user_sgpr_queue_ptr 0
		.amdhsa_user_sgpr_kernarg_segment_ptr 1
		.amdhsa_user_sgpr_dispatch_id 0
		.amdhsa_user_sgpr_kernarg_preload_length 0
		.amdhsa_user_sgpr_kernarg_preload_offset 0
		.amdhsa_user_sgpr_private_segment_size 0
		.amdhsa_wavefront_size32 1
		.amdhsa_uses_dynamic_stack 0
		.amdhsa_enable_private_segment 0
		.amdhsa_system_sgpr_workgroup_id_x 1
		.amdhsa_system_sgpr_workgroup_id_y 0
		.amdhsa_system_sgpr_workgroup_id_z 0
		.amdhsa_system_sgpr_workgroup_info 0
		.amdhsa_system_vgpr_workitem_id 0
		.amdhsa_next_free_vgpr 16
		.amdhsa_next_free_sgpr 22
		.amdhsa_named_barrier_count 0
		.amdhsa_reserve_vcc 1
		.amdhsa_float_round_mode_32 0
		.amdhsa_float_round_mode_16_64 0
		.amdhsa_float_denorm_mode_32 3
		.amdhsa_float_denorm_mode_16_64 3
		.amdhsa_fp16_overflow 0
		.amdhsa_memory_ordered 1
		.amdhsa_forward_progress 1
		.amdhsa_inst_pref_size 7
		.amdhsa_round_robin_scheduling 0
		.amdhsa_exception_fp_ieee_invalid_op 0
		.amdhsa_exception_fp_denorm_src 0
		.amdhsa_exception_fp_ieee_div_zero 0
		.amdhsa_exception_fp_ieee_overflow 0
		.amdhsa_exception_fp_ieee_underflow 0
		.amdhsa_exception_fp_ieee_inexact 0
		.amdhsa_exception_int_div_zero 0
	.end_amdhsa_kernel
	.section	.text._ZN9rocsparseL21csrmvt_general_kernelILj256ELj16EliaaffEEvbbT2_NS_24const_host_device_scalarIT6_EEPKT1_S7_PKS1_PKT3_PKT4_PT5_21rocsparse_index_base_b,"axG",@progbits,_ZN9rocsparseL21csrmvt_general_kernelILj256ELj16EliaaffEEvbbT2_NS_24const_host_device_scalarIT6_EEPKT1_S7_PKS1_PKT3_PKT4_PT5_21rocsparse_index_base_b,comdat
.Lfunc_end184:
	.size	_ZN9rocsparseL21csrmvt_general_kernelILj256ELj16EliaaffEEvbbT2_NS_24const_host_device_scalarIT6_EEPKT1_S7_PKS1_PKT3_PKT4_PT5_21rocsparse_index_base_b, .Lfunc_end184-_ZN9rocsparseL21csrmvt_general_kernelILj256ELj16EliaaffEEvbbT2_NS_24const_host_device_scalarIT6_EEPKT1_S7_PKS1_PKT3_PKT4_PT5_21rocsparse_index_base_b
                                        ; -- End function
	.set _ZN9rocsparseL21csrmvt_general_kernelILj256ELj16EliaaffEEvbbT2_NS_24const_host_device_scalarIT6_EEPKT1_S7_PKS1_PKT3_PKT4_PT5_21rocsparse_index_base_b.num_vgpr, 16
	.set _ZN9rocsparseL21csrmvt_general_kernelILj256ELj16EliaaffEEvbbT2_NS_24const_host_device_scalarIT6_EEPKT1_S7_PKS1_PKT3_PKT4_PT5_21rocsparse_index_base_b.num_agpr, 0
	.set _ZN9rocsparseL21csrmvt_general_kernelILj256ELj16EliaaffEEvbbT2_NS_24const_host_device_scalarIT6_EEPKT1_S7_PKS1_PKT3_PKT4_PT5_21rocsparse_index_base_b.numbered_sgpr, 22
	.set _ZN9rocsparseL21csrmvt_general_kernelILj256ELj16EliaaffEEvbbT2_NS_24const_host_device_scalarIT6_EEPKT1_S7_PKS1_PKT3_PKT4_PT5_21rocsparse_index_base_b.num_named_barrier, 0
	.set _ZN9rocsparseL21csrmvt_general_kernelILj256ELj16EliaaffEEvbbT2_NS_24const_host_device_scalarIT6_EEPKT1_S7_PKS1_PKT3_PKT4_PT5_21rocsparse_index_base_b.private_seg_size, 0
	.set _ZN9rocsparseL21csrmvt_general_kernelILj256ELj16EliaaffEEvbbT2_NS_24const_host_device_scalarIT6_EEPKT1_S7_PKS1_PKT3_PKT4_PT5_21rocsparse_index_base_b.uses_vcc, 1
	.set _ZN9rocsparseL21csrmvt_general_kernelILj256ELj16EliaaffEEvbbT2_NS_24const_host_device_scalarIT6_EEPKT1_S7_PKS1_PKT3_PKT4_PT5_21rocsparse_index_base_b.uses_flat_scratch, 0
	.set _ZN9rocsparseL21csrmvt_general_kernelILj256ELj16EliaaffEEvbbT2_NS_24const_host_device_scalarIT6_EEPKT1_S7_PKS1_PKT3_PKT4_PT5_21rocsparse_index_base_b.has_dyn_sized_stack, 0
	.set _ZN9rocsparseL21csrmvt_general_kernelILj256ELj16EliaaffEEvbbT2_NS_24const_host_device_scalarIT6_EEPKT1_S7_PKS1_PKT3_PKT4_PT5_21rocsparse_index_base_b.has_recursion, 0
	.set _ZN9rocsparseL21csrmvt_general_kernelILj256ELj16EliaaffEEvbbT2_NS_24const_host_device_scalarIT6_EEPKT1_S7_PKS1_PKT3_PKT4_PT5_21rocsparse_index_base_b.has_indirect_call, 0
	.section	.AMDGPU.csdata,"",@progbits
; Kernel info:
; codeLenInByte = 848
; TotalNumSgprs: 24
; NumVgprs: 16
; ScratchSize: 0
; MemoryBound: 0
; FloatMode: 240
; IeeeMode: 1
; LDSByteSize: 0 bytes/workgroup (compile time only)
; SGPRBlocks: 0
; VGPRBlocks: 0
; NumSGPRsForWavesPerEU: 24
; NumVGPRsForWavesPerEU: 16
; NamedBarCnt: 0
; Occupancy: 16
; WaveLimiterHint : 1
; COMPUTE_PGM_RSRC2:SCRATCH_EN: 0
; COMPUTE_PGM_RSRC2:USER_SGPR: 2
; COMPUTE_PGM_RSRC2:TRAP_HANDLER: 0
; COMPUTE_PGM_RSRC2:TGID_X_EN: 1
; COMPUTE_PGM_RSRC2:TGID_Y_EN: 0
; COMPUTE_PGM_RSRC2:TGID_Z_EN: 0
; COMPUTE_PGM_RSRC2:TIDIG_COMP_CNT: 0
	.section	.text._ZN9rocsparseL21csrmvt_general_kernelILj256ELj32EliaaffEEvbbT2_NS_24const_host_device_scalarIT6_EEPKT1_S7_PKS1_PKT3_PKT4_PT5_21rocsparse_index_base_b,"axG",@progbits,_ZN9rocsparseL21csrmvt_general_kernelILj256ELj32EliaaffEEvbbT2_NS_24const_host_device_scalarIT6_EEPKT1_S7_PKS1_PKT3_PKT4_PT5_21rocsparse_index_base_b,comdat
	.globl	_ZN9rocsparseL21csrmvt_general_kernelILj256ELj32EliaaffEEvbbT2_NS_24const_host_device_scalarIT6_EEPKT1_S7_PKS1_PKT3_PKT4_PT5_21rocsparse_index_base_b ; -- Begin function _ZN9rocsparseL21csrmvt_general_kernelILj256ELj32EliaaffEEvbbT2_NS_24const_host_device_scalarIT6_EEPKT1_S7_PKS1_PKT3_PKT4_PT5_21rocsparse_index_base_b
	.p2align	8
	.type	_ZN9rocsparseL21csrmvt_general_kernelILj256ELj32EliaaffEEvbbT2_NS_24const_host_device_scalarIT6_EEPKT1_S7_PKS1_PKT3_PKT4_PT5_21rocsparse_index_base_b,@function
_ZN9rocsparseL21csrmvt_general_kernelILj256ELj32EliaaffEEvbbT2_NS_24const_host_device_scalarIT6_EEPKT1_S7_PKS1_PKT3_PKT4_PT5_21rocsparse_index_base_b: ; @_ZN9rocsparseL21csrmvt_general_kernelILj256ELj32EliaaffEEvbbT2_NS_24const_host_device_scalarIT6_EEPKT1_S7_PKS1_PKT3_PKT4_PT5_21rocsparse_index_base_b
; %bb.0:
	s_clause 0x1
	s_load_b64 s[2:3], s[0:1], 0x40
	s_load_b128 s[12:15], s[0:1], 0x8
	s_wait_kmcnt 0x0
	s_bitcmp1_b32 s3, 0
	s_cselect_b32 s3, -1, 0
	s_delay_alu instid0(SALU_CYCLE_1)
	s_and_b32 vcc_lo, exec_lo, s3
	s_cbranch_vccnz .LBB185_2
; %bb.1:
	s_load_b32 s12, s[12:13], 0x0
.LBB185_2:
	s_wait_kmcnt 0x0
	s_cmp_eq_f32 s12, 0
	s_cbranch_scc1 .LBB185_20
; %bb.3:
	s_clause 0x3
	s_load_b64 s[16:17], s[0:1], 0x0
	s_load_b32 s3, s[0:1], 0x48
	s_load_b64 s[18:19], s[0:1], 0x38
	s_load_b256 s[4:11], s[0:1], 0x18
	s_wait_xcnt 0x0
	s_bfe_u32 s0, ttmp6, 0x4000c
	s_and_b32 s13, ttmp6, 15
	s_add_co_i32 s0, s0, 1
	s_getreg_b32 s20, hwreg(HW_REG_IB_STS2, 6, 4)
	s_mul_i32 s0, ttmp9, s0
	s_delay_alu instid0(SALU_CYCLE_1)
	s_add_co_i32 s13, s13, s0
	s_wait_kmcnt 0x0
	s_and_b32 s16, s16, 1
	s_lshl_b32 s1, s3, 3
	s_cmp_eq_u32 s20, 0
	s_mov_b32 s3, -1
	s_cselect_b32 s0, ttmp9, s13
	s_cmp_eq_u32 s16, 0
	v_lshl_or_b32 v1, s0, 8, v0
	s_delay_alu instid0(VALU_DEP_1) | instskip(NEXT) | instid1(VALU_DEP_1)
	v_dual_lshrrev_b32 v2, 5, v1 :: v_dual_bitop2_b32 v0, 31, v0 bitop3:0x40
	v_cmp_gt_i32_e64 s0, s17, v2
	s_cbranch_scc0 .LBB185_11
; %bb.4:
	s_and_saveexec_b32 s13, s0
	s_cbranch_execz .LBB185_10
; %bb.5:
	v_dual_mov_b32 v1, 0 :: v_dual_mov_b32 v6, v2
	s_mov_b32 s3, 0
	s_delay_alu instid0(SALU_CYCLE_1) | instskip(NEXT) | instid1(VALU_DEP_1)
	s_mov_b32 s16, s3
	v_sub_nc_u64_e64 v[4:5], v[0:1], s[2:3]
	s_branch .LBB185_7
.LBB185_6:                              ;   in Loop: Header=BB185_7 Depth=1
	s_or_b32 exec_lo, exec_lo, s20
	v_add_nc_u32_e32 v6, s1, v6
	s_delay_alu instid0(VALU_DEP_1) | instskip(SKIP_1) | instid1(SALU_CYCLE_1)
	v_cmp_le_i32_e32 vcc_lo, s17, v6
	s_or_b32 s16, vcc_lo, s16
	s_and_not1_b32 exec_lo, exec_lo, s16
	s_cbranch_execz .LBB185_10
.LBB185_7:                              ; =>This Loop Header: Depth=1
                                        ;     Child Loop BB185_9 Depth 2
	s_clause 0x1
	global_load_b64 v[8:9], v6, s[4:5] scale_offset
	global_load_b64 v[10:11], v6, s[14:15] scale_offset
	s_mov_b32 s20, exec_lo
	s_wait_loadcnt 0x1
	v_sub_nc_u64_e64 v[8:9], v[8:9], s[2:3]
	s_wait_loadcnt 0x0
	v_add_nc_u64_e32 v[10:11], v[10:11], v[4:5]
	s_wait_xcnt 0x0
	s_delay_alu instid0(VALU_DEP_1)
	v_cmpx_lt_i64_e64 v[10:11], v[8:9]
	s_cbranch_execz .LBB185_6
; %bb.8:                                ;   in Loop: Header=BB185_7 Depth=1
	v_ashrrev_i32_e32 v7, 31, v6
	s_mov_b32 s21, 0
	s_delay_alu instid0(VALU_DEP_1)
	v_add_nc_u64_e32 v[12:13], s[10:11], v[6:7]
	global_load_i8 v1, v[12:13], off
	s_wait_xcnt 0x0
	v_lshl_add_u64 v[12:13], v[10:11], 2, s[6:7]
	s_wait_loadcnt 0x0
	v_cvt_f32_i32_e32 v1, v1
	s_delay_alu instid0(VALU_DEP_1)
	v_mul_f32_e32 v1, s12, v1
.LBB185_9:                              ;   Parent Loop BB185_7 Depth=1
                                        ; =>  This Inner Loop Header: Depth=2
	v_add_nc_u64_e32 v[14:15], s[8:9], v[10:11]
	v_add_nc_u64_e32 v[10:11], 32, v[10:11]
	global_load_i8 v3, v[14:15], off
	global_load_b32 v7, v[12:13], off
	v_cmp_ge_i64_e32 vcc_lo, v[10:11], v[8:9]
	s_wait_xcnt 0x0
	v_add_nc_u64_e32 v[12:13], 0x80, v[12:13]
	s_or_b32 s21, vcc_lo, s21
	s_wait_loadcnt 0x1
	v_cvt_f32_i32_e32 v3, v3
	s_wait_loadcnt 0x0
	v_subrev_nc_u32_e32 v7, s2, v7
	s_delay_alu instid0(VALU_DEP_2)
	v_mul_f32_e32 v3, v1, v3
	global_atomic_add_f32 v7, v3, s[18:19] scale_offset scope:SCOPE_DEV
	s_wait_xcnt 0x0
	s_and_not1_b32 exec_lo, exec_lo, s21
	s_cbranch_execnz .LBB185_9
	s_branch .LBB185_6
.LBB185_10:
	s_or_b32 exec_lo, exec_lo, s13
	s_mov_b32 s3, 0
.LBB185_11:
	s_delay_alu instid0(SALU_CYCLE_1)
	s_and_not1_b32 vcc_lo, exec_lo, s3
	s_cbranch_vccnz .LBB185_20
; %bb.12:
	s_and_saveexec_b32 s3, s0
	s_cbranch_execz .LBB185_20
; %bb.13:
	v_mov_b32_e32 v1, 0
	s_mov_b32 s3, 0
	s_delay_alu instid0(SALU_CYCLE_1) | instskip(NEXT) | instid1(VALU_DEP_1)
	s_mov_b32 s0, s3
	v_sub_nc_u64_e64 v[0:1], v[0:1], s[2:3]
	s_branch .LBB185_15
.LBB185_14:                             ;   in Loop: Header=BB185_15 Depth=1
	s_or_b32 exec_lo, exec_lo, s13
	v_add_nc_u32_e32 v2, s1, v2
	s_delay_alu instid0(VALU_DEP_1) | instskip(SKIP_1) | instid1(SALU_CYCLE_1)
	v_cmp_le_i32_e32 vcc_lo, s17, v2
	s_or_b32 s0, vcc_lo, s0
	s_and_not1_b32 exec_lo, exec_lo, s0
	s_cbranch_execz .LBB185_20
.LBB185_15:                             ; =>This Loop Header: Depth=1
                                        ;     Child Loop BB185_18 Depth 2
	s_clause 0x1
	global_load_b64 v[4:5], v2, s[4:5] scale_offset
	global_load_b64 v[6:7], v2, s[14:15] scale_offset
	s_mov_b32 s13, exec_lo
	s_wait_loadcnt 0x1
	v_sub_nc_u64_e64 v[4:5], v[4:5], s[2:3]
	s_wait_loadcnt 0x0
	v_add_nc_u64_e32 v[6:7], v[6:7], v[0:1]
	s_wait_xcnt 0x0
	s_delay_alu instid0(VALU_DEP_1)
	v_cmpx_lt_i64_e64 v[6:7], v[4:5]
	s_cbranch_execz .LBB185_14
; %bb.16:                               ;   in Loop: Header=BB185_15 Depth=1
	v_ashrrev_i32_e32 v3, 31, v2
	s_mov_b32 s16, 0
	s_delay_alu instid0(VALU_DEP_1)
	v_add_nc_u64_e32 v[8:9], s[10:11], v[2:3]
	global_load_i8 v3, v[8:9], off
	s_wait_xcnt 0x0
	v_lshl_add_u64 v[8:9], v[6:7], 2, s[6:7]
	s_wait_loadcnt 0x0
	v_cvt_f32_i32_e32 v3, v3
	s_delay_alu instid0(VALU_DEP_1)
	v_mul_f32_e32 v3, s12, v3
	s_branch .LBB185_18
.LBB185_17:                             ;   in Loop: Header=BB185_18 Depth=2
	s_wait_xcnt 0x0
	s_or_b32 exec_lo, exec_lo, s20
	v_add_nc_u64_e32 v[6:7], 32, v[6:7]
	v_add_nc_u64_e32 v[8:9], 0x80, v[8:9]
	s_delay_alu instid0(VALU_DEP_2) | instskip(SKIP_1) | instid1(SALU_CYCLE_1)
	v_cmp_ge_i64_e32 vcc_lo, v[6:7], v[4:5]
	s_or_b32 s16, vcc_lo, s16
	s_and_not1_b32 exec_lo, exec_lo, s16
	s_cbranch_execz .LBB185_14
.LBB185_18:                             ;   Parent Loop BB185_15 Depth=1
                                        ; =>  This Inner Loop Header: Depth=2
	global_load_b32 v10, v[8:9], off
	s_mov_b32 s20, exec_lo
	s_wait_loadcnt 0x0
	v_subrev_nc_u32_e32 v10, s2, v10
	s_wait_xcnt 0x0
	s_delay_alu instid0(VALU_DEP_1)
	v_cmpx_ne_u32_e64 v10, v2
	s_cbranch_execz .LBB185_17
; %bb.19:                               ;   in Loop: Header=BB185_18 Depth=2
	v_add_nc_u64_e32 v[12:13], s[8:9], v[6:7]
	global_load_i8 v11, v[12:13], off
	s_wait_loadcnt 0x0
	v_cvt_f32_i32_e32 v11, v11
	s_delay_alu instid0(VALU_DEP_1)
	v_mul_f32_e32 v11, v3, v11
	s_wait_xcnt 0x0
	global_atomic_add_f32 v10, v11, s[18:19] scale_offset scope:SCOPE_DEV
	s_branch .LBB185_17
.LBB185_20:
	s_endpgm
	.section	.rodata,"a",@progbits
	.p2align	6, 0x0
	.amdhsa_kernel _ZN9rocsparseL21csrmvt_general_kernelILj256ELj32EliaaffEEvbbT2_NS_24const_host_device_scalarIT6_EEPKT1_S7_PKS1_PKT3_PKT4_PT5_21rocsparse_index_base_b
		.amdhsa_group_segment_fixed_size 0
		.amdhsa_private_segment_fixed_size 0
		.amdhsa_kernarg_size 328
		.amdhsa_user_sgpr_count 2
		.amdhsa_user_sgpr_dispatch_ptr 0
		.amdhsa_user_sgpr_queue_ptr 0
		.amdhsa_user_sgpr_kernarg_segment_ptr 1
		.amdhsa_user_sgpr_dispatch_id 0
		.amdhsa_user_sgpr_kernarg_preload_length 0
		.amdhsa_user_sgpr_kernarg_preload_offset 0
		.amdhsa_user_sgpr_private_segment_size 0
		.amdhsa_wavefront_size32 1
		.amdhsa_uses_dynamic_stack 0
		.amdhsa_enable_private_segment 0
		.amdhsa_system_sgpr_workgroup_id_x 1
		.amdhsa_system_sgpr_workgroup_id_y 0
		.amdhsa_system_sgpr_workgroup_id_z 0
		.amdhsa_system_sgpr_workgroup_info 0
		.amdhsa_system_vgpr_workitem_id 0
		.amdhsa_next_free_vgpr 16
		.amdhsa_next_free_sgpr 22
		.amdhsa_named_barrier_count 0
		.amdhsa_reserve_vcc 1
		.amdhsa_float_round_mode_32 0
		.amdhsa_float_round_mode_16_64 0
		.amdhsa_float_denorm_mode_32 3
		.amdhsa_float_denorm_mode_16_64 3
		.amdhsa_fp16_overflow 0
		.amdhsa_memory_ordered 1
		.amdhsa_forward_progress 1
		.amdhsa_inst_pref_size 7
		.amdhsa_round_robin_scheduling 0
		.amdhsa_exception_fp_ieee_invalid_op 0
		.amdhsa_exception_fp_denorm_src 0
		.amdhsa_exception_fp_ieee_div_zero 0
		.amdhsa_exception_fp_ieee_overflow 0
		.amdhsa_exception_fp_ieee_underflow 0
		.amdhsa_exception_fp_ieee_inexact 0
		.amdhsa_exception_int_div_zero 0
	.end_amdhsa_kernel
	.section	.text._ZN9rocsparseL21csrmvt_general_kernelILj256ELj32EliaaffEEvbbT2_NS_24const_host_device_scalarIT6_EEPKT1_S7_PKS1_PKT3_PKT4_PT5_21rocsparse_index_base_b,"axG",@progbits,_ZN9rocsparseL21csrmvt_general_kernelILj256ELj32EliaaffEEvbbT2_NS_24const_host_device_scalarIT6_EEPKT1_S7_PKS1_PKT3_PKT4_PT5_21rocsparse_index_base_b,comdat
.Lfunc_end185:
	.size	_ZN9rocsparseL21csrmvt_general_kernelILj256ELj32EliaaffEEvbbT2_NS_24const_host_device_scalarIT6_EEPKT1_S7_PKS1_PKT3_PKT4_PT5_21rocsparse_index_base_b, .Lfunc_end185-_ZN9rocsparseL21csrmvt_general_kernelILj256ELj32EliaaffEEvbbT2_NS_24const_host_device_scalarIT6_EEPKT1_S7_PKS1_PKT3_PKT4_PT5_21rocsparse_index_base_b
                                        ; -- End function
	.set _ZN9rocsparseL21csrmvt_general_kernelILj256ELj32EliaaffEEvbbT2_NS_24const_host_device_scalarIT6_EEPKT1_S7_PKS1_PKT3_PKT4_PT5_21rocsparse_index_base_b.num_vgpr, 16
	.set _ZN9rocsparseL21csrmvt_general_kernelILj256ELj32EliaaffEEvbbT2_NS_24const_host_device_scalarIT6_EEPKT1_S7_PKS1_PKT3_PKT4_PT5_21rocsparse_index_base_b.num_agpr, 0
	.set _ZN9rocsparseL21csrmvt_general_kernelILj256ELj32EliaaffEEvbbT2_NS_24const_host_device_scalarIT6_EEPKT1_S7_PKS1_PKT3_PKT4_PT5_21rocsparse_index_base_b.numbered_sgpr, 22
	.set _ZN9rocsparseL21csrmvt_general_kernelILj256ELj32EliaaffEEvbbT2_NS_24const_host_device_scalarIT6_EEPKT1_S7_PKS1_PKT3_PKT4_PT5_21rocsparse_index_base_b.num_named_barrier, 0
	.set _ZN9rocsparseL21csrmvt_general_kernelILj256ELj32EliaaffEEvbbT2_NS_24const_host_device_scalarIT6_EEPKT1_S7_PKS1_PKT3_PKT4_PT5_21rocsparse_index_base_b.private_seg_size, 0
	.set _ZN9rocsparseL21csrmvt_general_kernelILj256ELj32EliaaffEEvbbT2_NS_24const_host_device_scalarIT6_EEPKT1_S7_PKS1_PKT3_PKT4_PT5_21rocsparse_index_base_b.uses_vcc, 1
	.set _ZN9rocsparseL21csrmvt_general_kernelILj256ELj32EliaaffEEvbbT2_NS_24const_host_device_scalarIT6_EEPKT1_S7_PKS1_PKT3_PKT4_PT5_21rocsparse_index_base_b.uses_flat_scratch, 0
	.set _ZN9rocsparseL21csrmvt_general_kernelILj256ELj32EliaaffEEvbbT2_NS_24const_host_device_scalarIT6_EEPKT1_S7_PKS1_PKT3_PKT4_PT5_21rocsparse_index_base_b.has_dyn_sized_stack, 0
	.set _ZN9rocsparseL21csrmvt_general_kernelILj256ELj32EliaaffEEvbbT2_NS_24const_host_device_scalarIT6_EEPKT1_S7_PKS1_PKT3_PKT4_PT5_21rocsparse_index_base_b.has_recursion, 0
	.set _ZN9rocsparseL21csrmvt_general_kernelILj256ELj32EliaaffEEvbbT2_NS_24const_host_device_scalarIT6_EEPKT1_S7_PKS1_PKT3_PKT4_PT5_21rocsparse_index_base_b.has_indirect_call, 0
	.section	.AMDGPU.csdata,"",@progbits
; Kernel info:
; codeLenInByte = 856
; TotalNumSgprs: 24
; NumVgprs: 16
; ScratchSize: 0
; MemoryBound: 0
; FloatMode: 240
; IeeeMode: 1
; LDSByteSize: 0 bytes/workgroup (compile time only)
; SGPRBlocks: 0
; VGPRBlocks: 0
; NumSGPRsForWavesPerEU: 24
; NumVGPRsForWavesPerEU: 16
; NamedBarCnt: 0
; Occupancy: 16
; WaveLimiterHint : 1
; COMPUTE_PGM_RSRC2:SCRATCH_EN: 0
; COMPUTE_PGM_RSRC2:USER_SGPR: 2
; COMPUTE_PGM_RSRC2:TRAP_HANDLER: 0
; COMPUTE_PGM_RSRC2:TGID_X_EN: 1
; COMPUTE_PGM_RSRC2:TGID_Y_EN: 0
; COMPUTE_PGM_RSRC2:TGID_Z_EN: 0
; COMPUTE_PGM_RSRC2:TIDIG_COMP_CNT: 0
	.section	.text._ZN9rocsparseL21csrmvt_general_kernelILj256ELj64EliaaffEEvbbT2_NS_24const_host_device_scalarIT6_EEPKT1_S7_PKS1_PKT3_PKT4_PT5_21rocsparse_index_base_b,"axG",@progbits,_ZN9rocsparseL21csrmvt_general_kernelILj256ELj64EliaaffEEvbbT2_NS_24const_host_device_scalarIT6_EEPKT1_S7_PKS1_PKT3_PKT4_PT5_21rocsparse_index_base_b,comdat
	.globl	_ZN9rocsparseL21csrmvt_general_kernelILj256ELj64EliaaffEEvbbT2_NS_24const_host_device_scalarIT6_EEPKT1_S7_PKS1_PKT3_PKT4_PT5_21rocsparse_index_base_b ; -- Begin function _ZN9rocsparseL21csrmvt_general_kernelILj256ELj64EliaaffEEvbbT2_NS_24const_host_device_scalarIT6_EEPKT1_S7_PKS1_PKT3_PKT4_PT5_21rocsparse_index_base_b
	.p2align	8
	.type	_ZN9rocsparseL21csrmvt_general_kernelILj256ELj64EliaaffEEvbbT2_NS_24const_host_device_scalarIT6_EEPKT1_S7_PKS1_PKT3_PKT4_PT5_21rocsparse_index_base_b,@function
_ZN9rocsparseL21csrmvt_general_kernelILj256ELj64EliaaffEEvbbT2_NS_24const_host_device_scalarIT6_EEPKT1_S7_PKS1_PKT3_PKT4_PT5_21rocsparse_index_base_b: ; @_ZN9rocsparseL21csrmvt_general_kernelILj256ELj64EliaaffEEvbbT2_NS_24const_host_device_scalarIT6_EEPKT1_S7_PKS1_PKT3_PKT4_PT5_21rocsparse_index_base_b
; %bb.0:
	s_clause 0x1
	s_load_b64 s[2:3], s[0:1], 0x40
	s_load_b128 s[12:15], s[0:1], 0x8
	s_wait_kmcnt 0x0
	s_bitcmp1_b32 s3, 0
	s_cselect_b32 s3, -1, 0
	s_delay_alu instid0(SALU_CYCLE_1)
	s_and_b32 vcc_lo, exec_lo, s3
	s_cbranch_vccnz .LBB186_2
; %bb.1:
	s_load_b32 s12, s[12:13], 0x0
.LBB186_2:
	s_wait_kmcnt 0x0
	s_cmp_eq_f32 s12, 0
	s_cbranch_scc1 .LBB186_20
; %bb.3:
	s_clause 0x3
	s_load_b64 s[16:17], s[0:1], 0x0
	s_load_b32 s3, s[0:1], 0x48
	s_load_b64 s[18:19], s[0:1], 0x38
	s_load_b256 s[4:11], s[0:1], 0x18
	s_wait_xcnt 0x0
	s_bfe_u32 s0, ttmp6, 0x4000c
	s_and_b32 s13, ttmp6, 15
	s_add_co_i32 s0, s0, 1
	s_getreg_b32 s20, hwreg(HW_REG_IB_STS2, 6, 4)
	s_mul_i32 s0, ttmp9, s0
	s_delay_alu instid0(SALU_CYCLE_1)
	s_add_co_i32 s13, s13, s0
	s_wait_kmcnt 0x0
	s_and_b32 s16, s16, 1
	s_lshl_b32 s1, s3, 2
	s_cmp_eq_u32 s20, 0
	s_mov_b32 s3, -1
	s_cselect_b32 s0, ttmp9, s13
	s_cmp_eq_u32 s16, 0
	v_lshl_or_b32 v1, s0, 8, v0
	s_delay_alu instid0(VALU_DEP_1) | instskip(NEXT) | instid1(VALU_DEP_1)
	v_dual_lshrrev_b32 v2, 6, v1 :: v_dual_bitop2_b32 v0, 63, v0 bitop3:0x40
	v_cmp_gt_i32_e64 s0, s17, v2
	s_cbranch_scc0 .LBB186_11
; %bb.4:
	s_and_saveexec_b32 s13, s0
	s_cbranch_execz .LBB186_10
; %bb.5:
	v_dual_mov_b32 v1, 0 :: v_dual_mov_b32 v6, v2
	s_mov_b32 s3, 0
	s_delay_alu instid0(SALU_CYCLE_1) | instskip(NEXT) | instid1(VALU_DEP_1)
	s_mov_b32 s16, s3
	v_sub_nc_u64_e64 v[4:5], v[0:1], s[2:3]
	s_branch .LBB186_7
.LBB186_6:                              ;   in Loop: Header=BB186_7 Depth=1
	s_or_b32 exec_lo, exec_lo, s20
	v_add_nc_u32_e32 v6, s1, v6
	s_delay_alu instid0(VALU_DEP_1) | instskip(SKIP_1) | instid1(SALU_CYCLE_1)
	v_cmp_le_i32_e32 vcc_lo, s17, v6
	s_or_b32 s16, vcc_lo, s16
	s_and_not1_b32 exec_lo, exec_lo, s16
	s_cbranch_execz .LBB186_10
.LBB186_7:                              ; =>This Loop Header: Depth=1
                                        ;     Child Loop BB186_9 Depth 2
	s_clause 0x1
	global_load_b64 v[8:9], v6, s[4:5] scale_offset
	global_load_b64 v[10:11], v6, s[14:15] scale_offset
	s_mov_b32 s20, exec_lo
	s_wait_loadcnt 0x1
	v_sub_nc_u64_e64 v[8:9], v[8:9], s[2:3]
	s_wait_loadcnt 0x0
	v_add_nc_u64_e32 v[10:11], v[10:11], v[4:5]
	s_wait_xcnt 0x0
	s_delay_alu instid0(VALU_DEP_1)
	v_cmpx_lt_i64_e64 v[10:11], v[8:9]
	s_cbranch_execz .LBB186_6
; %bb.8:                                ;   in Loop: Header=BB186_7 Depth=1
	v_ashrrev_i32_e32 v7, 31, v6
	s_mov_b32 s21, 0
	s_delay_alu instid0(VALU_DEP_1)
	v_add_nc_u64_e32 v[12:13], s[10:11], v[6:7]
	global_load_i8 v1, v[12:13], off
	s_wait_xcnt 0x0
	v_lshl_add_u64 v[12:13], v[10:11], 2, s[6:7]
	s_wait_loadcnt 0x0
	v_cvt_f32_i32_e32 v1, v1
	s_delay_alu instid0(VALU_DEP_1)
	v_mul_f32_e32 v1, s12, v1
.LBB186_9:                              ;   Parent Loop BB186_7 Depth=1
                                        ; =>  This Inner Loop Header: Depth=2
	v_add_nc_u64_e32 v[14:15], s[8:9], v[10:11]
	v_add_nc_u64_e32 v[10:11], 64, v[10:11]
	global_load_i8 v3, v[14:15], off
	global_load_b32 v7, v[12:13], off
	v_cmp_ge_i64_e32 vcc_lo, v[10:11], v[8:9]
	s_wait_xcnt 0x0
	v_add_nc_u64_e32 v[12:13], 0x100, v[12:13]
	s_or_b32 s21, vcc_lo, s21
	s_wait_loadcnt 0x1
	v_cvt_f32_i32_e32 v3, v3
	s_wait_loadcnt 0x0
	v_subrev_nc_u32_e32 v7, s2, v7
	s_delay_alu instid0(VALU_DEP_2)
	v_mul_f32_e32 v3, v1, v3
	global_atomic_add_f32 v7, v3, s[18:19] scale_offset scope:SCOPE_DEV
	s_wait_xcnt 0x0
	s_and_not1_b32 exec_lo, exec_lo, s21
	s_cbranch_execnz .LBB186_9
	s_branch .LBB186_6
.LBB186_10:
	s_or_b32 exec_lo, exec_lo, s13
	s_mov_b32 s3, 0
.LBB186_11:
	s_delay_alu instid0(SALU_CYCLE_1)
	s_and_not1_b32 vcc_lo, exec_lo, s3
	s_cbranch_vccnz .LBB186_20
; %bb.12:
	s_and_saveexec_b32 s3, s0
	s_cbranch_execz .LBB186_20
; %bb.13:
	v_mov_b32_e32 v1, 0
	s_mov_b32 s3, 0
	s_delay_alu instid0(SALU_CYCLE_1) | instskip(NEXT) | instid1(VALU_DEP_1)
	s_mov_b32 s0, s3
	v_sub_nc_u64_e64 v[0:1], v[0:1], s[2:3]
	s_branch .LBB186_15
.LBB186_14:                             ;   in Loop: Header=BB186_15 Depth=1
	s_or_b32 exec_lo, exec_lo, s13
	v_add_nc_u32_e32 v2, s1, v2
	s_delay_alu instid0(VALU_DEP_1) | instskip(SKIP_1) | instid1(SALU_CYCLE_1)
	v_cmp_le_i32_e32 vcc_lo, s17, v2
	s_or_b32 s0, vcc_lo, s0
	s_and_not1_b32 exec_lo, exec_lo, s0
	s_cbranch_execz .LBB186_20
.LBB186_15:                             ; =>This Loop Header: Depth=1
                                        ;     Child Loop BB186_18 Depth 2
	s_clause 0x1
	global_load_b64 v[4:5], v2, s[4:5] scale_offset
	global_load_b64 v[6:7], v2, s[14:15] scale_offset
	s_mov_b32 s13, exec_lo
	s_wait_loadcnt 0x1
	v_sub_nc_u64_e64 v[4:5], v[4:5], s[2:3]
	s_wait_loadcnt 0x0
	v_add_nc_u64_e32 v[6:7], v[6:7], v[0:1]
	s_wait_xcnt 0x0
	s_delay_alu instid0(VALU_DEP_1)
	v_cmpx_lt_i64_e64 v[6:7], v[4:5]
	s_cbranch_execz .LBB186_14
; %bb.16:                               ;   in Loop: Header=BB186_15 Depth=1
	v_ashrrev_i32_e32 v3, 31, v2
	s_mov_b32 s16, 0
	s_delay_alu instid0(VALU_DEP_1)
	v_add_nc_u64_e32 v[8:9], s[10:11], v[2:3]
	global_load_i8 v3, v[8:9], off
	s_wait_xcnt 0x0
	v_lshl_add_u64 v[8:9], v[6:7], 2, s[6:7]
	s_wait_loadcnt 0x0
	v_cvt_f32_i32_e32 v3, v3
	s_delay_alu instid0(VALU_DEP_1)
	v_mul_f32_e32 v3, s12, v3
	s_branch .LBB186_18
.LBB186_17:                             ;   in Loop: Header=BB186_18 Depth=2
	s_wait_xcnt 0x0
	s_or_b32 exec_lo, exec_lo, s20
	v_add_nc_u64_e32 v[6:7], 64, v[6:7]
	v_add_nc_u64_e32 v[8:9], 0x100, v[8:9]
	s_delay_alu instid0(VALU_DEP_2) | instskip(SKIP_1) | instid1(SALU_CYCLE_1)
	v_cmp_ge_i64_e32 vcc_lo, v[6:7], v[4:5]
	s_or_b32 s16, vcc_lo, s16
	s_and_not1_b32 exec_lo, exec_lo, s16
	s_cbranch_execz .LBB186_14
.LBB186_18:                             ;   Parent Loop BB186_15 Depth=1
                                        ; =>  This Inner Loop Header: Depth=2
	global_load_b32 v10, v[8:9], off
	s_mov_b32 s20, exec_lo
	s_wait_loadcnt 0x0
	v_subrev_nc_u32_e32 v10, s2, v10
	s_wait_xcnt 0x0
	s_delay_alu instid0(VALU_DEP_1)
	v_cmpx_ne_u32_e64 v10, v2
	s_cbranch_execz .LBB186_17
; %bb.19:                               ;   in Loop: Header=BB186_18 Depth=2
	v_add_nc_u64_e32 v[12:13], s[8:9], v[6:7]
	global_load_i8 v11, v[12:13], off
	s_wait_loadcnt 0x0
	v_cvt_f32_i32_e32 v11, v11
	s_delay_alu instid0(VALU_DEP_1)
	v_mul_f32_e32 v11, v3, v11
	s_wait_xcnt 0x0
	global_atomic_add_f32 v10, v11, s[18:19] scale_offset scope:SCOPE_DEV
	s_branch .LBB186_17
.LBB186_20:
	s_endpgm
	.section	.rodata,"a",@progbits
	.p2align	6, 0x0
	.amdhsa_kernel _ZN9rocsparseL21csrmvt_general_kernelILj256ELj64EliaaffEEvbbT2_NS_24const_host_device_scalarIT6_EEPKT1_S7_PKS1_PKT3_PKT4_PT5_21rocsparse_index_base_b
		.amdhsa_group_segment_fixed_size 0
		.amdhsa_private_segment_fixed_size 0
		.amdhsa_kernarg_size 328
		.amdhsa_user_sgpr_count 2
		.amdhsa_user_sgpr_dispatch_ptr 0
		.amdhsa_user_sgpr_queue_ptr 0
		.amdhsa_user_sgpr_kernarg_segment_ptr 1
		.amdhsa_user_sgpr_dispatch_id 0
		.amdhsa_user_sgpr_kernarg_preload_length 0
		.amdhsa_user_sgpr_kernarg_preload_offset 0
		.amdhsa_user_sgpr_private_segment_size 0
		.amdhsa_wavefront_size32 1
		.amdhsa_uses_dynamic_stack 0
		.amdhsa_enable_private_segment 0
		.amdhsa_system_sgpr_workgroup_id_x 1
		.amdhsa_system_sgpr_workgroup_id_y 0
		.amdhsa_system_sgpr_workgroup_id_z 0
		.amdhsa_system_sgpr_workgroup_info 0
		.amdhsa_system_vgpr_workitem_id 0
		.amdhsa_next_free_vgpr 16
		.amdhsa_next_free_sgpr 22
		.amdhsa_named_barrier_count 0
		.amdhsa_reserve_vcc 1
		.amdhsa_float_round_mode_32 0
		.amdhsa_float_round_mode_16_64 0
		.amdhsa_float_denorm_mode_32 3
		.amdhsa_float_denorm_mode_16_64 3
		.amdhsa_fp16_overflow 0
		.amdhsa_memory_ordered 1
		.amdhsa_forward_progress 1
		.amdhsa_inst_pref_size 7
		.amdhsa_round_robin_scheduling 0
		.amdhsa_exception_fp_ieee_invalid_op 0
		.amdhsa_exception_fp_denorm_src 0
		.amdhsa_exception_fp_ieee_div_zero 0
		.amdhsa_exception_fp_ieee_overflow 0
		.amdhsa_exception_fp_ieee_underflow 0
		.amdhsa_exception_fp_ieee_inexact 0
		.amdhsa_exception_int_div_zero 0
	.end_amdhsa_kernel
	.section	.text._ZN9rocsparseL21csrmvt_general_kernelILj256ELj64EliaaffEEvbbT2_NS_24const_host_device_scalarIT6_EEPKT1_S7_PKS1_PKT3_PKT4_PT5_21rocsparse_index_base_b,"axG",@progbits,_ZN9rocsparseL21csrmvt_general_kernelILj256ELj64EliaaffEEvbbT2_NS_24const_host_device_scalarIT6_EEPKT1_S7_PKS1_PKT3_PKT4_PT5_21rocsparse_index_base_b,comdat
.Lfunc_end186:
	.size	_ZN9rocsparseL21csrmvt_general_kernelILj256ELj64EliaaffEEvbbT2_NS_24const_host_device_scalarIT6_EEPKT1_S7_PKS1_PKT3_PKT4_PT5_21rocsparse_index_base_b, .Lfunc_end186-_ZN9rocsparseL21csrmvt_general_kernelILj256ELj64EliaaffEEvbbT2_NS_24const_host_device_scalarIT6_EEPKT1_S7_PKS1_PKT3_PKT4_PT5_21rocsparse_index_base_b
                                        ; -- End function
	.set _ZN9rocsparseL21csrmvt_general_kernelILj256ELj64EliaaffEEvbbT2_NS_24const_host_device_scalarIT6_EEPKT1_S7_PKS1_PKT3_PKT4_PT5_21rocsparse_index_base_b.num_vgpr, 16
	.set _ZN9rocsparseL21csrmvt_general_kernelILj256ELj64EliaaffEEvbbT2_NS_24const_host_device_scalarIT6_EEPKT1_S7_PKS1_PKT3_PKT4_PT5_21rocsparse_index_base_b.num_agpr, 0
	.set _ZN9rocsparseL21csrmvt_general_kernelILj256ELj64EliaaffEEvbbT2_NS_24const_host_device_scalarIT6_EEPKT1_S7_PKS1_PKT3_PKT4_PT5_21rocsparse_index_base_b.numbered_sgpr, 22
	.set _ZN9rocsparseL21csrmvt_general_kernelILj256ELj64EliaaffEEvbbT2_NS_24const_host_device_scalarIT6_EEPKT1_S7_PKS1_PKT3_PKT4_PT5_21rocsparse_index_base_b.num_named_barrier, 0
	.set _ZN9rocsparseL21csrmvt_general_kernelILj256ELj64EliaaffEEvbbT2_NS_24const_host_device_scalarIT6_EEPKT1_S7_PKS1_PKT3_PKT4_PT5_21rocsparse_index_base_b.private_seg_size, 0
	.set _ZN9rocsparseL21csrmvt_general_kernelILj256ELj64EliaaffEEvbbT2_NS_24const_host_device_scalarIT6_EEPKT1_S7_PKS1_PKT3_PKT4_PT5_21rocsparse_index_base_b.uses_vcc, 1
	.set _ZN9rocsparseL21csrmvt_general_kernelILj256ELj64EliaaffEEvbbT2_NS_24const_host_device_scalarIT6_EEPKT1_S7_PKS1_PKT3_PKT4_PT5_21rocsparse_index_base_b.uses_flat_scratch, 0
	.set _ZN9rocsparseL21csrmvt_general_kernelILj256ELj64EliaaffEEvbbT2_NS_24const_host_device_scalarIT6_EEPKT1_S7_PKS1_PKT3_PKT4_PT5_21rocsparse_index_base_b.has_dyn_sized_stack, 0
	.set _ZN9rocsparseL21csrmvt_general_kernelILj256ELj64EliaaffEEvbbT2_NS_24const_host_device_scalarIT6_EEPKT1_S7_PKS1_PKT3_PKT4_PT5_21rocsparse_index_base_b.has_recursion, 0
	.set _ZN9rocsparseL21csrmvt_general_kernelILj256ELj64EliaaffEEvbbT2_NS_24const_host_device_scalarIT6_EEPKT1_S7_PKS1_PKT3_PKT4_PT5_21rocsparse_index_base_b.has_indirect_call, 0
	.section	.AMDGPU.csdata,"",@progbits
; Kernel info:
; codeLenInByte = 856
; TotalNumSgprs: 24
; NumVgprs: 16
; ScratchSize: 0
; MemoryBound: 0
; FloatMode: 240
; IeeeMode: 1
; LDSByteSize: 0 bytes/workgroup (compile time only)
; SGPRBlocks: 0
; VGPRBlocks: 0
; NumSGPRsForWavesPerEU: 24
; NumVGPRsForWavesPerEU: 16
; NamedBarCnt: 0
; Occupancy: 16
; WaveLimiterHint : 1
; COMPUTE_PGM_RSRC2:SCRATCH_EN: 0
; COMPUTE_PGM_RSRC2:USER_SGPR: 2
; COMPUTE_PGM_RSRC2:TRAP_HANDLER: 0
; COMPUTE_PGM_RSRC2:TGID_X_EN: 1
; COMPUTE_PGM_RSRC2:TGID_Y_EN: 0
; COMPUTE_PGM_RSRC2:TGID_Z_EN: 0
; COMPUTE_PGM_RSRC2:TIDIG_COMP_CNT: 0
	.section	.text._ZN9rocsparseL21csrmvn_general_kernelILj256ELj2EllaaffEEvbT2_NS_24const_host_device_scalarIT6_EEPKT1_S7_PKS1_PKT3_PKT4_S4_PT5_21rocsparse_index_base_b,"axG",@progbits,_ZN9rocsparseL21csrmvn_general_kernelILj256ELj2EllaaffEEvbT2_NS_24const_host_device_scalarIT6_EEPKT1_S7_PKS1_PKT3_PKT4_S4_PT5_21rocsparse_index_base_b,comdat
	.globl	_ZN9rocsparseL21csrmvn_general_kernelILj256ELj2EllaaffEEvbT2_NS_24const_host_device_scalarIT6_EEPKT1_S7_PKS1_PKT3_PKT4_S4_PT5_21rocsparse_index_base_b ; -- Begin function _ZN9rocsparseL21csrmvn_general_kernelILj256ELj2EllaaffEEvbT2_NS_24const_host_device_scalarIT6_EEPKT1_S7_PKS1_PKT3_PKT4_S4_PT5_21rocsparse_index_base_b
	.p2align	8
	.type	_ZN9rocsparseL21csrmvn_general_kernelILj256ELj2EllaaffEEvbT2_NS_24const_host_device_scalarIT6_EEPKT1_S7_PKS1_PKT3_PKT4_S4_PT5_21rocsparse_index_base_b,@function
_ZN9rocsparseL21csrmvn_general_kernelILj256ELj2EllaaffEEvbT2_NS_24const_host_device_scalarIT6_EEPKT1_S7_PKS1_PKT3_PKT4_S4_PT5_21rocsparse_index_base_b: ; @_ZN9rocsparseL21csrmvn_general_kernelILj256ELj2EllaaffEEvbT2_NS_24const_host_device_scalarIT6_EEPKT1_S7_PKS1_PKT3_PKT4_S4_PT5_21rocsparse_index_base_b
; %bb.0:
	s_clause 0x2
	s_load_b64 s[2:3], s[0:1], 0x50
	s_load_b64 s[16:17], s[0:1], 0x40
	s_load_b256 s[4:11], s[0:1], 0x8
	s_wait_kmcnt 0x0
	s_bitcmp1_b32 s3, 0
	s_cselect_b32 s3, -1, 0
	s_delay_alu instid0(SALU_CYCLE_1)
	s_and_b32 vcc_lo, exec_lo, s3
	s_xor_b32 s3, s3, -1
	s_cbranch_vccnz .LBB187_2
; %bb.1:
	s_load_b32 s6, s[6:7], 0x0
.LBB187_2:
	s_and_not1_b32 vcc_lo, exec_lo, s3
	s_cbranch_vccnz .LBB187_4
; %bb.3:
	s_load_b32 s16, s[16:17], 0x0
.LBB187_4:
	s_wait_kmcnt 0x0
	s_cmp_neq_f32 s6, 0
	s_cselect_b32 s3, -1, 0
	s_cmp_neq_f32 s16, 1.0
	s_cselect_b32 s7, -1, 0
	s_delay_alu instid0(SALU_CYCLE_1) | instskip(NEXT) | instid1(SALU_CYCLE_1)
	s_or_b32 s3, s3, s7
	s_and_not1_b32 vcc_lo, exec_lo, s3
	s_cbranch_vccnz .LBB187_16
; %bb.5:
	s_bfe_u32 s3, ttmp6, 0x4000c
	s_and_b32 s7, ttmp6, 15
	s_add_co_i32 s3, s3, 1
	s_getreg_b32 s12, hwreg(HW_REG_IB_STS2, 6, 4)
	s_mul_i32 s3, ttmp9, s3
	v_mov_b32_e32 v3, 0
	s_add_co_i32 s7, s7, s3
	s_cmp_eq_u32 s12, 0
	s_cselect_b32 s3, ttmp9, s7
	s_delay_alu instid0(SALU_CYCLE_1) | instskip(SKIP_1) | instid1(VALU_DEP_1)
	v_lshl_or_b32 v1, s3, 8, v0
	s_mov_b32 s3, exec_lo
	v_lshrrev_b32_e32 v2, 1, v1
	s_delay_alu instid0(VALU_DEP_1)
	v_cmpx_gt_i64_e64 s[4:5], v[2:3]
	s_cbranch_execz .LBB187_16
; %bb.6:
	s_clause 0x1
	s_load_b32 s7, s[0:1], 0x58
	s_load_b64 s[18:19], s[0:1], 0x48
	v_mbcnt_lo_u32_b32 v1, -1, 0
	s_clause 0x1
	s_load_b64 s[22:23], s[0:1], 0x38
	s_load_b128 s[12:15], s[0:1], 0x28
	v_dual_mov_b32 v5, v3 :: v_dual_bitop2_b32 v4, 1, v0 bitop3:0x40
	s_mov_b32 s21, 0
	v_xor_b32_e32 v0, 1, v1
	s_mov_b32 s3, s21
	s_wait_xcnt 0x0
	s_ashr_i32 s1, s2, 31
	s_mov_b32 s0, s2
	v_cmp_gt_i32_e32 vcc_lo, 32, v0
	s_sub_nc_u64 s[24:25], 0, s[0:1]
	v_cmp_eq_u32_e64 s0, 1, v4
	v_cndmask_b32_e32 v6, v1, v0, vcc_lo
	v_sub_nc_u64_e64 v[0:1], v[4:5], s[2:3]
	s_wait_kmcnt 0x0
	s_lshl_b32 s20, s7, 7
	s_cmp_neq_f32 s16, 0
	v_lshlrev_b32_e32 v10, 2, v6
	s_add_nc_u64 s[22:23], s[22:23], s[24:25]
	s_mov_b32 s7, s21
	s_cselect_b32 s1, -1, 0
	s_branch .LBB187_9
.LBB187_7:                              ;   in Loop: Header=BB187_9 Depth=1
	global_store_b32 v[4:5], v6, off
.LBB187_8:                              ;   in Loop: Header=BB187_9 Depth=1
	s_wait_xcnt 0x0
	s_or_b32 exec_lo, exec_lo, s17
	v_add_nc_u64_e32 v[2:3], s[20:21], v[2:3]
	s_delay_alu instid0(VALU_DEP_1) | instskip(SKIP_1) | instid1(SALU_CYCLE_1)
	v_cmp_le_i64_e32 vcc_lo, s[4:5], v[2:3]
	s_or_b32 s7, vcc_lo, s7
	s_and_not1_b32 exec_lo, exec_lo, s7
	s_cbranch_execz .LBB187_16
.LBB187_9:                              ; =>This Loop Header: Depth=1
                                        ;     Child Loop BB187_11 Depth 2
	s_wait_dscnt 0x0
	v_lshlrev_b64_e32 v[4:5], 3, v[2:3]
	v_mov_b32_e32 v11, 0
	s_mov_b32 s17, exec_lo
	s_delay_alu instid0(VALU_DEP_2)
	v_add_nc_u64_e32 v[6:7], s[10:11], v[4:5]
	v_add_nc_u64_e32 v[4:5], s[8:9], v[4:5]
	global_load_b64 v[8:9], v[6:7], off
	global_load_b64 v[12:13], v[4:5], off
	s_wait_loadcnt 0x1
	s_wait_xcnt 0x0
	v_sub_nc_u64_e64 v[4:5], v[8:9], s[2:3]
	s_wait_loadcnt 0x0
	v_add_nc_u64_e32 v[6:7], v[12:13], v[0:1]
	s_delay_alu instid0(VALU_DEP_1)
	v_cmpx_lt_i64_e64 v[6:7], v[4:5]
	s_cbranch_execz .LBB187_13
; %bb.10:                               ;   in Loop: Header=BB187_9 Depth=1
	v_lshl_add_u64 v[8:9], v[6:7], 3, s[12:13]
	v_mov_b32_e32 v11, 0
	s_mov_b32 s24, 0
.LBB187_11:                             ;   Parent Loop BB187_9 Depth=1
                                        ; =>  This Inner Loop Header: Depth=2
	global_load_b64 v[12:13], v[8:9], off
	v_add_nc_u64_e32 v[14:15], s[14:15], v[6:7]
	v_add_nc_u64_e32 v[6:7], 2, v[6:7]
	s_wait_xcnt 0x0
	v_add_nc_u64_e32 v[8:9], 16, v[8:9]
	s_delay_alu instid0(VALU_DEP_2)
	v_cmp_ge_i64_e32 vcc_lo, v[6:7], v[4:5]
	s_or_b32 s24, vcc_lo, s24
	s_wait_loadcnt 0x0
	v_add_nc_u64_e32 v[12:13], s[22:23], v[12:13]
	global_load_i8 v16, v[14:15], off
	global_load_i8 v17, v[12:13], off
	s_wait_loadcnt 0x1
	s_wait_xcnt 0x0
	v_cvt_f32_i32_e32 v12, v16
	s_wait_loadcnt 0x0
	v_cvt_f32_i32_e32 v13, v17
	s_delay_alu instid0(VALU_DEP_2) | instskip(NEXT) | instid1(VALU_DEP_1)
	v_mul_f32_e32 v12, s6, v12
	v_fmac_f32_e32 v11, v12, v13
	s_and_not1_b32 exec_lo, exec_lo, s24
	s_cbranch_execnz .LBB187_11
; %bb.12:                               ;   in Loop: Header=BB187_9 Depth=1
	s_or_b32 exec_lo, exec_lo, s24
.LBB187_13:                             ;   in Loop: Header=BB187_9 Depth=1
	s_delay_alu instid0(SALU_CYCLE_1)
	s_or_b32 exec_lo, exec_lo, s17
	ds_bpermute_b32 v4, v10, v11
	s_and_saveexec_b32 s17, s0
	s_cbranch_execz .LBB187_8
; %bb.14:                               ;   in Loop: Header=BB187_9 Depth=1
	s_wait_dscnt 0x0
	v_add_f32_e32 v6, v11, v4
	v_lshl_add_u64 v[4:5], v[2:3], 2, s[18:19]
	s_and_not1_b32 vcc_lo, exec_lo, s1
	s_cbranch_vccnz .LBB187_7
; %bb.15:                               ;   in Loop: Header=BB187_9 Depth=1
	global_load_b32 v7, v[4:5], off
	s_wait_loadcnt 0x0
	v_fmac_f32_e32 v6, s16, v7
	s_branch .LBB187_7
.LBB187_16:
	s_endpgm
	.section	.rodata,"a",@progbits
	.p2align	6, 0x0
	.amdhsa_kernel _ZN9rocsparseL21csrmvn_general_kernelILj256ELj2EllaaffEEvbT2_NS_24const_host_device_scalarIT6_EEPKT1_S7_PKS1_PKT3_PKT4_S4_PT5_21rocsparse_index_base_b
		.amdhsa_group_segment_fixed_size 0
		.amdhsa_private_segment_fixed_size 0
		.amdhsa_kernarg_size 344
		.amdhsa_user_sgpr_count 2
		.amdhsa_user_sgpr_dispatch_ptr 0
		.amdhsa_user_sgpr_queue_ptr 0
		.amdhsa_user_sgpr_kernarg_segment_ptr 1
		.amdhsa_user_sgpr_dispatch_id 0
		.amdhsa_user_sgpr_kernarg_preload_length 0
		.amdhsa_user_sgpr_kernarg_preload_offset 0
		.amdhsa_user_sgpr_private_segment_size 0
		.amdhsa_wavefront_size32 1
		.amdhsa_uses_dynamic_stack 0
		.amdhsa_enable_private_segment 0
		.amdhsa_system_sgpr_workgroup_id_x 1
		.amdhsa_system_sgpr_workgroup_id_y 0
		.amdhsa_system_sgpr_workgroup_id_z 0
		.amdhsa_system_sgpr_workgroup_info 0
		.amdhsa_system_vgpr_workitem_id 0
		.amdhsa_next_free_vgpr 18
		.amdhsa_next_free_sgpr 26
		.amdhsa_named_barrier_count 0
		.amdhsa_reserve_vcc 1
		.amdhsa_float_round_mode_32 0
		.amdhsa_float_round_mode_16_64 0
		.amdhsa_float_denorm_mode_32 3
		.amdhsa_float_denorm_mode_16_64 3
		.amdhsa_fp16_overflow 0
		.amdhsa_memory_ordered 1
		.amdhsa_forward_progress 1
		.amdhsa_inst_pref_size 6
		.amdhsa_round_robin_scheduling 0
		.amdhsa_exception_fp_ieee_invalid_op 0
		.amdhsa_exception_fp_denorm_src 0
		.amdhsa_exception_fp_ieee_div_zero 0
		.amdhsa_exception_fp_ieee_overflow 0
		.amdhsa_exception_fp_ieee_underflow 0
		.amdhsa_exception_fp_ieee_inexact 0
		.amdhsa_exception_int_div_zero 0
	.end_amdhsa_kernel
	.section	.text._ZN9rocsparseL21csrmvn_general_kernelILj256ELj2EllaaffEEvbT2_NS_24const_host_device_scalarIT6_EEPKT1_S7_PKS1_PKT3_PKT4_S4_PT5_21rocsparse_index_base_b,"axG",@progbits,_ZN9rocsparseL21csrmvn_general_kernelILj256ELj2EllaaffEEvbT2_NS_24const_host_device_scalarIT6_EEPKT1_S7_PKS1_PKT3_PKT4_S4_PT5_21rocsparse_index_base_b,comdat
.Lfunc_end187:
	.size	_ZN9rocsparseL21csrmvn_general_kernelILj256ELj2EllaaffEEvbT2_NS_24const_host_device_scalarIT6_EEPKT1_S7_PKS1_PKT3_PKT4_S4_PT5_21rocsparse_index_base_b, .Lfunc_end187-_ZN9rocsparseL21csrmvn_general_kernelILj256ELj2EllaaffEEvbT2_NS_24const_host_device_scalarIT6_EEPKT1_S7_PKS1_PKT3_PKT4_S4_PT5_21rocsparse_index_base_b
                                        ; -- End function
	.set _ZN9rocsparseL21csrmvn_general_kernelILj256ELj2EllaaffEEvbT2_NS_24const_host_device_scalarIT6_EEPKT1_S7_PKS1_PKT3_PKT4_S4_PT5_21rocsparse_index_base_b.num_vgpr, 18
	.set _ZN9rocsparseL21csrmvn_general_kernelILj256ELj2EllaaffEEvbT2_NS_24const_host_device_scalarIT6_EEPKT1_S7_PKS1_PKT3_PKT4_S4_PT5_21rocsparse_index_base_b.num_agpr, 0
	.set _ZN9rocsparseL21csrmvn_general_kernelILj256ELj2EllaaffEEvbT2_NS_24const_host_device_scalarIT6_EEPKT1_S7_PKS1_PKT3_PKT4_S4_PT5_21rocsparse_index_base_b.numbered_sgpr, 26
	.set _ZN9rocsparseL21csrmvn_general_kernelILj256ELj2EllaaffEEvbT2_NS_24const_host_device_scalarIT6_EEPKT1_S7_PKS1_PKT3_PKT4_S4_PT5_21rocsparse_index_base_b.num_named_barrier, 0
	.set _ZN9rocsparseL21csrmvn_general_kernelILj256ELj2EllaaffEEvbT2_NS_24const_host_device_scalarIT6_EEPKT1_S7_PKS1_PKT3_PKT4_S4_PT5_21rocsparse_index_base_b.private_seg_size, 0
	.set _ZN9rocsparseL21csrmvn_general_kernelILj256ELj2EllaaffEEvbT2_NS_24const_host_device_scalarIT6_EEPKT1_S7_PKS1_PKT3_PKT4_S4_PT5_21rocsparse_index_base_b.uses_vcc, 1
	.set _ZN9rocsparseL21csrmvn_general_kernelILj256ELj2EllaaffEEvbT2_NS_24const_host_device_scalarIT6_EEPKT1_S7_PKS1_PKT3_PKT4_S4_PT5_21rocsparse_index_base_b.uses_flat_scratch, 0
	.set _ZN9rocsparseL21csrmvn_general_kernelILj256ELj2EllaaffEEvbT2_NS_24const_host_device_scalarIT6_EEPKT1_S7_PKS1_PKT3_PKT4_S4_PT5_21rocsparse_index_base_b.has_dyn_sized_stack, 0
	.set _ZN9rocsparseL21csrmvn_general_kernelILj256ELj2EllaaffEEvbT2_NS_24const_host_device_scalarIT6_EEPKT1_S7_PKS1_PKT3_PKT4_S4_PT5_21rocsparse_index_base_b.has_recursion, 0
	.set _ZN9rocsparseL21csrmvn_general_kernelILj256ELj2EllaaffEEvbT2_NS_24const_host_device_scalarIT6_EEPKT1_S7_PKS1_PKT3_PKT4_S4_PT5_21rocsparse_index_base_b.has_indirect_call, 0
	.section	.AMDGPU.csdata,"",@progbits
; Kernel info:
; codeLenInByte = 680
; TotalNumSgprs: 28
; NumVgprs: 18
; ScratchSize: 0
; MemoryBound: 0
; FloatMode: 240
; IeeeMode: 1
; LDSByteSize: 0 bytes/workgroup (compile time only)
; SGPRBlocks: 0
; VGPRBlocks: 1
; NumSGPRsForWavesPerEU: 28
; NumVGPRsForWavesPerEU: 18
; NamedBarCnt: 0
; Occupancy: 16
; WaveLimiterHint : 1
; COMPUTE_PGM_RSRC2:SCRATCH_EN: 0
; COMPUTE_PGM_RSRC2:USER_SGPR: 2
; COMPUTE_PGM_RSRC2:TRAP_HANDLER: 0
; COMPUTE_PGM_RSRC2:TGID_X_EN: 1
; COMPUTE_PGM_RSRC2:TGID_Y_EN: 0
; COMPUTE_PGM_RSRC2:TGID_Z_EN: 0
; COMPUTE_PGM_RSRC2:TIDIG_COMP_CNT: 0
	.section	.text._ZN9rocsparseL21csrmvn_general_kernelILj256ELj4EllaaffEEvbT2_NS_24const_host_device_scalarIT6_EEPKT1_S7_PKS1_PKT3_PKT4_S4_PT5_21rocsparse_index_base_b,"axG",@progbits,_ZN9rocsparseL21csrmvn_general_kernelILj256ELj4EllaaffEEvbT2_NS_24const_host_device_scalarIT6_EEPKT1_S7_PKS1_PKT3_PKT4_S4_PT5_21rocsparse_index_base_b,comdat
	.globl	_ZN9rocsparseL21csrmvn_general_kernelILj256ELj4EllaaffEEvbT2_NS_24const_host_device_scalarIT6_EEPKT1_S7_PKS1_PKT3_PKT4_S4_PT5_21rocsparse_index_base_b ; -- Begin function _ZN9rocsparseL21csrmvn_general_kernelILj256ELj4EllaaffEEvbT2_NS_24const_host_device_scalarIT6_EEPKT1_S7_PKS1_PKT3_PKT4_S4_PT5_21rocsparse_index_base_b
	.p2align	8
	.type	_ZN9rocsparseL21csrmvn_general_kernelILj256ELj4EllaaffEEvbT2_NS_24const_host_device_scalarIT6_EEPKT1_S7_PKS1_PKT3_PKT4_S4_PT5_21rocsparse_index_base_b,@function
_ZN9rocsparseL21csrmvn_general_kernelILj256ELj4EllaaffEEvbT2_NS_24const_host_device_scalarIT6_EEPKT1_S7_PKS1_PKT3_PKT4_S4_PT5_21rocsparse_index_base_b: ; @_ZN9rocsparseL21csrmvn_general_kernelILj256ELj4EllaaffEEvbT2_NS_24const_host_device_scalarIT6_EEPKT1_S7_PKS1_PKT3_PKT4_S4_PT5_21rocsparse_index_base_b
; %bb.0:
	s_clause 0x2
	s_load_b64 s[2:3], s[0:1], 0x50
	s_load_b64 s[16:17], s[0:1], 0x40
	s_load_b256 s[4:11], s[0:1], 0x8
	s_wait_kmcnt 0x0
	s_bitcmp1_b32 s3, 0
	s_cselect_b32 s3, -1, 0
	s_delay_alu instid0(SALU_CYCLE_1)
	s_and_b32 vcc_lo, exec_lo, s3
	s_xor_b32 s3, s3, -1
	s_cbranch_vccnz .LBB188_2
; %bb.1:
	s_load_b32 s6, s[6:7], 0x0
.LBB188_2:
	s_and_not1_b32 vcc_lo, exec_lo, s3
	s_cbranch_vccnz .LBB188_4
; %bb.3:
	s_load_b32 s16, s[16:17], 0x0
.LBB188_4:
	s_wait_kmcnt 0x0
	s_cmp_neq_f32 s6, 0
	s_cselect_b32 s3, -1, 0
	s_cmp_neq_f32 s16, 1.0
	s_cselect_b32 s7, -1, 0
	s_delay_alu instid0(SALU_CYCLE_1) | instskip(NEXT) | instid1(SALU_CYCLE_1)
	s_or_b32 s3, s3, s7
	s_and_not1_b32 vcc_lo, exec_lo, s3
	s_cbranch_vccnz .LBB188_16
; %bb.5:
	s_bfe_u32 s3, ttmp6, 0x4000c
	s_and_b32 s7, ttmp6, 15
	s_add_co_i32 s3, s3, 1
	s_getreg_b32 s12, hwreg(HW_REG_IB_STS2, 6, 4)
	s_mul_i32 s3, ttmp9, s3
	v_mov_b32_e32 v3, 0
	s_add_co_i32 s7, s7, s3
	s_cmp_eq_u32 s12, 0
	s_cselect_b32 s3, ttmp9, s7
	s_delay_alu instid0(SALU_CYCLE_1) | instskip(SKIP_1) | instid1(VALU_DEP_1)
	v_lshl_or_b32 v1, s3, 8, v0
	s_mov_b32 s3, exec_lo
	v_lshrrev_b32_e32 v2, 2, v1
	s_delay_alu instid0(VALU_DEP_1)
	v_cmpx_gt_i64_e64 s[4:5], v[2:3]
	s_cbranch_execz .LBB188_16
; %bb.6:
	v_mbcnt_lo_u32_b32 v6, -1, 0
	s_clause 0x3
	s_load_b32 s7, s[0:1], 0x58
	s_load_b64 s[18:19], s[0:1], 0x48
	s_load_b128 s[12:15], s[0:1], 0x28
	s_load_b64 s[22:23], s[0:1], 0x38
	v_dual_mov_b32 v5, v3 :: v_dual_bitop2_b32 v4, 3, v0 bitop3:0x40
	s_mov_b32 s21, 0
	v_xor_b32_e32 v8, 1, v6
	v_xor_b32_e32 v7, 2, v6
	s_mov_b32 s3, s21
	s_wait_xcnt 0x0
	s_ashr_i32 s1, s2, 31
	v_sub_nc_u64_e64 v[0:1], v[4:5], s[2:3]
	s_mov_b32 s0, s2
	v_cmp_gt_i32_e32 vcc_lo, 32, v7
	s_sub_nc_u64 s[24:25], 0, s[0:1]
	v_cmp_eq_u32_e64 s0, 3, v4
	v_cndmask_b32_e32 v5, v6, v7, vcc_lo
	v_cmp_gt_i32_e32 vcc_lo, 32, v8
	s_wait_kmcnt 0x0
	s_lshl_b32 s20, s7, 6
	s_cmp_neq_f32 s16, 0
	s_mov_b32 s7, s21
	s_add_nc_u64 s[22:23], s[22:23], s[24:25]
	v_dual_cndmask_b32 v6, v6, v8, vcc_lo :: v_dual_lshlrev_b32 v10, 2, v5
	s_cselect_b32 s1, -1, 0
	s_delay_alu instid0(VALU_DEP_1)
	v_lshlrev_b32_e32 v11, 2, v6
	s_branch .LBB188_9
.LBB188_7:                              ;   in Loop: Header=BB188_9 Depth=1
	global_store_b32 v[4:5], v6, off
.LBB188_8:                              ;   in Loop: Header=BB188_9 Depth=1
	s_wait_xcnt 0x0
	s_or_b32 exec_lo, exec_lo, s17
	v_add_nc_u64_e32 v[2:3], s[20:21], v[2:3]
	s_delay_alu instid0(VALU_DEP_1) | instskip(SKIP_1) | instid1(SALU_CYCLE_1)
	v_cmp_le_i64_e32 vcc_lo, s[4:5], v[2:3]
	s_or_b32 s7, vcc_lo, s7
	s_and_not1_b32 exec_lo, exec_lo, s7
	s_cbranch_execz .LBB188_16
.LBB188_9:                              ; =>This Loop Header: Depth=1
                                        ;     Child Loop BB188_11 Depth 2
	s_wait_dscnt 0x0
	v_lshlrev_b64_e32 v[4:5], 3, v[2:3]
	s_mov_b32 s17, exec_lo
	s_delay_alu instid0(VALU_DEP_1)
	v_add_nc_u64_e32 v[6:7], s[10:11], v[4:5]
	v_add_nc_u64_e32 v[4:5], s[8:9], v[4:5]
	global_load_b64 v[8:9], v[6:7], off
	global_load_b64 v[12:13], v[4:5], off
	s_wait_loadcnt 0x1
	s_wait_xcnt 0x0
	v_sub_nc_u64_e64 v[4:5], v[8:9], s[2:3]
	s_wait_loadcnt 0x0
	v_add_nc_u64_e32 v[6:7], v[12:13], v[0:1]
	v_mov_b32_e32 v12, 0
	s_delay_alu instid0(VALU_DEP_2)
	v_cmpx_lt_i64_e64 v[6:7], v[4:5]
	s_cbranch_execz .LBB188_13
; %bb.10:                               ;   in Loop: Header=BB188_9 Depth=1
	v_lshl_add_u64 v[8:9], v[6:7], 3, s[12:13]
	v_mov_b32_e32 v12, 0
	s_mov_b32 s24, 0
.LBB188_11:                             ;   Parent Loop BB188_9 Depth=1
                                        ; =>  This Inner Loop Header: Depth=2
	global_load_b64 v[14:15], v[8:9], off
	v_add_nc_u64_e32 v[16:17], s[14:15], v[6:7]
	v_add_nc_u64_e32 v[6:7], 4, v[6:7]
	s_wait_xcnt 0x0
	v_add_nc_u64_e32 v[8:9], 32, v[8:9]
	s_delay_alu instid0(VALU_DEP_2)
	v_cmp_ge_i64_e32 vcc_lo, v[6:7], v[4:5]
	s_or_b32 s24, vcc_lo, s24
	s_wait_loadcnt 0x0
	v_add_nc_u64_e32 v[14:15], s[22:23], v[14:15]
	global_load_i8 v13, v[16:17], off
	global_load_i8 v18, v[14:15], off
	s_wait_loadcnt 0x1
	v_cvt_f32_i32_e32 v13, v13
	s_wait_loadcnt 0x0
	s_wait_xcnt 0x0
	v_cvt_f32_i32_e32 v14, v18
	s_delay_alu instid0(VALU_DEP_2) | instskip(NEXT) | instid1(VALU_DEP_1)
	v_mul_f32_e32 v13, s6, v13
	v_fmac_f32_e32 v12, v13, v14
	s_and_not1_b32 exec_lo, exec_lo, s24
	s_cbranch_execnz .LBB188_11
; %bb.12:                               ;   in Loop: Header=BB188_9 Depth=1
	s_or_b32 exec_lo, exec_lo, s24
.LBB188_13:                             ;   in Loop: Header=BB188_9 Depth=1
	s_delay_alu instid0(SALU_CYCLE_1)
	s_or_b32 exec_lo, exec_lo, s17
	ds_bpermute_b32 v4, v10, v12
	s_wait_dscnt 0x0
	v_add_f32_e32 v4, v12, v4
	ds_bpermute_b32 v5, v11, v4
	s_and_saveexec_b32 s17, s0
	s_cbranch_execz .LBB188_8
; %bb.14:                               ;   in Loop: Header=BB188_9 Depth=1
	s_wait_dscnt 0x0
	v_add_f32_e32 v6, v4, v5
	v_lshl_add_u64 v[4:5], v[2:3], 2, s[18:19]
	s_and_not1_b32 vcc_lo, exec_lo, s1
	s_cbranch_vccnz .LBB188_7
; %bb.15:                               ;   in Loop: Header=BB188_9 Depth=1
	global_load_b32 v7, v[4:5], off
	s_wait_loadcnt 0x0
	v_fmac_f32_e32 v6, s16, v7
	s_branch .LBB188_7
.LBB188_16:
	s_endpgm
	.section	.rodata,"a",@progbits
	.p2align	6, 0x0
	.amdhsa_kernel _ZN9rocsparseL21csrmvn_general_kernelILj256ELj4EllaaffEEvbT2_NS_24const_host_device_scalarIT6_EEPKT1_S7_PKS1_PKT3_PKT4_S4_PT5_21rocsparse_index_base_b
		.amdhsa_group_segment_fixed_size 0
		.amdhsa_private_segment_fixed_size 0
		.amdhsa_kernarg_size 344
		.amdhsa_user_sgpr_count 2
		.amdhsa_user_sgpr_dispatch_ptr 0
		.amdhsa_user_sgpr_queue_ptr 0
		.amdhsa_user_sgpr_kernarg_segment_ptr 1
		.amdhsa_user_sgpr_dispatch_id 0
		.amdhsa_user_sgpr_kernarg_preload_length 0
		.amdhsa_user_sgpr_kernarg_preload_offset 0
		.amdhsa_user_sgpr_private_segment_size 0
		.amdhsa_wavefront_size32 1
		.amdhsa_uses_dynamic_stack 0
		.amdhsa_enable_private_segment 0
		.amdhsa_system_sgpr_workgroup_id_x 1
		.amdhsa_system_sgpr_workgroup_id_y 0
		.amdhsa_system_sgpr_workgroup_id_z 0
		.amdhsa_system_sgpr_workgroup_info 0
		.amdhsa_system_vgpr_workitem_id 0
		.amdhsa_next_free_vgpr 19
		.amdhsa_next_free_sgpr 26
		.amdhsa_named_barrier_count 0
		.amdhsa_reserve_vcc 1
		.amdhsa_float_round_mode_32 0
		.amdhsa_float_round_mode_16_64 0
		.amdhsa_float_denorm_mode_32 3
		.amdhsa_float_denorm_mode_16_64 3
		.amdhsa_fp16_overflow 0
		.amdhsa_memory_ordered 1
		.amdhsa_forward_progress 1
		.amdhsa_inst_pref_size 6
		.amdhsa_round_robin_scheduling 0
		.amdhsa_exception_fp_ieee_invalid_op 0
		.amdhsa_exception_fp_denorm_src 0
		.amdhsa_exception_fp_ieee_div_zero 0
		.amdhsa_exception_fp_ieee_overflow 0
		.amdhsa_exception_fp_ieee_underflow 0
		.amdhsa_exception_fp_ieee_inexact 0
		.amdhsa_exception_int_div_zero 0
	.end_amdhsa_kernel
	.section	.text._ZN9rocsparseL21csrmvn_general_kernelILj256ELj4EllaaffEEvbT2_NS_24const_host_device_scalarIT6_EEPKT1_S7_PKS1_PKT3_PKT4_S4_PT5_21rocsparse_index_base_b,"axG",@progbits,_ZN9rocsparseL21csrmvn_general_kernelILj256ELj4EllaaffEEvbT2_NS_24const_host_device_scalarIT6_EEPKT1_S7_PKS1_PKT3_PKT4_S4_PT5_21rocsparse_index_base_b,comdat
.Lfunc_end188:
	.size	_ZN9rocsparseL21csrmvn_general_kernelILj256ELj4EllaaffEEvbT2_NS_24const_host_device_scalarIT6_EEPKT1_S7_PKS1_PKT3_PKT4_S4_PT5_21rocsparse_index_base_b, .Lfunc_end188-_ZN9rocsparseL21csrmvn_general_kernelILj256ELj4EllaaffEEvbT2_NS_24const_host_device_scalarIT6_EEPKT1_S7_PKS1_PKT3_PKT4_S4_PT5_21rocsparse_index_base_b
                                        ; -- End function
	.set _ZN9rocsparseL21csrmvn_general_kernelILj256ELj4EllaaffEEvbT2_NS_24const_host_device_scalarIT6_EEPKT1_S7_PKS1_PKT3_PKT4_S4_PT5_21rocsparse_index_base_b.num_vgpr, 19
	.set _ZN9rocsparseL21csrmvn_general_kernelILj256ELj4EllaaffEEvbT2_NS_24const_host_device_scalarIT6_EEPKT1_S7_PKS1_PKT3_PKT4_S4_PT5_21rocsparse_index_base_b.num_agpr, 0
	.set _ZN9rocsparseL21csrmvn_general_kernelILj256ELj4EllaaffEEvbT2_NS_24const_host_device_scalarIT6_EEPKT1_S7_PKS1_PKT3_PKT4_S4_PT5_21rocsparse_index_base_b.numbered_sgpr, 26
	.set _ZN9rocsparseL21csrmvn_general_kernelILj256ELj4EllaaffEEvbT2_NS_24const_host_device_scalarIT6_EEPKT1_S7_PKS1_PKT3_PKT4_S4_PT5_21rocsparse_index_base_b.num_named_barrier, 0
	.set _ZN9rocsparseL21csrmvn_general_kernelILj256ELj4EllaaffEEvbT2_NS_24const_host_device_scalarIT6_EEPKT1_S7_PKS1_PKT3_PKT4_S4_PT5_21rocsparse_index_base_b.private_seg_size, 0
	.set _ZN9rocsparseL21csrmvn_general_kernelILj256ELj4EllaaffEEvbT2_NS_24const_host_device_scalarIT6_EEPKT1_S7_PKS1_PKT3_PKT4_S4_PT5_21rocsparse_index_base_b.uses_vcc, 1
	.set _ZN9rocsparseL21csrmvn_general_kernelILj256ELj4EllaaffEEvbT2_NS_24const_host_device_scalarIT6_EEPKT1_S7_PKS1_PKT3_PKT4_S4_PT5_21rocsparse_index_base_b.uses_flat_scratch, 0
	.set _ZN9rocsparseL21csrmvn_general_kernelILj256ELj4EllaaffEEvbT2_NS_24const_host_device_scalarIT6_EEPKT1_S7_PKS1_PKT3_PKT4_S4_PT5_21rocsparse_index_base_b.has_dyn_sized_stack, 0
	.set _ZN9rocsparseL21csrmvn_general_kernelILj256ELj4EllaaffEEvbT2_NS_24const_host_device_scalarIT6_EEPKT1_S7_PKS1_PKT3_PKT4_S4_PT5_21rocsparse_index_base_b.has_recursion, 0
	.set _ZN9rocsparseL21csrmvn_general_kernelILj256ELj4EllaaffEEvbT2_NS_24const_host_device_scalarIT6_EEPKT1_S7_PKS1_PKT3_PKT4_S4_PT5_21rocsparse_index_base_b.has_indirect_call, 0
	.section	.AMDGPU.csdata,"",@progbits
; Kernel info:
; codeLenInByte = 716
; TotalNumSgprs: 28
; NumVgprs: 19
; ScratchSize: 0
; MemoryBound: 0
; FloatMode: 240
; IeeeMode: 1
; LDSByteSize: 0 bytes/workgroup (compile time only)
; SGPRBlocks: 0
; VGPRBlocks: 1
; NumSGPRsForWavesPerEU: 28
; NumVGPRsForWavesPerEU: 19
; NamedBarCnt: 0
; Occupancy: 16
; WaveLimiterHint : 1
; COMPUTE_PGM_RSRC2:SCRATCH_EN: 0
; COMPUTE_PGM_RSRC2:USER_SGPR: 2
; COMPUTE_PGM_RSRC2:TRAP_HANDLER: 0
; COMPUTE_PGM_RSRC2:TGID_X_EN: 1
; COMPUTE_PGM_RSRC2:TGID_Y_EN: 0
; COMPUTE_PGM_RSRC2:TGID_Z_EN: 0
; COMPUTE_PGM_RSRC2:TIDIG_COMP_CNT: 0
	.section	.text._ZN9rocsparseL21csrmvn_general_kernelILj256ELj8EllaaffEEvbT2_NS_24const_host_device_scalarIT6_EEPKT1_S7_PKS1_PKT3_PKT4_S4_PT5_21rocsparse_index_base_b,"axG",@progbits,_ZN9rocsparseL21csrmvn_general_kernelILj256ELj8EllaaffEEvbT2_NS_24const_host_device_scalarIT6_EEPKT1_S7_PKS1_PKT3_PKT4_S4_PT5_21rocsparse_index_base_b,comdat
	.globl	_ZN9rocsparseL21csrmvn_general_kernelILj256ELj8EllaaffEEvbT2_NS_24const_host_device_scalarIT6_EEPKT1_S7_PKS1_PKT3_PKT4_S4_PT5_21rocsparse_index_base_b ; -- Begin function _ZN9rocsparseL21csrmvn_general_kernelILj256ELj8EllaaffEEvbT2_NS_24const_host_device_scalarIT6_EEPKT1_S7_PKS1_PKT3_PKT4_S4_PT5_21rocsparse_index_base_b
	.p2align	8
	.type	_ZN9rocsparseL21csrmvn_general_kernelILj256ELj8EllaaffEEvbT2_NS_24const_host_device_scalarIT6_EEPKT1_S7_PKS1_PKT3_PKT4_S4_PT5_21rocsparse_index_base_b,@function
_ZN9rocsparseL21csrmvn_general_kernelILj256ELj8EllaaffEEvbT2_NS_24const_host_device_scalarIT6_EEPKT1_S7_PKS1_PKT3_PKT4_S4_PT5_21rocsparse_index_base_b: ; @_ZN9rocsparseL21csrmvn_general_kernelILj256ELj8EllaaffEEvbT2_NS_24const_host_device_scalarIT6_EEPKT1_S7_PKS1_PKT3_PKT4_S4_PT5_21rocsparse_index_base_b
; %bb.0:
	s_clause 0x2
	s_load_b64 s[2:3], s[0:1], 0x50
	s_load_b64 s[16:17], s[0:1], 0x40
	s_load_b256 s[4:11], s[0:1], 0x8
	s_wait_kmcnt 0x0
	s_bitcmp1_b32 s3, 0
	s_cselect_b32 s3, -1, 0
	s_delay_alu instid0(SALU_CYCLE_1)
	s_and_b32 vcc_lo, exec_lo, s3
	s_xor_b32 s3, s3, -1
	s_cbranch_vccnz .LBB189_2
; %bb.1:
	s_load_b32 s6, s[6:7], 0x0
.LBB189_2:
	s_and_not1_b32 vcc_lo, exec_lo, s3
	s_cbranch_vccnz .LBB189_4
; %bb.3:
	s_load_b32 s16, s[16:17], 0x0
.LBB189_4:
	s_wait_kmcnt 0x0
	s_cmp_neq_f32 s6, 0
	s_cselect_b32 s3, -1, 0
	s_cmp_neq_f32 s16, 1.0
	s_cselect_b32 s7, -1, 0
	s_delay_alu instid0(SALU_CYCLE_1) | instskip(NEXT) | instid1(SALU_CYCLE_1)
	s_or_b32 s3, s3, s7
	s_and_not1_b32 vcc_lo, exec_lo, s3
	s_cbranch_vccnz .LBB189_16
; %bb.5:
	s_bfe_u32 s3, ttmp6, 0x4000c
	s_and_b32 s7, ttmp6, 15
	s_add_co_i32 s3, s3, 1
	s_getreg_b32 s12, hwreg(HW_REG_IB_STS2, 6, 4)
	s_mul_i32 s3, ttmp9, s3
	v_mov_b32_e32 v3, 0
	s_add_co_i32 s7, s7, s3
	s_cmp_eq_u32 s12, 0
	s_cselect_b32 s3, ttmp9, s7
	s_delay_alu instid0(SALU_CYCLE_1) | instskip(SKIP_1) | instid1(VALU_DEP_1)
	v_lshl_or_b32 v1, s3, 8, v0
	s_mov_b32 s3, exec_lo
	v_lshrrev_b32_e32 v2, 3, v1
	s_delay_alu instid0(VALU_DEP_1)
	v_cmpx_gt_i64_e64 s[4:5], v[2:3]
	s_cbranch_execz .LBB189_16
; %bb.6:
	v_mbcnt_lo_u32_b32 v6, -1, 0
	v_dual_mov_b32 v5, v3 :: v_dual_bitop2_b32 v4, 7, v0 bitop3:0x40
	s_clause 0x3
	s_load_b32 s7, s[0:1], 0x58
	s_load_b64 s[18:19], s[0:1], 0x48
	s_load_b128 s[12:15], s[0:1], 0x28
	s_load_b64 s[22:23], s[0:1], 0x38
	s_mov_b32 s21, 0
	v_xor_b32_e32 v8, 2, v6
	v_xor_b32_e32 v7, 4, v6
	s_mov_b32 s3, s21
	s_wait_xcnt 0x0
	s_ashr_i32 s1, s2, 31
	v_sub_nc_u64_e64 v[0:1], v[4:5], s[2:3]
	s_mov_b32 s0, s2
	v_cmp_gt_i32_e32 vcc_lo, 32, v7
	s_sub_nc_u64 s[24:25], 0, s[0:1]
	v_cmp_eq_u32_e64 s0, 7, v4
	v_dual_cndmask_b32 v7, v6, v7, vcc_lo :: v_dual_bitop2_b32 v5, 1, v6 bitop3:0x14
	v_cmp_gt_i32_e32 vcc_lo, 32, v8
	s_wait_kmcnt 0x0
	s_lshl_b32 s20, s7, 5
	s_delay_alu instid0(VALU_DEP_2)
	v_lshlrev_b32_e32 v10, 2, v7
	s_cmp_neq_f32 s16, 0
	v_cndmask_b32_e32 v8, v6, v8, vcc_lo
	v_cmp_gt_i32_e32 vcc_lo, 32, v5
	s_add_nc_u64 s[22:23], s[22:23], s[24:25]
	s_cselect_b32 s1, -1, 0
	s_mov_b32 s7, s21
	v_dual_lshlrev_b32 v11, 2, v8 :: v_dual_cndmask_b32 v5, v6, v5, vcc_lo
	s_delay_alu instid0(VALU_DEP_1)
	v_lshlrev_b32_e32 v12, 2, v5
	s_branch .LBB189_9
.LBB189_7:                              ;   in Loop: Header=BB189_9 Depth=1
	global_store_b32 v[4:5], v6, off
.LBB189_8:                              ;   in Loop: Header=BB189_9 Depth=1
	s_wait_xcnt 0x0
	s_or_b32 exec_lo, exec_lo, s17
	v_add_nc_u64_e32 v[2:3], s[20:21], v[2:3]
	s_delay_alu instid0(VALU_DEP_1) | instskip(SKIP_1) | instid1(SALU_CYCLE_1)
	v_cmp_le_i64_e32 vcc_lo, s[4:5], v[2:3]
	s_or_b32 s7, vcc_lo, s7
	s_and_not1_b32 exec_lo, exec_lo, s7
	s_cbranch_execz .LBB189_16
.LBB189_9:                              ; =>This Loop Header: Depth=1
                                        ;     Child Loop BB189_11 Depth 2
	s_wait_dscnt 0x0
	v_lshlrev_b64_e32 v[4:5], 3, v[2:3]
	v_mov_b32_e32 v13, 0
	s_mov_b32 s17, exec_lo
	s_delay_alu instid0(VALU_DEP_2)
	v_add_nc_u64_e32 v[6:7], s[10:11], v[4:5]
	v_add_nc_u64_e32 v[4:5], s[8:9], v[4:5]
	global_load_b64 v[8:9], v[6:7], off
	global_load_b64 v[14:15], v[4:5], off
	s_wait_loadcnt 0x1
	s_wait_xcnt 0x0
	v_sub_nc_u64_e64 v[4:5], v[8:9], s[2:3]
	s_wait_loadcnt 0x0
	v_add_nc_u64_e32 v[6:7], v[14:15], v[0:1]
	s_delay_alu instid0(VALU_DEP_1)
	v_cmpx_lt_i64_e64 v[6:7], v[4:5]
	s_cbranch_execz .LBB189_13
; %bb.10:                               ;   in Loop: Header=BB189_9 Depth=1
	v_lshl_add_u64 v[8:9], v[6:7], 3, s[12:13]
	v_mov_b32_e32 v13, 0
	s_mov_b32 s24, 0
.LBB189_11:                             ;   Parent Loop BB189_9 Depth=1
                                        ; =>  This Inner Loop Header: Depth=2
	global_load_b64 v[14:15], v[8:9], off
	v_add_nc_u64_e32 v[16:17], s[14:15], v[6:7]
	v_add_nc_u64_e32 v[6:7], 8, v[6:7]
	s_wait_xcnt 0x0
	v_add_nc_u64_e32 v[8:9], 64, v[8:9]
	s_delay_alu instid0(VALU_DEP_2)
	v_cmp_ge_i64_e32 vcc_lo, v[6:7], v[4:5]
	s_or_b32 s24, vcc_lo, s24
	s_wait_loadcnt 0x0
	v_add_nc_u64_e32 v[14:15], s[22:23], v[14:15]
	global_load_i8 v18, v[16:17], off
	global_load_i8 v19, v[14:15], off
	s_wait_loadcnt 0x1
	s_wait_xcnt 0x0
	v_cvt_f32_i32_e32 v14, v18
	s_wait_loadcnt 0x0
	v_cvt_f32_i32_e32 v15, v19
	s_delay_alu instid0(VALU_DEP_2) | instskip(NEXT) | instid1(VALU_DEP_1)
	v_mul_f32_e32 v14, s6, v14
	v_fmac_f32_e32 v13, v14, v15
	s_and_not1_b32 exec_lo, exec_lo, s24
	s_cbranch_execnz .LBB189_11
; %bb.12:                               ;   in Loop: Header=BB189_9 Depth=1
	s_or_b32 exec_lo, exec_lo, s24
.LBB189_13:                             ;   in Loop: Header=BB189_9 Depth=1
	s_delay_alu instid0(SALU_CYCLE_1)
	s_or_b32 exec_lo, exec_lo, s17
	ds_bpermute_b32 v4, v10, v13
	s_wait_dscnt 0x0
	v_add_f32_e32 v4, v13, v4
	ds_bpermute_b32 v5, v11, v4
	s_wait_dscnt 0x0
	v_add_f32_e32 v4, v4, v5
	ds_bpermute_b32 v5, v12, v4
	s_and_saveexec_b32 s17, s0
	s_cbranch_execz .LBB189_8
; %bb.14:                               ;   in Loop: Header=BB189_9 Depth=1
	s_wait_dscnt 0x0
	v_add_f32_e32 v6, v4, v5
	v_lshl_add_u64 v[4:5], v[2:3], 2, s[18:19]
	s_and_not1_b32 vcc_lo, exec_lo, s1
	s_cbranch_vccnz .LBB189_7
; %bb.15:                               ;   in Loop: Header=BB189_9 Depth=1
	global_load_b32 v7, v[4:5], off
	s_wait_loadcnt 0x0
	v_fmac_f32_e32 v6, s16, v7
	s_branch .LBB189_7
.LBB189_16:
	s_endpgm
	.section	.rodata,"a",@progbits
	.p2align	6, 0x0
	.amdhsa_kernel _ZN9rocsparseL21csrmvn_general_kernelILj256ELj8EllaaffEEvbT2_NS_24const_host_device_scalarIT6_EEPKT1_S7_PKS1_PKT3_PKT4_S4_PT5_21rocsparse_index_base_b
		.amdhsa_group_segment_fixed_size 0
		.amdhsa_private_segment_fixed_size 0
		.amdhsa_kernarg_size 344
		.amdhsa_user_sgpr_count 2
		.amdhsa_user_sgpr_dispatch_ptr 0
		.amdhsa_user_sgpr_queue_ptr 0
		.amdhsa_user_sgpr_kernarg_segment_ptr 1
		.amdhsa_user_sgpr_dispatch_id 0
		.amdhsa_user_sgpr_kernarg_preload_length 0
		.amdhsa_user_sgpr_kernarg_preload_offset 0
		.amdhsa_user_sgpr_private_segment_size 0
		.amdhsa_wavefront_size32 1
		.amdhsa_uses_dynamic_stack 0
		.amdhsa_enable_private_segment 0
		.amdhsa_system_sgpr_workgroup_id_x 1
		.amdhsa_system_sgpr_workgroup_id_y 0
		.amdhsa_system_sgpr_workgroup_id_z 0
		.amdhsa_system_sgpr_workgroup_info 0
		.amdhsa_system_vgpr_workitem_id 0
		.amdhsa_next_free_vgpr 20
		.amdhsa_next_free_sgpr 26
		.amdhsa_named_barrier_count 0
		.amdhsa_reserve_vcc 1
		.amdhsa_float_round_mode_32 0
		.amdhsa_float_round_mode_16_64 0
		.amdhsa_float_denorm_mode_32 3
		.amdhsa_float_denorm_mode_16_64 3
		.amdhsa_fp16_overflow 0
		.amdhsa_memory_ordered 1
		.amdhsa_forward_progress 1
		.amdhsa_inst_pref_size 6
		.amdhsa_round_robin_scheduling 0
		.amdhsa_exception_fp_ieee_invalid_op 0
		.amdhsa_exception_fp_denorm_src 0
		.amdhsa_exception_fp_ieee_div_zero 0
		.amdhsa_exception_fp_ieee_overflow 0
		.amdhsa_exception_fp_ieee_underflow 0
		.amdhsa_exception_fp_ieee_inexact 0
		.amdhsa_exception_int_div_zero 0
	.end_amdhsa_kernel
	.section	.text._ZN9rocsparseL21csrmvn_general_kernelILj256ELj8EllaaffEEvbT2_NS_24const_host_device_scalarIT6_EEPKT1_S7_PKS1_PKT3_PKT4_S4_PT5_21rocsparse_index_base_b,"axG",@progbits,_ZN9rocsparseL21csrmvn_general_kernelILj256ELj8EllaaffEEvbT2_NS_24const_host_device_scalarIT6_EEPKT1_S7_PKS1_PKT3_PKT4_S4_PT5_21rocsparse_index_base_b,comdat
.Lfunc_end189:
	.size	_ZN9rocsparseL21csrmvn_general_kernelILj256ELj8EllaaffEEvbT2_NS_24const_host_device_scalarIT6_EEPKT1_S7_PKS1_PKT3_PKT4_S4_PT5_21rocsparse_index_base_b, .Lfunc_end189-_ZN9rocsparseL21csrmvn_general_kernelILj256ELj8EllaaffEEvbT2_NS_24const_host_device_scalarIT6_EEPKT1_S7_PKS1_PKT3_PKT4_S4_PT5_21rocsparse_index_base_b
                                        ; -- End function
	.set _ZN9rocsparseL21csrmvn_general_kernelILj256ELj8EllaaffEEvbT2_NS_24const_host_device_scalarIT6_EEPKT1_S7_PKS1_PKT3_PKT4_S4_PT5_21rocsparse_index_base_b.num_vgpr, 20
	.set _ZN9rocsparseL21csrmvn_general_kernelILj256ELj8EllaaffEEvbT2_NS_24const_host_device_scalarIT6_EEPKT1_S7_PKS1_PKT3_PKT4_S4_PT5_21rocsparse_index_base_b.num_agpr, 0
	.set _ZN9rocsparseL21csrmvn_general_kernelILj256ELj8EllaaffEEvbT2_NS_24const_host_device_scalarIT6_EEPKT1_S7_PKS1_PKT3_PKT4_S4_PT5_21rocsparse_index_base_b.numbered_sgpr, 26
	.set _ZN9rocsparseL21csrmvn_general_kernelILj256ELj8EllaaffEEvbT2_NS_24const_host_device_scalarIT6_EEPKT1_S7_PKS1_PKT3_PKT4_S4_PT5_21rocsparse_index_base_b.num_named_barrier, 0
	.set _ZN9rocsparseL21csrmvn_general_kernelILj256ELj8EllaaffEEvbT2_NS_24const_host_device_scalarIT6_EEPKT1_S7_PKS1_PKT3_PKT4_S4_PT5_21rocsparse_index_base_b.private_seg_size, 0
	.set _ZN9rocsparseL21csrmvn_general_kernelILj256ELj8EllaaffEEvbT2_NS_24const_host_device_scalarIT6_EEPKT1_S7_PKS1_PKT3_PKT4_S4_PT5_21rocsparse_index_base_b.uses_vcc, 1
	.set _ZN9rocsparseL21csrmvn_general_kernelILj256ELj8EllaaffEEvbT2_NS_24const_host_device_scalarIT6_EEPKT1_S7_PKS1_PKT3_PKT4_S4_PT5_21rocsparse_index_base_b.uses_flat_scratch, 0
	.set _ZN9rocsparseL21csrmvn_general_kernelILj256ELj8EllaaffEEvbT2_NS_24const_host_device_scalarIT6_EEPKT1_S7_PKS1_PKT3_PKT4_S4_PT5_21rocsparse_index_base_b.has_dyn_sized_stack, 0
	.set _ZN9rocsparseL21csrmvn_general_kernelILj256ELj8EllaaffEEvbT2_NS_24const_host_device_scalarIT6_EEPKT1_S7_PKS1_PKT3_PKT4_S4_PT5_21rocsparse_index_base_b.has_recursion, 0
	.set _ZN9rocsparseL21csrmvn_general_kernelILj256ELj8EllaaffEEvbT2_NS_24const_host_device_scalarIT6_EEPKT1_S7_PKS1_PKT3_PKT4_S4_PT5_21rocsparse_index_base_b.has_indirect_call, 0
	.section	.AMDGPU.csdata,"",@progbits
; Kernel info:
; codeLenInByte = 756
; TotalNumSgprs: 28
; NumVgprs: 20
; ScratchSize: 0
; MemoryBound: 0
; FloatMode: 240
; IeeeMode: 1
; LDSByteSize: 0 bytes/workgroup (compile time only)
; SGPRBlocks: 0
; VGPRBlocks: 1
; NumSGPRsForWavesPerEU: 28
; NumVGPRsForWavesPerEU: 20
; NamedBarCnt: 0
; Occupancy: 16
; WaveLimiterHint : 1
; COMPUTE_PGM_RSRC2:SCRATCH_EN: 0
; COMPUTE_PGM_RSRC2:USER_SGPR: 2
; COMPUTE_PGM_RSRC2:TRAP_HANDLER: 0
; COMPUTE_PGM_RSRC2:TGID_X_EN: 1
; COMPUTE_PGM_RSRC2:TGID_Y_EN: 0
; COMPUTE_PGM_RSRC2:TGID_Z_EN: 0
; COMPUTE_PGM_RSRC2:TIDIG_COMP_CNT: 0
	.section	.text._ZN9rocsparseL21csrmvn_general_kernelILj256ELj16EllaaffEEvbT2_NS_24const_host_device_scalarIT6_EEPKT1_S7_PKS1_PKT3_PKT4_S4_PT5_21rocsparse_index_base_b,"axG",@progbits,_ZN9rocsparseL21csrmvn_general_kernelILj256ELj16EllaaffEEvbT2_NS_24const_host_device_scalarIT6_EEPKT1_S7_PKS1_PKT3_PKT4_S4_PT5_21rocsparse_index_base_b,comdat
	.globl	_ZN9rocsparseL21csrmvn_general_kernelILj256ELj16EllaaffEEvbT2_NS_24const_host_device_scalarIT6_EEPKT1_S7_PKS1_PKT3_PKT4_S4_PT5_21rocsparse_index_base_b ; -- Begin function _ZN9rocsparseL21csrmvn_general_kernelILj256ELj16EllaaffEEvbT2_NS_24const_host_device_scalarIT6_EEPKT1_S7_PKS1_PKT3_PKT4_S4_PT5_21rocsparse_index_base_b
	.p2align	8
	.type	_ZN9rocsparseL21csrmvn_general_kernelILj256ELj16EllaaffEEvbT2_NS_24const_host_device_scalarIT6_EEPKT1_S7_PKS1_PKT3_PKT4_S4_PT5_21rocsparse_index_base_b,@function
_ZN9rocsparseL21csrmvn_general_kernelILj256ELj16EllaaffEEvbT2_NS_24const_host_device_scalarIT6_EEPKT1_S7_PKS1_PKT3_PKT4_S4_PT5_21rocsparse_index_base_b: ; @_ZN9rocsparseL21csrmvn_general_kernelILj256ELj16EllaaffEEvbT2_NS_24const_host_device_scalarIT6_EEPKT1_S7_PKS1_PKT3_PKT4_S4_PT5_21rocsparse_index_base_b
; %bb.0:
	s_clause 0x2
	s_load_b64 s[2:3], s[0:1], 0x50
	s_load_b64 s[16:17], s[0:1], 0x40
	s_load_b256 s[4:11], s[0:1], 0x8
	s_wait_kmcnt 0x0
	s_bitcmp1_b32 s3, 0
	s_cselect_b32 s3, -1, 0
	s_delay_alu instid0(SALU_CYCLE_1)
	s_and_b32 vcc_lo, exec_lo, s3
	s_xor_b32 s3, s3, -1
	s_cbranch_vccnz .LBB190_2
; %bb.1:
	s_load_b32 s6, s[6:7], 0x0
.LBB190_2:
	s_and_not1_b32 vcc_lo, exec_lo, s3
	s_cbranch_vccnz .LBB190_4
; %bb.3:
	s_load_b32 s16, s[16:17], 0x0
.LBB190_4:
	s_wait_kmcnt 0x0
	s_cmp_neq_f32 s6, 0
	s_cselect_b32 s3, -1, 0
	s_cmp_neq_f32 s16, 1.0
	s_cselect_b32 s7, -1, 0
	s_delay_alu instid0(SALU_CYCLE_1) | instskip(NEXT) | instid1(SALU_CYCLE_1)
	s_or_b32 s3, s3, s7
	s_and_not1_b32 vcc_lo, exec_lo, s3
	s_cbranch_vccnz .LBB190_16
; %bb.5:
	s_bfe_u32 s3, ttmp6, 0x4000c
	s_and_b32 s7, ttmp6, 15
	s_add_co_i32 s3, s3, 1
	s_getreg_b32 s12, hwreg(HW_REG_IB_STS2, 6, 4)
	s_mul_i32 s3, ttmp9, s3
	v_mov_b32_e32 v3, 0
	s_add_co_i32 s7, s7, s3
	s_cmp_eq_u32 s12, 0
	s_cselect_b32 s3, ttmp9, s7
	s_delay_alu instid0(SALU_CYCLE_1) | instskip(SKIP_1) | instid1(VALU_DEP_1)
	v_lshl_or_b32 v1, s3, 8, v0
	s_mov_b32 s3, exec_lo
	v_lshrrev_b32_e32 v2, 4, v1
	s_delay_alu instid0(VALU_DEP_1)
	v_cmpx_gt_i64_e64 s[4:5], v[2:3]
	s_cbranch_execz .LBB190_16
; %bb.6:
	v_dual_mov_b32 v5, v3 :: v_dual_bitop2_b32 v4, 15, v0 bitop3:0x40
	v_mbcnt_lo_u32_b32 v6, -1, 0
	s_mov_b32 s21, 0
	s_clause 0x3
	s_load_b32 s7, s[0:1], 0x58
	s_load_b64 s[18:19], s[0:1], 0x48
	s_load_b128 s[12:15], s[0:1], 0x28
	s_load_b64 s[22:23], s[0:1], 0x38
	s_mov_b32 s3, s21
	s_wait_xcnt 0x0
	s_ashr_i32 s1, s2, 31
	v_sub_nc_u64_e64 v[0:1], v[4:5], s[2:3]
	v_xor_b32_e32 v5, 4, v6
	v_xor_b32_e32 v7, 8, v6
	;; [unrolled: 1-line block ×4, first 2 shown]
	s_mov_b32 s0, s2
	s_delay_alu instid0(VALU_DEP_3)
	v_cmp_gt_i32_e32 vcc_lo, 32, v7
	s_sub_nc_u64 s[24:25], 0, s[0:1]
	v_cmp_eq_u32_e64 s0, 15, v4
	v_cndmask_b32_e32 v7, v6, v7, vcc_lo
	v_cmp_gt_i32_e32 vcc_lo, 32, v5
	s_wait_kmcnt 0x0
	s_lshl_b32 s20, s7, 4
	s_cmp_neq_f32 s16, 0
	s_mov_b32 s7, s21
	s_add_nc_u64 s[22:23], s[22:23], s[24:25]
	v_cndmask_b32_e32 v5, v6, v5, vcc_lo
	v_cmp_gt_i32_e32 vcc_lo, 32, v8
	v_lshlrev_b32_e32 v10, 2, v7
	s_cselect_b32 s1, -1, 0
	s_delay_alu instid0(VALU_DEP_3) | instskip(SKIP_1) | instid1(VALU_DEP_2)
	v_dual_cndmask_b32 v8, v6, v8 :: v_dual_lshlrev_b32 v11, 2, v5
	v_cmp_gt_i32_e32 vcc_lo, 32, v9
	v_dual_cndmask_b32 v6, v6, v9, vcc_lo :: v_dual_lshlrev_b32 v12, 2, v8
	s_delay_alu instid0(VALU_DEP_1)
	v_lshlrev_b32_e32 v13, 2, v6
	s_branch .LBB190_9
.LBB190_7:                              ;   in Loop: Header=BB190_9 Depth=1
	global_store_b32 v[4:5], v6, off
.LBB190_8:                              ;   in Loop: Header=BB190_9 Depth=1
	s_wait_xcnt 0x0
	s_or_b32 exec_lo, exec_lo, s17
	v_add_nc_u64_e32 v[2:3], s[20:21], v[2:3]
	s_delay_alu instid0(VALU_DEP_1) | instskip(SKIP_1) | instid1(SALU_CYCLE_1)
	v_cmp_le_i64_e32 vcc_lo, s[4:5], v[2:3]
	s_or_b32 s7, vcc_lo, s7
	s_and_not1_b32 exec_lo, exec_lo, s7
	s_cbranch_execz .LBB190_16
.LBB190_9:                              ; =>This Loop Header: Depth=1
                                        ;     Child Loop BB190_11 Depth 2
	s_wait_dscnt 0x0
	v_lshlrev_b64_e32 v[4:5], 3, v[2:3]
	s_mov_b32 s17, exec_lo
	s_delay_alu instid0(VALU_DEP_1)
	v_add_nc_u64_e32 v[6:7], s[10:11], v[4:5]
	v_add_nc_u64_e32 v[4:5], s[8:9], v[4:5]
	global_load_b64 v[8:9], v[6:7], off
	global_load_b64 v[14:15], v[4:5], off
	s_wait_loadcnt 0x1
	s_wait_xcnt 0x0
	v_sub_nc_u64_e64 v[4:5], v[8:9], s[2:3]
	s_wait_loadcnt 0x0
	v_add_nc_u64_e32 v[6:7], v[14:15], v[0:1]
	v_mov_b32_e32 v14, 0
	s_delay_alu instid0(VALU_DEP_2)
	v_cmpx_lt_i64_e64 v[6:7], v[4:5]
	s_cbranch_execz .LBB190_13
; %bb.10:                               ;   in Loop: Header=BB190_9 Depth=1
	v_lshl_add_u64 v[8:9], v[6:7], 3, s[12:13]
	v_mov_b32_e32 v14, 0
	s_mov_b32 s24, 0
.LBB190_11:                             ;   Parent Loop BB190_9 Depth=1
                                        ; =>  This Inner Loop Header: Depth=2
	global_load_b64 v[16:17], v[8:9], off
	v_add_nc_u64_e32 v[18:19], s[14:15], v[6:7]
	v_add_nc_u64_e32 v[6:7], 16, v[6:7]
	s_wait_xcnt 0x0
	v_add_nc_u64_e32 v[8:9], 0x80, v[8:9]
	s_delay_alu instid0(VALU_DEP_2)
	v_cmp_ge_i64_e32 vcc_lo, v[6:7], v[4:5]
	s_or_b32 s24, vcc_lo, s24
	s_wait_loadcnt 0x0
	v_add_nc_u64_e32 v[16:17], s[22:23], v[16:17]
	global_load_i8 v15, v[18:19], off
	global_load_i8 v20, v[16:17], off
	s_wait_loadcnt 0x1
	v_cvt_f32_i32_e32 v15, v15
	s_wait_loadcnt 0x0
	s_wait_xcnt 0x0
	v_cvt_f32_i32_e32 v16, v20
	s_delay_alu instid0(VALU_DEP_2) | instskip(NEXT) | instid1(VALU_DEP_1)
	v_mul_f32_e32 v15, s6, v15
	v_fmac_f32_e32 v14, v15, v16
	s_and_not1_b32 exec_lo, exec_lo, s24
	s_cbranch_execnz .LBB190_11
; %bb.12:                               ;   in Loop: Header=BB190_9 Depth=1
	s_or_b32 exec_lo, exec_lo, s24
.LBB190_13:                             ;   in Loop: Header=BB190_9 Depth=1
	s_delay_alu instid0(SALU_CYCLE_1)
	s_or_b32 exec_lo, exec_lo, s17
	ds_bpermute_b32 v4, v10, v14
	s_wait_dscnt 0x0
	v_add_f32_e32 v4, v14, v4
	ds_bpermute_b32 v5, v11, v4
	s_wait_dscnt 0x0
	v_add_f32_e32 v4, v4, v5
	ds_bpermute_b32 v5, v12, v4
	s_wait_dscnt 0x0
	v_add_f32_e32 v4, v4, v5
	ds_bpermute_b32 v5, v13, v4
	s_and_saveexec_b32 s17, s0
	s_cbranch_execz .LBB190_8
; %bb.14:                               ;   in Loop: Header=BB190_9 Depth=1
	s_wait_dscnt 0x0
	v_add_f32_e32 v6, v4, v5
	v_lshl_add_u64 v[4:5], v[2:3], 2, s[18:19]
	s_and_not1_b32 vcc_lo, exec_lo, s1
	s_cbranch_vccnz .LBB190_7
; %bb.15:                               ;   in Loop: Header=BB190_9 Depth=1
	global_load_b32 v7, v[4:5], off
	s_wait_loadcnt 0x0
	v_fmac_f32_e32 v6, s16, v7
	s_branch .LBB190_7
.LBB190_16:
	s_endpgm
	.section	.rodata,"a",@progbits
	.p2align	6, 0x0
	.amdhsa_kernel _ZN9rocsparseL21csrmvn_general_kernelILj256ELj16EllaaffEEvbT2_NS_24const_host_device_scalarIT6_EEPKT1_S7_PKS1_PKT3_PKT4_S4_PT5_21rocsparse_index_base_b
		.amdhsa_group_segment_fixed_size 0
		.amdhsa_private_segment_fixed_size 0
		.amdhsa_kernarg_size 344
		.amdhsa_user_sgpr_count 2
		.amdhsa_user_sgpr_dispatch_ptr 0
		.amdhsa_user_sgpr_queue_ptr 0
		.amdhsa_user_sgpr_kernarg_segment_ptr 1
		.amdhsa_user_sgpr_dispatch_id 0
		.amdhsa_user_sgpr_kernarg_preload_length 0
		.amdhsa_user_sgpr_kernarg_preload_offset 0
		.amdhsa_user_sgpr_private_segment_size 0
		.amdhsa_wavefront_size32 1
		.amdhsa_uses_dynamic_stack 0
		.amdhsa_enable_private_segment 0
		.amdhsa_system_sgpr_workgroup_id_x 1
		.amdhsa_system_sgpr_workgroup_id_y 0
		.amdhsa_system_sgpr_workgroup_id_z 0
		.amdhsa_system_sgpr_workgroup_info 0
		.amdhsa_system_vgpr_workitem_id 0
		.amdhsa_next_free_vgpr 21
		.amdhsa_next_free_sgpr 26
		.amdhsa_named_barrier_count 0
		.amdhsa_reserve_vcc 1
		.amdhsa_float_round_mode_32 0
		.amdhsa_float_round_mode_16_64 0
		.amdhsa_float_denorm_mode_32 3
		.amdhsa_float_denorm_mode_16_64 3
		.amdhsa_fp16_overflow 0
		.amdhsa_memory_ordered 1
		.amdhsa_forward_progress 1
		.amdhsa_inst_pref_size 7
		.amdhsa_round_robin_scheduling 0
		.amdhsa_exception_fp_ieee_invalid_op 0
		.amdhsa_exception_fp_denorm_src 0
		.amdhsa_exception_fp_ieee_div_zero 0
		.amdhsa_exception_fp_ieee_overflow 0
		.amdhsa_exception_fp_ieee_underflow 0
		.amdhsa_exception_fp_ieee_inexact 0
		.amdhsa_exception_int_div_zero 0
	.end_amdhsa_kernel
	.section	.text._ZN9rocsparseL21csrmvn_general_kernelILj256ELj16EllaaffEEvbT2_NS_24const_host_device_scalarIT6_EEPKT1_S7_PKS1_PKT3_PKT4_S4_PT5_21rocsparse_index_base_b,"axG",@progbits,_ZN9rocsparseL21csrmvn_general_kernelILj256ELj16EllaaffEEvbT2_NS_24const_host_device_scalarIT6_EEPKT1_S7_PKS1_PKT3_PKT4_S4_PT5_21rocsparse_index_base_b,comdat
.Lfunc_end190:
	.size	_ZN9rocsparseL21csrmvn_general_kernelILj256ELj16EllaaffEEvbT2_NS_24const_host_device_scalarIT6_EEPKT1_S7_PKS1_PKT3_PKT4_S4_PT5_21rocsparse_index_base_b, .Lfunc_end190-_ZN9rocsparseL21csrmvn_general_kernelILj256ELj16EllaaffEEvbT2_NS_24const_host_device_scalarIT6_EEPKT1_S7_PKS1_PKT3_PKT4_S4_PT5_21rocsparse_index_base_b
                                        ; -- End function
	.set _ZN9rocsparseL21csrmvn_general_kernelILj256ELj16EllaaffEEvbT2_NS_24const_host_device_scalarIT6_EEPKT1_S7_PKS1_PKT3_PKT4_S4_PT5_21rocsparse_index_base_b.num_vgpr, 21
	.set _ZN9rocsparseL21csrmvn_general_kernelILj256ELj16EllaaffEEvbT2_NS_24const_host_device_scalarIT6_EEPKT1_S7_PKS1_PKT3_PKT4_S4_PT5_21rocsparse_index_base_b.num_agpr, 0
	.set _ZN9rocsparseL21csrmvn_general_kernelILj256ELj16EllaaffEEvbT2_NS_24const_host_device_scalarIT6_EEPKT1_S7_PKS1_PKT3_PKT4_S4_PT5_21rocsparse_index_base_b.numbered_sgpr, 26
	.set _ZN9rocsparseL21csrmvn_general_kernelILj256ELj16EllaaffEEvbT2_NS_24const_host_device_scalarIT6_EEPKT1_S7_PKS1_PKT3_PKT4_S4_PT5_21rocsparse_index_base_b.num_named_barrier, 0
	.set _ZN9rocsparseL21csrmvn_general_kernelILj256ELj16EllaaffEEvbT2_NS_24const_host_device_scalarIT6_EEPKT1_S7_PKS1_PKT3_PKT4_S4_PT5_21rocsparse_index_base_b.private_seg_size, 0
	.set _ZN9rocsparseL21csrmvn_general_kernelILj256ELj16EllaaffEEvbT2_NS_24const_host_device_scalarIT6_EEPKT1_S7_PKS1_PKT3_PKT4_S4_PT5_21rocsparse_index_base_b.uses_vcc, 1
	.set _ZN9rocsparseL21csrmvn_general_kernelILj256ELj16EllaaffEEvbT2_NS_24const_host_device_scalarIT6_EEPKT1_S7_PKS1_PKT3_PKT4_S4_PT5_21rocsparse_index_base_b.uses_flat_scratch, 0
	.set _ZN9rocsparseL21csrmvn_general_kernelILj256ELj16EllaaffEEvbT2_NS_24const_host_device_scalarIT6_EEPKT1_S7_PKS1_PKT3_PKT4_S4_PT5_21rocsparse_index_base_b.has_dyn_sized_stack, 0
	.set _ZN9rocsparseL21csrmvn_general_kernelILj256ELj16EllaaffEEvbT2_NS_24const_host_device_scalarIT6_EEPKT1_S7_PKS1_PKT3_PKT4_S4_PT5_21rocsparse_index_base_b.has_recursion, 0
	.set _ZN9rocsparseL21csrmvn_general_kernelILj256ELj16EllaaffEEvbT2_NS_24const_host_device_scalarIT6_EEPKT1_S7_PKS1_PKT3_PKT4_S4_PT5_21rocsparse_index_base_b.has_indirect_call, 0
	.section	.AMDGPU.csdata,"",@progbits
; Kernel info:
; codeLenInByte = 792
; TotalNumSgprs: 28
; NumVgprs: 21
; ScratchSize: 0
; MemoryBound: 0
; FloatMode: 240
; IeeeMode: 1
; LDSByteSize: 0 bytes/workgroup (compile time only)
; SGPRBlocks: 0
; VGPRBlocks: 1
; NumSGPRsForWavesPerEU: 28
; NumVGPRsForWavesPerEU: 21
; NamedBarCnt: 0
; Occupancy: 16
; WaveLimiterHint : 1
; COMPUTE_PGM_RSRC2:SCRATCH_EN: 0
; COMPUTE_PGM_RSRC2:USER_SGPR: 2
; COMPUTE_PGM_RSRC2:TRAP_HANDLER: 0
; COMPUTE_PGM_RSRC2:TGID_X_EN: 1
; COMPUTE_PGM_RSRC2:TGID_Y_EN: 0
; COMPUTE_PGM_RSRC2:TGID_Z_EN: 0
; COMPUTE_PGM_RSRC2:TIDIG_COMP_CNT: 0
	.section	.text._ZN9rocsparseL21csrmvn_general_kernelILj256ELj32EllaaffEEvbT2_NS_24const_host_device_scalarIT6_EEPKT1_S7_PKS1_PKT3_PKT4_S4_PT5_21rocsparse_index_base_b,"axG",@progbits,_ZN9rocsparseL21csrmvn_general_kernelILj256ELj32EllaaffEEvbT2_NS_24const_host_device_scalarIT6_EEPKT1_S7_PKS1_PKT3_PKT4_S4_PT5_21rocsparse_index_base_b,comdat
	.globl	_ZN9rocsparseL21csrmvn_general_kernelILj256ELj32EllaaffEEvbT2_NS_24const_host_device_scalarIT6_EEPKT1_S7_PKS1_PKT3_PKT4_S4_PT5_21rocsparse_index_base_b ; -- Begin function _ZN9rocsparseL21csrmvn_general_kernelILj256ELj32EllaaffEEvbT2_NS_24const_host_device_scalarIT6_EEPKT1_S7_PKS1_PKT3_PKT4_S4_PT5_21rocsparse_index_base_b
	.p2align	8
	.type	_ZN9rocsparseL21csrmvn_general_kernelILj256ELj32EllaaffEEvbT2_NS_24const_host_device_scalarIT6_EEPKT1_S7_PKS1_PKT3_PKT4_S4_PT5_21rocsparse_index_base_b,@function
_ZN9rocsparseL21csrmvn_general_kernelILj256ELj32EllaaffEEvbT2_NS_24const_host_device_scalarIT6_EEPKT1_S7_PKS1_PKT3_PKT4_S4_PT5_21rocsparse_index_base_b: ; @_ZN9rocsparseL21csrmvn_general_kernelILj256ELj32EllaaffEEvbT2_NS_24const_host_device_scalarIT6_EEPKT1_S7_PKS1_PKT3_PKT4_S4_PT5_21rocsparse_index_base_b
; %bb.0:
	s_clause 0x2
	s_load_b64 s[2:3], s[0:1], 0x50
	s_load_b64 s[16:17], s[0:1], 0x40
	s_load_b256 s[4:11], s[0:1], 0x8
	s_wait_kmcnt 0x0
	s_bitcmp1_b32 s3, 0
	s_cselect_b32 s3, -1, 0
	s_delay_alu instid0(SALU_CYCLE_1)
	s_and_b32 vcc_lo, exec_lo, s3
	s_xor_b32 s3, s3, -1
	s_cbranch_vccnz .LBB191_2
; %bb.1:
	s_load_b32 s6, s[6:7], 0x0
.LBB191_2:
	s_and_not1_b32 vcc_lo, exec_lo, s3
	s_cbranch_vccnz .LBB191_4
; %bb.3:
	s_load_b32 s16, s[16:17], 0x0
.LBB191_4:
	s_wait_kmcnt 0x0
	s_cmp_neq_f32 s6, 0
	s_cselect_b32 s3, -1, 0
	s_cmp_neq_f32 s16, 1.0
	s_cselect_b32 s7, -1, 0
	s_delay_alu instid0(SALU_CYCLE_1) | instskip(NEXT) | instid1(SALU_CYCLE_1)
	s_or_b32 s3, s3, s7
	s_and_not1_b32 vcc_lo, exec_lo, s3
	s_cbranch_vccnz .LBB191_16
; %bb.5:
	s_bfe_u32 s3, ttmp6, 0x4000c
	s_and_b32 s7, ttmp6, 15
	s_add_co_i32 s3, s3, 1
	s_getreg_b32 s12, hwreg(HW_REG_IB_STS2, 6, 4)
	s_mul_i32 s3, ttmp9, s3
	v_mov_b32_e32 v3, 0
	s_add_co_i32 s7, s7, s3
	s_cmp_eq_u32 s12, 0
	s_cselect_b32 s3, ttmp9, s7
	s_delay_alu instid0(SALU_CYCLE_1) | instskip(SKIP_1) | instid1(VALU_DEP_1)
	v_lshl_or_b32 v1, s3, 8, v0
	s_mov_b32 s3, exec_lo
	v_lshrrev_b32_e32 v2, 5, v1
	s_delay_alu instid0(VALU_DEP_1)
	v_cmpx_gt_i64_e64 s[4:5], v[2:3]
	s_cbranch_execz .LBB191_16
; %bb.6:
	v_mbcnt_lo_u32_b32 v6, -1, 0
	v_dual_mov_b32 v5, v3 :: v_dual_bitop2_b32 v4, 31, v0 bitop3:0x40
	s_mov_b32 s21, 0
	s_clause 0x1
	s_load_b32 s7, s[0:1], 0x58
	s_load_b64 s[18:19], s[0:1], 0x48
	v_xor_b32_e32 v0, 16, v6
	s_mov_b32 s3, s21
	s_clause 0x1
	s_load_b128 s[12:15], s[0:1], 0x28
	s_load_b64 s[22:23], s[0:1], 0x38
	s_wait_xcnt 0x0
	s_ashr_i32 s1, s2, 31
	s_mov_b32 s0, s2
	v_cmp_gt_i32_e32 vcc_lo, 32, v0
	s_sub_nc_u64 s[24:25], 0, s[0:1]
	v_cmp_eq_u32_e64 s0, 31, v4
	v_cndmask_b32_e32 v7, v6, v0, vcc_lo
	v_sub_nc_u64_e64 v[0:1], v[4:5], s[2:3]
	s_delay_alu instid0(VALU_DEP_2) | instskip(NEXT) | instid1(VALU_DEP_1)
	v_dual_lshlrev_b32 v10, 2, v7 :: v_dual_bitop2_b32 v5, 8, v6 bitop3:0x14
	v_cmp_gt_i32_e32 vcc_lo, 32, v5
	v_xor_b32_e32 v8, 4, v6
	s_wait_kmcnt 0x0
	s_lshl_b32 s20, s7, 3
	s_cmp_neq_f32 s16, 0
	s_mov_b32 s7, s21
	v_cndmask_b32_e32 v5, v6, v5, vcc_lo
	v_cmp_gt_i32_e32 vcc_lo, 32, v8
	v_xor_b32_e32 v9, 2, v6
	s_cselect_b32 s1, -1, 0
	s_add_nc_u64 s[22:23], s[22:23], s[24:25]
	v_dual_cndmask_b32 v8, v6, v8 :: v_dual_lshlrev_b32 v11, 2, v5
	s_delay_alu instid0(VALU_DEP_2) | instskip(SKIP_1) | instid1(VALU_DEP_1)
	v_cmp_gt_i32_e32 vcc_lo, 32, v9
	v_dual_cndmask_b32 v9, v6, v9, vcc_lo :: v_dual_bitop2_b32 v7, 1, v6 bitop3:0x14
	v_cmp_gt_i32_e32 vcc_lo, 32, v7
	s_delay_alu instid0(VALU_DEP_2) | instskip(SKIP_1) | instid1(VALU_DEP_1)
	v_dual_lshlrev_b32 v12, 2, v8 :: v_dual_lshlrev_b32 v13, 2, v9
	v_cndmask_b32_e32 v6, v6, v7, vcc_lo
	v_lshlrev_b32_e32 v14, 2, v6
	s_branch .LBB191_9
.LBB191_7:                              ;   in Loop: Header=BB191_9 Depth=1
	global_store_b32 v[4:5], v6, off
.LBB191_8:                              ;   in Loop: Header=BB191_9 Depth=1
	s_wait_xcnt 0x0
	s_or_b32 exec_lo, exec_lo, s17
	v_add_nc_u64_e32 v[2:3], s[20:21], v[2:3]
	s_delay_alu instid0(VALU_DEP_1) | instskip(SKIP_1) | instid1(SALU_CYCLE_1)
	v_cmp_le_i64_e32 vcc_lo, s[4:5], v[2:3]
	s_or_b32 s7, vcc_lo, s7
	s_and_not1_b32 exec_lo, exec_lo, s7
	s_cbranch_execz .LBB191_16
.LBB191_9:                              ; =>This Loop Header: Depth=1
                                        ;     Child Loop BB191_11 Depth 2
	s_wait_dscnt 0x0
	v_lshlrev_b64_e32 v[4:5], 3, v[2:3]
	v_mov_b32_e32 v15, 0
	s_mov_b32 s17, exec_lo
	s_delay_alu instid0(VALU_DEP_2)
	v_add_nc_u64_e32 v[6:7], s[10:11], v[4:5]
	v_add_nc_u64_e32 v[4:5], s[8:9], v[4:5]
	global_load_b64 v[8:9], v[6:7], off
	global_load_b64 v[16:17], v[4:5], off
	s_wait_loadcnt 0x1
	s_wait_xcnt 0x0
	v_sub_nc_u64_e64 v[4:5], v[8:9], s[2:3]
	s_wait_loadcnt 0x0
	v_add_nc_u64_e32 v[6:7], v[16:17], v[0:1]
	s_delay_alu instid0(VALU_DEP_1)
	v_cmpx_lt_i64_e64 v[6:7], v[4:5]
	s_cbranch_execz .LBB191_13
; %bb.10:                               ;   in Loop: Header=BB191_9 Depth=1
	v_lshl_add_u64 v[8:9], v[6:7], 3, s[12:13]
	v_mov_b32_e32 v15, 0
	s_mov_b32 s24, 0
.LBB191_11:                             ;   Parent Loop BB191_9 Depth=1
                                        ; =>  This Inner Loop Header: Depth=2
	global_load_b64 v[16:17], v[8:9], off
	v_add_nc_u64_e32 v[18:19], s[14:15], v[6:7]
	v_add_nc_u64_e32 v[6:7], 32, v[6:7]
	s_wait_xcnt 0x0
	v_add_nc_u64_e32 v[8:9], 0x100, v[8:9]
	s_delay_alu instid0(VALU_DEP_2)
	v_cmp_ge_i64_e32 vcc_lo, v[6:7], v[4:5]
	s_or_b32 s24, vcc_lo, s24
	s_wait_loadcnt 0x0
	v_add_nc_u64_e32 v[16:17], s[22:23], v[16:17]
	global_load_i8 v20, v[18:19], off
	global_load_i8 v21, v[16:17], off
	s_wait_loadcnt 0x1
	s_wait_xcnt 0x0
	v_cvt_f32_i32_e32 v16, v20
	s_wait_loadcnt 0x0
	v_cvt_f32_i32_e32 v17, v21
	s_delay_alu instid0(VALU_DEP_2) | instskip(NEXT) | instid1(VALU_DEP_1)
	v_mul_f32_e32 v16, s6, v16
	v_fmac_f32_e32 v15, v16, v17
	s_and_not1_b32 exec_lo, exec_lo, s24
	s_cbranch_execnz .LBB191_11
; %bb.12:                               ;   in Loop: Header=BB191_9 Depth=1
	s_or_b32 exec_lo, exec_lo, s24
.LBB191_13:                             ;   in Loop: Header=BB191_9 Depth=1
	s_delay_alu instid0(SALU_CYCLE_1)
	s_or_b32 exec_lo, exec_lo, s17
	ds_bpermute_b32 v4, v10, v15
	s_wait_dscnt 0x0
	v_add_f32_e32 v4, v15, v4
	ds_bpermute_b32 v5, v11, v4
	s_wait_dscnt 0x0
	v_add_f32_e32 v4, v4, v5
	;; [unrolled: 3-line block ×4, first 2 shown]
	ds_bpermute_b32 v5, v14, v4
	s_and_saveexec_b32 s17, s0
	s_cbranch_execz .LBB191_8
; %bb.14:                               ;   in Loop: Header=BB191_9 Depth=1
	s_wait_dscnt 0x0
	v_add_f32_e32 v6, v4, v5
	v_lshl_add_u64 v[4:5], v[2:3], 2, s[18:19]
	s_and_not1_b32 vcc_lo, exec_lo, s1
	s_cbranch_vccnz .LBB191_7
; %bb.15:                               ;   in Loop: Header=BB191_9 Depth=1
	global_load_b32 v7, v[4:5], off
	s_wait_loadcnt 0x0
	v_fmac_f32_e32 v6, s16, v7
	s_branch .LBB191_7
.LBB191_16:
	s_endpgm
	.section	.rodata,"a",@progbits
	.p2align	6, 0x0
	.amdhsa_kernel _ZN9rocsparseL21csrmvn_general_kernelILj256ELj32EllaaffEEvbT2_NS_24const_host_device_scalarIT6_EEPKT1_S7_PKS1_PKT3_PKT4_S4_PT5_21rocsparse_index_base_b
		.amdhsa_group_segment_fixed_size 0
		.amdhsa_private_segment_fixed_size 0
		.amdhsa_kernarg_size 344
		.amdhsa_user_sgpr_count 2
		.amdhsa_user_sgpr_dispatch_ptr 0
		.amdhsa_user_sgpr_queue_ptr 0
		.amdhsa_user_sgpr_kernarg_segment_ptr 1
		.amdhsa_user_sgpr_dispatch_id 0
		.amdhsa_user_sgpr_kernarg_preload_length 0
		.amdhsa_user_sgpr_kernarg_preload_offset 0
		.amdhsa_user_sgpr_private_segment_size 0
		.amdhsa_wavefront_size32 1
		.amdhsa_uses_dynamic_stack 0
		.amdhsa_enable_private_segment 0
		.amdhsa_system_sgpr_workgroup_id_x 1
		.amdhsa_system_sgpr_workgroup_id_y 0
		.amdhsa_system_sgpr_workgroup_id_z 0
		.amdhsa_system_sgpr_workgroup_info 0
		.amdhsa_system_vgpr_workitem_id 0
		.amdhsa_next_free_vgpr 22
		.amdhsa_next_free_sgpr 26
		.amdhsa_named_barrier_count 0
		.amdhsa_reserve_vcc 1
		.amdhsa_float_round_mode_32 0
		.amdhsa_float_round_mode_16_64 0
		.amdhsa_float_denorm_mode_32 3
		.amdhsa_float_denorm_mode_16_64 3
		.amdhsa_fp16_overflow 0
		.amdhsa_memory_ordered 1
		.amdhsa_forward_progress 1
		.amdhsa_inst_pref_size 7
		.amdhsa_round_robin_scheduling 0
		.amdhsa_exception_fp_ieee_invalid_op 0
		.amdhsa_exception_fp_denorm_src 0
		.amdhsa_exception_fp_ieee_div_zero 0
		.amdhsa_exception_fp_ieee_overflow 0
		.amdhsa_exception_fp_ieee_underflow 0
		.amdhsa_exception_fp_ieee_inexact 0
		.amdhsa_exception_int_div_zero 0
	.end_amdhsa_kernel
	.section	.text._ZN9rocsparseL21csrmvn_general_kernelILj256ELj32EllaaffEEvbT2_NS_24const_host_device_scalarIT6_EEPKT1_S7_PKS1_PKT3_PKT4_S4_PT5_21rocsparse_index_base_b,"axG",@progbits,_ZN9rocsparseL21csrmvn_general_kernelILj256ELj32EllaaffEEvbT2_NS_24const_host_device_scalarIT6_EEPKT1_S7_PKS1_PKT3_PKT4_S4_PT5_21rocsparse_index_base_b,comdat
.Lfunc_end191:
	.size	_ZN9rocsparseL21csrmvn_general_kernelILj256ELj32EllaaffEEvbT2_NS_24const_host_device_scalarIT6_EEPKT1_S7_PKS1_PKT3_PKT4_S4_PT5_21rocsparse_index_base_b, .Lfunc_end191-_ZN9rocsparseL21csrmvn_general_kernelILj256ELj32EllaaffEEvbT2_NS_24const_host_device_scalarIT6_EEPKT1_S7_PKS1_PKT3_PKT4_S4_PT5_21rocsparse_index_base_b
                                        ; -- End function
	.set _ZN9rocsparseL21csrmvn_general_kernelILj256ELj32EllaaffEEvbT2_NS_24const_host_device_scalarIT6_EEPKT1_S7_PKS1_PKT3_PKT4_S4_PT5_21rocsparse_index_base_b.num_vgpr, 22
	.set _ZN9rocsparseL21csrmvn_general_kernelILj256ELj32EllaaffEEvbT2_NS_24const_host_device_scalarIT6_EEPKT1_S7_PKS1_PKT3_PKT4_S4_PT5_21rocsparse_index_base_b.num_agpr, 0
	.set _ZN9rocsparseL21csrmvn_general_kernelILj256ELj32EllaaffEEvbT2_NS_24const_host_device_scalarIT6_EEPKT1_S7_PKS1_PKT3_PKT4_S4_PT5_21rocsparse_index_base_b.numbered_sgpr, 26
	.set _ZN9rocsparseL21csrmvn_general_kernelILj256ELj32EllaaffEEvbT2_NS_24const_host_device_scalarIT6_EEPKT1_S7_PKS1_PKT3_PKT4_S4_PT5_21rocsparse_index_base_b.num_named_barrier, 0
	.set _ZN9rocsparseL21csrmvn_general_kernelILj256ELj32EllaaffEEvbT2_NS_24const_host_device_scalarIT6_EEPKT1_S7_PKS1_PKT3_PKT4_S4_PT5_21rocsparse_index_base_b.private_seg_size, 0
	.set _ZN9rocsparseL21csrmvn_general_kernelILj256ELj32EllaaffEEvbT2_NS_24const_host_device_scalarIT6_EEPKT1_S7_PKS1_PKT3_PKT4_S4_PT5_21rocsparse_index_base_b.uses_vcc, 1
	.set _ZN9rocsparseL21csrmvn_general_kernelILj256ELj32EllaaffEEvbT2_NS_24const_host_device_scalarIT6_EEPKT1_S7_PKS1_PKT3_PKT4_S4_PT5_21rocsparse_index_base_b.uses_flat_scratch, 0
	.set _ZN9rocsparseL21csrmvn_general_kernelILj256ELj32EllaaffEEvbT2_NS_24const_host_device_scalarIT6_EEPKT1_S7_PKS1_PKT3_PKT4_S4_PT5_21rocsparse_index_base_b.has_dyn_sized_stack, 0
	.set _ZN9rocsparseL21csrmvn_general_kernelILj256ELj32EllaaffEEvbT2_NS_24const_host_device_scalarIT6_EEPKT1_S7_PKS1_PKT3_PKT4_S4_PT5_21rocsparse_index_base_b.has_recursion, 0
	.set _ZN9rocsparseL21csrmvn_general_kernelILj256ELj32EllaaffEEvbT2_NS_24const_host_device_scalarIT6_EEPKT1_S7_PKS1_PKT3_PKT4_S4_PT5_21rocsparse_index_base_b.has_indirect_call, 0
	.section	.AMDGPU.csdata,"",@progbits
; Kernel info:
; codeLenInByte = 836
; TotalNumSgprs: 28
; NumVgprs: 22
; ScratchSize: 0
; MemoryBound: 0
; FloatMode: 240
; IeeeMode: 1
; LDSByteSize: 0 bytes/workgroup (compile time only)
; SGPRBlocks: 0
; VGPRBlocks: 1
; NumSGPRsForWavesPerEU: 28
; NumVGPRsForWavesPerEU: 22
; NamedBarCnt: 0
; Occupancy: 16
; WaveLimiterHint : 1
; COMPUTE_PGM_RSRC2:SCRATCH_EN: 0
; COMPUTE_PGM_RSRC2:USER_SGPR: 2
; COMPUTE_PGM_RSRC2:TRAP_HANDLER: 0
; COMPUTE_PGM_RSRC2:TGID_X_EN: 1
; COMPUTE_PGM_RSRC2:TGID_Y_EN: 0
; COMPUTE_PGM_RSRC2:TGID_Z_EN: 0
; COMPUTE_PGM_RSRC2:TIDIG_COMP_CNT: 0
	.section	.text._ZN9rocsparseL21csrmvn_general_kernelILj256ELj64EllaaffEEvbT2_NS_24const_host_device_scalarIT6_EEPKT1_S7_PKS1_PKT3_PKT4_S4_PT5_21rocsparse_index_base_b,"axG",@progbits,_ZN9rocsparseL21csrmvn_general_kernelILj256ELj64EllaaffEEvbT2_NS_24const_host_device_scalarIT6_EEPKT1_S7_PKS1_PKT3_PKT4_S4_PT5_21rocsparse_index_base_b,comdat
	.globl	_ZN9rocsparseL21csrmvn_general_kernelILj256ELj64EllaaffEEvbT2_NS_24const_host_device_scalarIT6_EEPKT1_S7_PKS1_PKT3_PKT4_S4_PT5_21rocsparse_index_base_b ; -- Begin function _ZN9rocsparseL21csrmvn_general_kernelILj256ELj64EllaaffEEvbT2_NS_24const_host_device_scalarIT6_EEPKT1_S7_PKS1_PKT3_PKT4_S4_PT5_21rocsparse_index_base_b
	.p2align	8
	.type	_ZN9rocsparseL21csrmvn_general_kernelILj256ELj64EllaaffEEvbT2_NS_24const_host_device_scalarIT6_EEPKT1_S7_PKS1_PKT3_PKT4_S4_PT5_21rocsparse_index_base_b,@function
_ZN9rocsparseL21csrmvn_general_kernelILj256ELj64EllaaffEEvbT2_NS_24const_host_device_scalarIT6_EEPKT1_S7_PKS1_PKT3_PKT4_S4_PT5_21rocsparse_index_base_b: ; @_ZN9rocsparseL21csrmvn_general_kernelILj256ELj64EllaaffEEvbT2_NS_24const_host_device_scalarIT6_EEPKT1_S7_PKS1_PKT3_PKT4_S4_PT5_21rocsparse_index_base_b
; %bb.0:
	s_clause 0x2
	s_load_b64 s[2:3], s[0:1], 0x50
	s_load_b64 s[16:17], s[0:1], 0x40
	s_load_b256 s[4:11], s[0:1], 0x8
	s_wait_kmcnt 0x0
	s_bitcmp1_b32 s3, 0
	s_cselect_b32 s3, -1, 0
	s_delay_alu instid0(SALU_CYCLE_1)
	s_and_b32 vcc_lo, exec_lo, s3
	s_xor_b32 s3, s3, -1
	s_cbranch_vccnz .LBB192_2
; %bb.1:
	s_load_b32 s6, s[6:7], 0x0
.LBB192_2:
	s_and_not1_b32 vcc_lo, exec_lo, s3
	s_cbranch_vccnz .LBB192_4
; %bb.3:
	s_load_b32 s16, s[16:17], 0x0
.LBB192_4:
	s_wait_kmcnt 0x0
	s_cmp_neq_f32 s6, 0
	s_cselect_b32 s3, -1, 0
	s_cmp_neq_f32 s16, 1.0
	s_cselect_b32 s7, -1, 0
	s_delay_alu instid0(SALU_CYCLE_1) | instskip(NEXT) | instid1(SALU_CYCLE_1)
	s_or_b32 s3, s3, s7
	s_and_not1_b32 vcc_lo, exec_lo, s3
	s_cbranch_vccnz .LBB192_16
; %bb.5:
	s_bfe_u32 s3, ttmp6, 0x4000c
	s_and_b32 s7, ttmp6, 15
	s_add_co_i32 s3, s3, 1
	s_getreg_b32 s12, hwreg(HW_REG_IB_STS2, 6, 4)
	s_mul_i32 s3, ttmp9, s3
	v_mov_b32_e32 v3, 0
	s_add_co_i32 s7, s7, s3
	s_cmp_eq_u32 s12, 0
	s_cselect_b32 s3, ttmp9, s7
	s_delay_alu instid0(SALU_CYCLE_1) | instskip(SKIP_1) | instid1(VALU_DEP_1)
	v_lshl_or_b32 v1, s3, 8, v0
	s_mov_b32 s3, exec_lo
	v_lshrrev_b32_e32 v2, 6, v1
	s_delay_alu instid0(VALU_DEP_1)
	v_cmpx_gt_i64_e64 s[4:5], v[2:3]
	s_cbranch_execz .LBB192_16
; %bb.6:
	v_mbcnt_lo_u32_b32 v6, -1, 0
	v_dual_mov_b32 v5, v3 :: v_dual_bitop2_b32 v4, 63, v0 bitop3:0x40
	s_mov_b32 s21, 0
	s_clause 0x3
	s_load_b32 s7, s[0:1], 0x58
	s_load_b64 s[18:19], s[0:1], 0x48
	s_load_b128 s[12:15], s[0:1], 0x28
	s_load_b64 s[22:23], s[0:1], 0x38
	v_xor_b32_e32 v1, 16, v6
	v_or_b32_e32 v0, 32, v6
	s_mov_b32 s3, s21
	s_wait_xcnt 0x0
	s_ashr_i32 s1, s2, 31
	s_mov_b32 s0, s2
	v_cmp_gt_i32_e32 vcc_lo, 32, v0
	s_sub_nc_u64 s[24:25], 0, s[0:1]
	v_cmp_eq_u32_e64 s0, 63, v4
	v_cndmask_b32_e32 v7, v6, v0, vcc_lo
	v_cmp_gt_i32_e32 vcc_lo, 32, v1
	s_wait_kmcnt 0x0
	s_lshl_b32 s20, s7, 2
	v_cndmask_b32_e32 v8, v6, v1, vcc_lo
	v_sub_nc_u64_e64 v[0:1], v[4:5], s[2:3]
	v_dual_lshlrev_b32 v10, 2, v7 :: v_dual_bitop2_b32 v5, 8, v6 bitop3:0x14
	s_delay_alu instid0(VALU_DEP_3) | instskip(SKIP_1) | instid1(VALU_DEP_2)
	v_dual_lshlrev_b32 v11, 2, v8 :: v_dual_bitop2_b32 v7, 4, v6 bitop3:0x14
	s_cmp_neq_f32 s16, 0
	v_cmp_gt_i32_e32 vcc_lo, 32, v5
	v_xor_b32_e32 v8, 2, v6
	s_add_nc_u64 s[22:23], s[22:23], s[24:25]
	s_cselect_b32 s1, -1, 0
	s_mov_b32 s7, s21
	v_cndmask_b32_e32 v5, v6, v5, vcc_lo
	v_cmp_gt_i32_e32 vcc_lo, 32, v7
	v_dual_cndmask_b32 v7, v6, v7, vcc_lo :: v_dual_bitop2_b32 v9, 1, v6 bitop3:0x14
	v_cmp_gt_i32_e32 vcc_lo, 32, v8
	s_delay_alu instid0(VALU_DEP_2) | instskip(SKIP_1) | instid1(VALU_DEP_4)
	v_dual_lshlrev_b32 v12, 2, v5 :: v_dual_lshlrev_b32 v13, 2, v7
	v_cndmask_b32_e32 v8, v6, v8, vcc_lo
	v_cmp_gt_i32_e32 vcc_lo, 32, v9
	s_delay_alu instid0(VALU_DEP_2) | instskip(NEXT) | instid1(VALU_DEP_1)
	v_dual_cndmask_b32 v6, v6, v9, vcc_lo :: v_dual_lshlrev_b32 v14, 2, v8
	v_lshlrev_b32_e32 v15, 2, v6
	s_branch .LBB192_9
.LBB192_7:                              ;   in Loop: Header=BB192_9 Depth=1
	global_store_b32 v[4:5], v6, off
.LBB192_8:                              ;   in Loop: Header=BB192_9 Depth=1
	s_wait_xcnt 0x0
	s_or_b32 exec_lo, exec_lo, s17
	v_add_nc_u64_e32 v[2:3], s[20:21], v[2:3]
	s_delay_alu instid0(VALU_DEP_1) | instskip(SKIP_1) | instid1(SALU_CYCLE_1)
	v_cmp_le_i64_e32 vcc_lo, s[4:5], v[2:3]
	s_or_b32 s7, vcc_lo, s7
	s_and_not1_b32 exec_lo, exec_lo, s7
	s_cbranch_execz .LBB192_16
.LBB192_9:                              ; =>This Loop Header: Depth=1
                                        ;     Child Loop BB192_11 Depth 2
	s_wait_dscnt 0x0
	v_lshlrev_b64_e32 v[4:5], 3, v[2:3]
	s_mov_b32 s17, exec_lo
	s_delay_alu instid0(VALU_DEP_1)
	v_add_nc_u64_e32 v[6:7], s[10:11], v[4:5]
	v_add_nc_u64_e32 v[4:5], s[8:9], v[4:5]
	global_load_b64 v[8:9], v[6:7], off
	global_load_b64 v[16:17], v[4:5], off
	s_wait_loadcnt 0x1
	s_wait_xcnt 0x0
	v_sub_nc_u64_e64 v[4:5], v[8:9], s[2:3]
	s_wait_loadcnt 0x0
	v_add_nc_u64_e32 v[6:7], v[16:17], v[0:1]
	v_mov_b32_e32 v16, 0
	s_delay_alu instid0(VALU_DEP_2)
	v_cmpx_lt_i64_e64 v[6:7], v[4:5]
	s_cbranch_execz .LBB192_13
; %bb.10:                               ;   in Loop: Header=BB192_9 Depth=1
	v_lshl_add_u64 v[8:9], v[6:7], 3, s[12:13]
	v_mov_b32_e32 v16, 0
	s_mov_b32 s24, 0
.LBB192_11:                             ;   Parent Loop BB192_9 Depth=1
                                        ; =>  This Inner Loop Header: Depth=2
	global_load_b64 v[18:19], v[8:9], off
	v_add_nc_u64_e32 v[20:21], s[14:15], v[6:7]
	v_add_nc_u64_e32 v[6:7], 64, v[6:7]
	s_wait_xcnt 0x0
	v_add_nc_u64_e32 v[8:9], 0x200, v[8:9]
	s_delay_alu instid0(VALU_DEP_2)
	v_cmp_ge_i64_e32 vcc_lo, v[6:7], v[4:5]
	s_or_b32 s24, vcc_lo, s24
	s_wait_loadcnt 0x0
	v_add_nc_u64_e32 v[18:19], s[22:23], v[18:19]
	global_load_i8 v17, v[20:21], off
	global_load_i8 v22, v[18:19], off
	s_wait_loadcnt 0x1
	v_cvt_f32_i32_e32 v17, v17
	s_wait_loadcnt 0x0
	s_wait_xcnt 0x0
	v_cvt_f32_i32_e32 v18, v22
	s_delay_alu instid0(VALU_DEP_2) | instskip(NEXT) | instid1(VALU_DEP_1)
	v_mul_f32_e32 v17, s6, v17
	v_fmac_f32_e32 v16, v17, v18
	s_and_not1_b32 exec_lo, exec_lo, s24
	s_cbranch_execnz .LBB192_11
; %bb.12:                               ;   in Loop: Header=BB192_9 Depth=1
	s_or_b32 exec_lo, exec_lo, s24
.LBB192_13:                             ;   in Loop: Header=BB192_9 Depth=1
	s_delay_alu instid0(SALU_CYCLE_1)
	s_or_b32 exec_lo, exec_lo, s17
	ds_bpermute_b32 v4, v10, v16
	s_wait_dscnt 0x0
	v_add_f32_e32 v4, v16, v4
	ds_bpermute_b32 v5, v11, v4
	s_wait_dscnt 0x0
	v_add_f32_e32 v4, v4, v5
	;; [unrolled: 3-line block ×5, first 2 shown]
	ds_bpermute_b32 v5, v15, v4
	s_and_saveexec_b32 s17, s0
	s_cbranch_execz .LBB192_8
; %bb.14:                               ;   in Loop: Header=BB192_9 Depth=1
	s_wait_dscnt 0x0
	v_add_f32_e32 v6, v4, v5
	v_lshl_add_u64 v[4:5], v[2:3], 2, s[18:19]
	s_and_not1_b32 vcc_lo, exec_lo, s1
	s_cbranch_vccnz .LBB192_7
; %bb.15:                               ;   in Loop: Header=BB192_9 Depth=1
	global_load_b32 v7, v[4:5], off
	s_wait_loadcnt 0x0
	v_fmac_f32_e32 v6, s16, v7
	s_branch .LBB192_7
.LBB192_16:
	s_endpgm
	.section	.rodata,"a",@progbits
	.p2align	6, 0x0
	.amdhsa_kernel _ZN9rocsparseL21csrmvn_general_kernelILj256ELj64EllaaffEEvbT2_NS_24const_host_device_scalarIT6_EEPKT1_S7_PKS1_PKT3_PKT4_S4_PT5_21rocsparse_index_base_b
		.amdhsa_group_segment_fixed_size 0
		.amdhsa_private_segment_fixed_size 0
		.amdhsa_kernarg_size 344
		.amdhsa_user_sgpr_count 2
		.amdhsa_user_sgpr_dispatch_ptr 0
		.amdhsa_user_sgpr_queue_ptr 0
		.amdhsa_user_sgpr_kernarg_segment_ptr 1
		.amdhsa_user_sgpr_dispatch_id 0
		.amdhsa_user_sgpr_kernarg_preload_length 0
		.amdhsa_user_sgpr_kernarg_preload_offset 0
		.amdhsa_user_sgpr_private_segment_size 0
		.amdhsa_wavefront_size32 1
		.amdhsa_uses_dynamic_stack 0
		.amdhsa_enable_private_segment 0
		.amdhsa_system_sgpr_workgroup_id_x 1
		.amdhsa_system_sgpr_workgroup_id_y 0
		.amdhsa_system_sgpr_workgroup_id_z 0
		.amdhsa_system_sgpr_workgroup_info 0
		.amdhsa_system_vgpr_workitem_id 0
		.amdhsa_next_free_vgpr 23
		.amdhsa_next_free_sgpr 26
		.amdhsa_named_barrier_count 0
		.amdhsa_reserve_vcc 1
		.amdhsa_float_round_mode_32 0
		.amdhsa_float_round_mode_16_64 0
		.amdhsa_float_denorm_mode_32 3
		.amdhsa_float_denorm_mode_16_64 3
		.amdhsa_fp16_overflow 0
		.amdhsa_memory_ordered 1
		.amdhsa_forward_progress 1
		.amdhsa_inst_pref_size 7
		.amdhsa_round_robin_scheduling 0
		.amdhsa_exception_fp_ieee_invalid_op 0
		.amdhsa_exception_fp_denorm_src 0
		.amdhsa_exception_fp_ieee_div_zero 0
		.amdhsa_exception_fp_ieee_overflow 0
		.amdhsa_exception_fp_ieee_underflow 0
		.amdhsa_exception_fp_ieee_inexact 0
		.amdhsa_exception_int_div_zero 0
	.end_amdhsa_kernel
	.section	.text._ZN9rocsparseL21csrmvn_general_kernelILj256ELj64EllaaffEEvbT2_NS_24const_host_device_scalarIT6_EEPKT1_S7_PKS1_PKT3_PKT4_S4_PT5_21rocsparse_index_base_b,"axG",@progbits,_ZN9rocsparseL21csrmvn_general_kernelILj256ELj64EllaaffEEvbT2_NS_24const_host_device_scalarIT6_EEPKT1_S7_PKS1_PKT3_PKT4_S4_PT5_21rocsparse_index_base_b,comdat
.Lfunc_end192:
	.size	_ZN9rocsparseL21csrmvn_general_kernelILj256ELj64EllaaffEEvbT2_NS_24const_host_device_scalarIT6_EEPKT1_S7_PKS1_PKT3_PKT4_S4_PT5_21rocsparse_index_base_b, .Lfunc_end192-_ZN9rocsparseL21csrmvn_general_kernelILj256ELj64EllaaffEEvbT2_NS_24const_host_device_scalarIT6_EEPKT1_S7_PKS1_PKT3_PKT4_S4_PT5_21rocsparse_index_base_b
                                        ; -- End function
	.set _ZN9rocsparseL21csrmvn_general_kernelILj256ELj64EllaaffEEvbT2_NS_24const_host_device_scalarIT6_EEPKT1_S7_PKS1_PKT3_PKT4_S4_PT5_21rocsparse_index_base_b.num_vgpr, 23
	.set _ZN9rocsparseL21csrmvn_general_kernelILj256ELj64EllaaffEEvbT2_NS_24const_host_device_scalarIT6_EEPKT1_S7_PKS1_PKT3_PKT4_S4_PT5_21rocsparse_index_base_b.num_agpr, 0
	.set _ZN9rocsparseL21csrmvn_general_kernelILj256ELj64EllaaffEEvbT2_NS_24const_host_device_scalarIT6_EEPKT1_S7_PKS1_PKT3_PKT4_S4_PT5_21rocsparse_index_base_b.numbered_sgpr, 26
	.set _ZN9rocsparseL21csrmvn_general_kernelILj256ELj64EllaaffEEvbT2_NS_24const_host_device_scalarIT6_EEPKT1_S7_PKS1_PKT3_PKT4_S4_PT5_21rocsparse_index_base_b.num_named_barrier, 0
	.set _ZN9rocsparseL21csrmvn_general_kernelILj256ELj64EllaaffEEvbT2_NS_24const_host_device_scalarIT6_EEPKT1_S7_PKS1_PKT3_PKT4_S4_PT5_21rocsparse_index_base_b.private_seg_size, 0
	.set _ZN9rocsparseL21csrmvn_general_kernelILj256ELj64EllaaffEEvbT2_NS_24const_host_device_scalarIT6_EEPKT1_S7_PKS1_PKT3_PKT4_S4_PT5_21rocsparse_index_base_b.uses_vcc, 1
	.set _ZN9rocsparseL21csrmvn_general_kernelILj256ELj64EllaaffEEvbT2_NS_24const_host_device_scalarIT6_EEPKT1_S7_PKS1_PKT3_PKT4_S4_PT5_21rocsparse_index_base_b.uses_flat_scratch, 0
	.set _ZN9rocsparseL21csrmvn_general_kernelILj256ELj64EllaaffEEvbT2_NS_24const_host_device_scalarIT6_EEPKT1_S7_PKS1_PKT3_PKT4_S4_PT5_21rocsparse_index_base_b.has_dyn_sized_stack, 0
	.set _ZN9rocsparseL21csrmvn_general_kernelILj256ELj64EllaaffEEvbT2_NS_24const_host_device_scalarIT6_EEPKT1_S7_PKS1_PKT3_PKT4_S4_PT5_21rocsparse_index_base_b.has_recursion, 0
	.set _ZN9rocsparseL21csrmvn_general_kernelILj256ELj64EllaaffEEvbT2_NS_24const_host_device_scalarIT6_EEPKT1_S7_PKS1_PKT3_PKT4_S4_PT5_21rocsparse_index_base_b.has_indirect_call, 0
	.section	.AMDGPU.csdata,"",@progbits
; Kernel info:
; codeLenInByte = 872
; TotalNumSgprs: 28
; NumVgprs: 23
; ScratchSize: 0
; MemoryBound: 0
; FloatMode: 240
; IeeeMode: 1
; LDSByteSize: 0 bytes/workgroup (compile time only)
; SGPRBlocks: 0
; VGPRBlocks: 1
; NumSGPRsForWavesPerEU: 28
; NumVGPRsForWavesPerEU: 23
; NamedBarCnt: 0
; Occupancy: 16
; WaveLimiterHint : 1
; COMPUTE_PGM_RSRC2:SCRATCH_EN: 0
; COMPUTE_PGM_RSRC2:USER_SGPR: 2
; COMPUTE_PGM_RSRC2:TRAP_HANDLER: 0
; COMPUTE_PGM_RSRC2:TGID_X_EN: 1
; COMPUTE_PGM_RSRC2:TGID_Y_EN: 0
; COMPUTE_PGM_RSRC2:TGID_Z_EN: 0
; COMPUTE_PGM_RSRC2:TIDIG_COMP_CNT: 0
	.section	.text._ZN9rocsparseL21csrmvt_general_kernelILj256ELj4EllaaffEEvbbT2_NS_24const_host_device_scalarIT6_EEPKT1_S7_PKS1_PKT3_PKT4_PT5_21rocsparse_index_base_b,"axG",@progbits,_ZN9rocsparseL21csrmvt_general_kernelILj256ELj4EllaaffEEvbbT2_NS_24const_host_device_scalarIT6_EEPKT1_S7_PKS1_PKT3_PKT4_PT5_21rocsparse_index_base_b,comdat
	.globl	_ZN9rocsparseL21csrmvt_general_kernelILj256ELj4EllaaffEEvbbT2_NS_24const_host_device_scalarIT6_EEPKT1_S7_PKS1_PKT3_PKT4_PT5_21rocsparse_index_base_b ; -- Begin function _ZN9rocsparseL21csrmvt_general_kernelILj256ELj4EllaaffEEvbbT2_NS_24const_host_device_scalarIT6_EEPKT1_S7_PKS1_PKT3_PKT4_PT5_21rocsparse_index_base_b
	.p2align	8
	.type	_ZN9rocsparseL21csrmvt_general_kernelILj256ELj4EllaaffEEvbbT2_NS_24const_host_device_scalarIT6_EEPKT1_S7_PKS1_PKT3_PKT4_PT5_21rocsparse_index_base_b,@function
_ZN9rocsparseL21csrmvt_general_kernelILj256ELj4EllaaffEEvbbT2_NS_24const_host_device_scalarIT6_EEPKT1_S7_PKS1_PKT3_PKT4_PT5_21rocsparse_index_base_b: ; @_ZN9rocsparseL21csrmvt_general_kernelILj256ELj4EllaaffEEvbbT2_NS_24const_host_device_scalarIT6_EEPKT1_S7_PKS1_PKT3_PKT4_PT5_21rocsparse_index_base_b
; %bb.0:
	s_clause 0x1
	s_load_b64 s[2:3], s[0:1], 0x48
	s_load_b256 s[4:11], s[0:1], 0x8
	s_wait_kmcnt 0x0
	s_bitcmp1_b32 s3, 0
	s_cselect_b32 s3, -1, 0
	s_delay_alu instid0(SALU_CYCLE_1)
	s_and_b32 vcc_lo, exec_lo, s3
	s_cbranch_vccnz .LBB193_2
; %bb.1:
	s_load_b32 s6, s[6:7], 0x0
.LBB193_2:
	s_wait_kmcnt 0x0
	s_cmp_eq_f32 s6, 0
	s_mov_b32 s21, 0
	s_cbranch_scc1 .LBB193_20
; %bb.3:
	s_clause 0x1
	s_load_b32 s3, s[0:1], 0x0
	s_load_b32 s7, s[0:1], 0x50
	s_bfe_u32 s12, ttmp6, 0x4000c
	s_and_b32 s13, ttmp6, 15
	s_add_co_i32 s12, s12, 1
	s_getreg_b32 s14, hwreg(HW_REG_IB_STS2, 6, 4)
	s_mul_i32 s12, ttmp9, s12
	v_mov_b32_e32 v3, 0
	s_add_co_i32 s22, s13, s12
	s_wait_kmcnt 0x0
	s_and_b32 s3, s3, 1
	s_lshl_b32 s20, s7, 6
	s_cmp_eq_u32 s14, 0
	s_load_b256 s[12:19], s[0:1], 0x28
	s_wait_xcnt 0x0
	s_cselect_b32 s0, ttmp9, s22
	s_cmp_eq_u32 s3, 0
	v_lshl_or_b32 v1, s0, 8, v0
	v_and_b32_e32 v0, 3, v0
	s_mov_b32 s1, -1
	s_delay_alu instid0(VALU_DEP_2) | instskip(NEXT) | instid1(VALU_DEP_1)
	v_lshrrev_b32_e32 v2, 2, v1
	v_cmp_gt_i64_e64 s0, s[4:5], v[2:3]
	s_cbranch_scc0 .LBB193_11
; %bb.4:
	s_and_saveexec_b32 s1, s0
	s_cbranch_execz .LBB193_10
; %bb.5:
	v_mov_b32_e32 v1, 0
	s_mov_b32 s3, 0
	v_mov_b64_e32 v[6:7], v[2:3]
	s_mov_b32 s7, s3
	s_delay_alu instid0(VALU_DEP_2)
	v_sub_nc_u64_e64 v[4:5], v[0:1], s[2:3]
	s_branch .LBB193_7
.LBB193_6:                              ;   in Loop: Header=BB193_7 Depth=1
	s_or_b32 exec_lo, exec_lo, s22
	v_add_nc_u64_e32 v[6:7], s[20:21], v[6:7]
	s_delay_alu instid0(VALU_DEP_1) | instskip(SKIP_1) | instid1(SALU_CYCLE_1)
	v_cmp_le_i64_e32 vcc_lo, s[4:5], v[6:7]
	s_or_b32 s7, vcc_lo, s7
	s_and_not1_b32 exec_lo, exec_lo, s7
	s_cbranch_execz .LBB193_10
.LBB193_7:                              ; =>This Loop Header: Depth=1
                                        ;     Child Loop BB193_9 Depth 2
	s_delay_alu instid0(VALU_DEP_2) | instskip(SKIP_1) | instid1(VALU_DEP_1)
	v_lshlrev_b64_e32 v[8:9], 3, v[6:7]
	s_mov_b32 s22, exec_lo
	v_add_nc_u64_e32 v[10:11], s[10:11], v[8:9]
	v_add_nc_u64_e32 v[8:9], s[8:9], v[8:9]
	global_load_b64 v[12:13], v[10:11], off
	global_load_b64 v[14:15], v[8:9], off
	s_wait_loadcnt 0x1
	s_wait_xcnt 0x0
	v_sub_nc_u64_e64 v[8:9], v[12:13], s[2:3]
	s_wait_loadcnt 0x0
	v_add_nc_u64_e32 v[10:11], v[14:15], v[4:5]
	s_delay_alu instid0(VALU_DEP_1)
	v_cmpx_lt_i64_e64 v[10:11], v[8:9]
	s_cbranch_execz .LBB193_6
; %bb.8:                                ;   in Loop: Header=BB193_7 Depth=1
	s_wait_kmcnt 0x0
	v_add_nc_u64_e32 v[12:13], s[16:17], v[6:7]
	s_mov_b32 s23, 0
	global_load_i8 v1, v[12:13], off
	s_wait_xcnt 0x0
	v_lshl_add_u64 v[12:13], v[10:11], 3, s[12:13]
	s_wait_loadcnt 0x0
	v_cvt_f32_i32_e32 v1, v1
	s_delay_alu instid0(VALU_DEP_1)
	v_mul_f32_e32 v1, s6, v1
.LBB193_9:                              ;   Parent Loop BB193_7 Depth=1
                                        ; =>  This Inner Loop Header: Depth=2
	v_add_nc_u64_e32 v[14:15], s[14:15], v[10:11]
	v_add_nc_u64_e32 v[10:11], 4, v[10:11]
	global_load_b64 v[16:17], v[12:13], off
	global_load_i8 v18, v[14:15], off
	s_wait_xcnt 0x1
	v_add_nc_u64_e32 v[12:13], 32, v[12:13]
	v_cmp_ge_i64_e32 vcc_lo, v[10:11], v[8:9]
	s_or_b32 s23, vcc_lo, s23
	s_wait_loadcnt 0x1
	s_wait_xcnt 0x0
	v_sub_nc_u64_e64 v[14:15], v[16:17], s[2:3]
	s_wait_loadcnt 0x0
	v_cvt_f32_i32_e32 v16, v18
	s_delay_alu instid0(VALU_DEP_1) | instskip(NEXT) | instid1(VALU_DEP_3)
	v_mul_f32_e32 v16, v1, v16
	v_lshl_add_u64 v[14:15], v[14:15], 2, s[18:19]
	global_atomic_add_f32 v[14:15], v16, off scope:SCOPE_DEV
	s_wait_xcnt 0x0
	s_and_not1_b32 exec_lo, exec_lo, s23
	s_cbranch_execnz .LBB193_9
	s_branch .LBB193_6
.LBB193_10:
	s_or_b32 exec_lo, exec_lo, s1
	s_mov_b32 s1, 0
.LBB193_11:
	s_delay_alu instid0(SALU_CYCLE_1)
	s_and_not1_b32 vcc_lo, exec_lo, s1
	s_cbranch_vccnz .LBB193_20
; %bb.12:
	s_and_saveexec_b32 s1, s0
	s_cbranch_execz .LBB193_20
; %bb.13:
	v_mov_b32_e32 v1, 0
	s_mov_b32 s3, 0
	s_delay_alu instid0(SALU_CYCLE_1) | instskip(NEXT) | instid1(VALU_DEP_1)
	s_mov_b32 s0, s3
	v_sub_nc_u64_e64 v[0:1], v[0:1], s[2:3]
	s_branch .LBB193_15
.LBB193_14:                             ;   in Loop: Header=BB193_15 Depth=1
	s_or_b32 exec_lo, exec_lo, s1
	v_add_nc_u64_e32 v[2:3], s[20:21], v[2:3]
	s_delay_alu instid0(VALU_DEP_1) | instskip(SKIP_1) | instid1(SALU_CYCLE_1)
	v_cmp_le_i64_e32 vcc_lo, s[4:5], v[2:3]
	s_or_b32 s0, vcc_lo, s0
	s_and_not1_b32 exec_lo, exec_lo, s0
	s_cbranch_execz .LBB193_20
.LBB193_15:                             ; =>This Loop Header: Depth=1
                                        ;     Child Loop BB193_18 Depth 2
	v_lshlrev_b64_e32 v[4:5], 3, v[2:3]
	s_mov_b32 s1, exec_lo
	s_delay_alu instid0(VALU_DEP_1)
	v_add_nc_u64_e32 v[6:7], s[10:11], v[4:5]
	v_add_nc_u64_e32 v[4:5], s[8:9], v[4:5]
	global_load_b64 v[8:9], v[6:7], off
	global_load_b64 v[10:11], v[4:5], off
	s_wait_loadcnt 0x1
	s_wait_xcnt 0x0
	v_sub_nc_u64_e64 v[4:5], v[8:9], s[2:3]
	s_wait_loadcnt 0x0
	v_add_nc_u64_e32 v[6:7], v[10:11], v[0:1]
	s_delay_alu instid0(VALU_DEP_1)
	v_cmpx_lt_i64_e64 v[6:7], v[4:5]
	s_cbranch_execz .LBB193_14
; %bb.16:                               ;   in Loop: Header=BB193_15 Depth=1
	s_wait_kmcnt 0x0
	v_add_nc_u64_e32 v[8:9], s[16:17], v[2:3]
	s_mov_b32 s7, 0
	global_load_i8 v8, v[8:9], off
	s_wait_loadcnt 0x0
	v_cvt_f32_i32_e32 v8, v8
	s_delay_alu instid0(VALU_DEP_1)
	v_mul_f32_e32 v12, s6, v8
	v_lshl_add_u64 v[8:9], v[6:7], 3, s[12:13]
	s_branch .LBB193_18
.LBB193_17:                             ;   in Loop: Header=BB193_18 Depth=2
	s_wait_xcnt 0x0
	s_or_b32 exec_lo, exec_lo, s22
	v_add_nc_u64_e32 v[6:7], 4, v[6:7]
	v_add_nc_u64_e32 v[8:9], 32, v[8:9]
	s_delay_alu instid0(VALU_DEP_2) | instskip(SKIP_1) | instid1(SALU_CYCLE_1)
	v_cmp_ge_i64_e32 vcc_lo, v[6:7], v[4:5]
	s_or_b32 s7, vcc_lo, s7
	s_and_not1_b32 exec_lo, exec_lo, s7
	s_cbranch_execz .LBB193_14
.LBB193_18:                             ;   Parent Loop BB193_15 Depth=1
                                        ; =>  This Inner Loop Header: Depth=2
	global_load_b64 v[10:11], v[8:9], off
	s_mov_b32 s22, exec_lo
	s_wait_loadcnt 0x0
	v_sub_nc_u64_e64 v[10:11], v[10:11], s[2:3]
	s_wait_xcnt 0x0
	s_delay_alu instid0(VALU_DEP_1)
	v_cmpx_ne_u64_e64 v[10:11], v[2:3]
	s_cbranch_execz .LBB193_17
; %bb.19:                               ;   in Loop: Header=BB193_18 Depth=2
	v_add_nc_u64_e32 v[14:15], s[14:15], v[6:7]
	v_lshl_add_u64 v[10:11], v[10:11], 2, s[18:19]
	global_load_i8 v13, v[14:15], off
	s_wait_loadcnt 0x0
	v_cvt_f32_i32_e32 v13, v13
	s_delay_alu instid0(VALU_DEP_1)
	v_mul_f32_e32 v13, v12, v13
	s_wait_xcnt 0x0
	global_atomic_add_f32 v[10:11], v13, off scope:SCOPE_DEV
	s_branch .LBB193_17
.LBB193_20:
	s_endpgm
	.section	.rodata,"a",@progbits
	.p2align	6, 0x0
	.amdhsa_kernel _ZN9rocsparseL21csrmvt_general_kernelILj256ELj4EllaaffEEvbbT2_NS_24const_host_device_scalarIT6_EEPKT1_S7_PKS1_PKT3_PKT4_PT5_21rocsparse_index_base_b
		.amdhsa_group_segment_fixed_size 0
		.amdhsa_private_segment_fixed_size 0
		.amdhsa_kernarg_size 336
		.amdhsa_user_sgpr_count 2
		.amdhsa_user_sgpr_dispatch_ptr 0
		.amdhsa_user_sgpr_queue_ptr 0
		.amdhsa_user_sgpr_kernarg_segment_ptr 1
		.amdhsa_user_sgpr_dispatch_id 0
		.amdhsa_user_sgpr_kernarg_preload_length 0
		.amdhsa_user_sgpr_kernarg_preload_offset 0
		.amdhsa_user_sgpr_private_segment_size 0
		.amdhsa_wavefront_size32 1
		.amdhsa_uses_dynamic_stack 0
		.amdhsa_enable_private_segment 0
		.amdhsa_system_sgpr_workgroup_id_x 1
		.amdhsa_system_sgpr_workgroup_id_y 0
		.amdhsa_system_sgpr_workgroup_id_z 0
		.amdhsa_system_sgpr_workgroup_info 0
		.amdhsa_system_vgpr_workitem_id 0
		.amdhsa_next_free_vgpr 19
		.amdhsa_next_free_sgpr 24
		.amdhsa_named_barrier_count 0
		.amdhsa_reserve_vcc 1
		.amdhsa_float_round_mode_32 0
		.amdhsa_float_round_mode_16_64 0
		.amdhsa_float_denorm_mode_32 3
		.amdhsa_float_denorm_mode_16_64 3
		.amdhsa_fp16_overflow 0
		.amdhsa_memory_ordered 1
		.amdhsa_forward_progress 1
		.amdhsa_inst_pref_size 7
		.amdhsa_round_robin_scheduling 0
		.amdhsa_exception_fp_ieee_invalid_op 0
		.amdhsa_exception_fp_denorm_src 0
		.amdhsa_exception_fp_ieee_div_zero 0
		.amdhsa_exception_fp_ieee_overflow 0
		.amdhsa_exception_fp_ieee_underflow 0
		.amdhsa_exception_fp_ieee_inexact 0
		.amdhsa_exception_int_div_zero 0
	.end_amdhsa_kernel
	.section	.text._ZN9rocsparseL21csrmvt_general_kernelILj256ELj4EllaaffEEvbbT2_NS_24const_host_device_scalarIT6_EEPKT1_S7_PKS1_PKT3_PKT4_PT5_21rocsparse_index_base_b,"axG",@progbits,_ZN9rocsparseL21csrmvt_general_kernelILj256ELj4EllaaffEEvbbT2_NS_24const_host_device_scalarIT6_EEPKT1_S7_PKS1_PKT3_PKT4_PT5_21rocsparse_index_base_b,comdat
.Lfunc_end193:
	.size	_ZN9rocsparseL21csrmvt_general_kernelILj256ELj4EllaaffEEvbbT2_NS_24const_host_device_scalarIT6_EEPKT1_S7_PKS1_PKT3_PKT4_PT5_21rocsparse_index_base_b, .Lfunc_end193-_ZN9rocsparseL21csrmvt_general_kernelILj256ELj4EllaaffEEvbbT2_NS_24const_host_device_scalarIT6_EEPKT1_S7_PKS1_PKT3_PKT4_PT5_21rocsparse_index_base_b
                                        ; -- End function
	.set _ZN9rocsparseL21csrmvt_general_kernelILj256ELj4EllaaffEEvbbT2_NS_24const_host_device_scalarIT6_EEPKT1_S7_PKS1_PKT3_PKT4_PT5_21rocsparse_index_base_b.num_vgpr, 19
	.set _ZN9rocsparseL21csrmvt_general_kernelILj256ELj4EllaaffEEvbbT2_NS_24const_host_device_scalarIT6_EEPKT1_S7_PKS1_PKT3_PKT4_PT5_21rocsparse_index_base_b.num_agpr, 0
	.set _ZN9rocsparseL21csrmvt_general_kernelILj256ELj4EllaaffEEvbbT2_NS_24const_host_device_scalarIT6_EEPKT1_S7_PKS1_PKT3_PKT4_PT5_21rocsparse_index_base_b.numbered_sgpr, 24
	.set _ZN9rocsparseL21csrmvt_general_kernelILj256ELj4EllaaffEEvbbT2_NS_24const_host_device_scalarIT6_EEPKT1_S7_PKS1_PKT3_PKT4_PT5_21rocsparse_index_base_b.num_named_barrier, 0
	.set _ZN9rocsparseL21csrmvt_general_kernelILj256ELj4EllaaffEEvbbT2_NS_24const_host_device_scalarIT6_EEPKT1_S7_PKS1_PKT3_PKT4_PT5_21rocsparse_index_base_b.private_seg_size, 0
	.set _ZN9rocsparseL21csrmvt_general_kernelILj256ELj4EllaaffEEvbbT2_NS_24const_host_device_scalarIT6_EEPKT1_S7_PKS1_PKT3_PKT4_PT5_21rocsparse_index_base_b.uses_vcc, 1
	.set _ZN9rocsparseL21csrmvt_general_kernelILj256ELj4EllaaffEEvbbT2_NS_24const_host_device_scalarIT6_EEPKT1_S7_PKS1_PKT3_PKT4_PT5_21rocsparse_index_base_b.uses_flat_scratch, 0
	.set _ZN9rocsparseL21csrmvt_general_kernelILj256ELj4EllaaffEEvbbT2_NS_24const_host_device_scalarIT6_EEPKT1_S7_PKS1_PKT3_PKT4_PT5_21rocsparse_index_base_b.has_dyn_sized_stack, 0
	.set _ZN9rocsparseL21csrmvt_general_kernelILj256ELj4EllaaffEEvbbT2_NS_24const_host_device_scalarIT6_EEPKT1_S7_PKS1_PKT3_PKT4_PT5_21rocsparse_index_base_b.has_recursion, 0
	.set _ZN9rocsparseL21csrmvt_general_kernelILj256ELj4EllaaffEEvbbT2_NS_24const_host_device_scalarIT6_EEPKT1_S7_PKS1_PKT3_PKT4_PT5_21rocsparse_index_base_b.has_indirect_call, 0
	.section	.AMDGPU.csdata,"",@progbits
; Kernel info:
; codeLenInByte = 880
; TotalNumSgprs: 26
; NumVgprs: 19
; ScratchSize: 0
; MemoryBound: 0
; FloatMode: 240
; IeeeMode: 1
; LDSByteSize: 0 bytes/workgroup (compile time only)
; SGPRBlocks: 0
; VGPRBlocks: 1
; NumSGPRsForWavesPerEU: 26
; NumVGPRsForWavesPerEU: 19
; NamedBarCnt: 0
; Occupancy: 16
; WaveLimiterHint : 1
; COMPUTE_PGM_RSRC2:SCRATCH_EN: 0
; COMPUTE_PGM_RSRC2:USER_SGPR: 2
; COMPUTE_PGM_RSRC2:TRAP_HANDLER: 0
; COMPUTE_PGM_RSRC2:TGID_X_EN: 1
; COMPUTE_PGM_RSRC2:TGID_Y_EN: 0
; COMPUTE_PGM_RSRC2:TGID_Z_EN: 0
; COMPUTE_PGM_RSRC2:TIDIG_COMP_CNT: 0
	.section	.text._ZN9rocsparseL21csrmvt_general_kernelILj256ELj8EllaaffEEvbbT2_NS_24const_host_device_scalarIT6_EEPKT1_S7_PKS1_PKT3_PKT4_PT5_21rocsparse_index_base_b,"axG",@progbits,_ZN9rocsparseL21csrmvt_general_kernelILj256ELj8EllaaffEEvbbT2_NS_24const_host_device_scalarIT6_EEPKT1_S7_PKS1_PKT3_PKT4_PT5_21rocsparse_index_base_b,comdat
	.globl	_ZN9rocsparseL21csrmvt_general_kernelILj256ELj8EllaaffEEvbbT2_NS_24const_host_device_scalarIT6_EEPKT1_S7_PKS1_PKT3_PKT4_PT5_21rocsparse_index_base_b ; -- Begin function _ZN9rocsparseL21csrmvt_general_kernelILj256ELj8EllaaffEEvbbT2_NS_24const_host_device_scalarIT6_EEPKT1_S7_PKS1_PKT3_PKT4_PT5_21rocsparse_index_base_b
	.p2align	8
	.type	_ZN9rocsparseL21csrmvt_general_kernelILj256ELj8EllaaffEEvbbT2_NS_24const_host_device_scalarIT6_EEPKT1_S7_PKS1_PKT3_PKT4_PT5_21rocsparse_index_base_b,@function
_ZN9rocsparseL21csrmvt_general_kernelILj256ELj8EllaaffEEvbbT2_NS_24const_host_device_scalarIT6_EEPKT1_S7_PKS1_PKT3_PKT4_PT5_21rocsparse_index_base_b: ; @_ZN9rocsparseL21csrmvt_general_kernelILj256ELj8EllaaffEEvbbT2_NS_24const_host_device_scalarIT6_EEPKT1_S7_PKS1_PKT3_PKT4_PT5_21rocsparse_index_base_b
; %bb.0:
	s_clause 0x1
	s_load_b64 s[2:3], s[0:1], 0x48
	s_load_b256 s[4:11], s[0:1], 0x8
	s_wait_kmcnt 0x0
	s_bitcmp1_b32 s3, 0
	s_cselect_b32 s3, -1, 0
	s_delay_alu instid0(SALU_CYCLE_1)
	s_and_b32 vcc_lo, exec_lo, s3
	s_cbranch_vccnz .LBB194_2
; %bb.1:
	s_load_b32 s6, s[6:7], 0x0
.LBB194_2:
	s_wait_kmcnt 0x0
	s_cmp_eq_f32 s6, 0
	s_mov_b32 s21, 0
	s_cbranch_scc1 .LBB194_20
; %bb.3:
	s_clause 0x1
	s_load_b32 s3, s[0:1], 0x0
	s_load_b32 s7, s[0:1], 0x50
	s_bfe_u32 s12, ttmp6, 0x4000c
	s_and_b32 s13, ttmp6, 15
	s_add_co_i32 s12, s12, 1
	s_getreg_b32 s14, hwreg(HW_REG_IB_STS2, 6, 4)
	s_mul_i32 s12, ttmp9, s12
	v_mov_b32_e32 v3, 0
	s_add_co_i32 s22, s13, s12
	s_wait_kmcnt 0x0
	s_and_b32 s3, s3, 1
	s_lshl_b32 s20, s7, 5
	s_cmp_eq_u32 s14, 0
	s_load_b256 s[12:19], s[0:1], 0x28
	s_wait_xcnt 0x0
	s_cselect_b32 s0, ttmp9, s22
	s_cmp_eq_u32 s3, 0
	v_lshl_or_b32 v1, s0, 8, v0
	v_and_b32_e32 v0, 7, v0
	s_mov_b32 s1, -1
	s_delay_alu instid0(VALU_DEP_2) | instskip(NEXT) | instid1(VALU_DEP_1)
	v_lshrrev_b32_e32 v2, 3, v1
	v_cmp_gt_i64_e64 s0, s[4:5], v[2:3]
	s_cbranch_scc0 .LBB194_11
; %bb.4:
	s_and_saveexec_b32 s1, s0
	s_cbranch_execz .LBB194_10
; %bb.5:
	v_mov_b32_e32 v1, 0
	s_mov_b32 s3, 0
	v_mov_b64_e32 v[6:7], v[2:3]
	s_mov_b32 s7, s3
	s_delay_alu instid0(VALU_DEP_2)
	v_sub_nc_u64_e64 v[4:5], v[0:1], s[2:3]
	s_branch .LBB194_7
.LBB194_6:                              ;   in Loop: Header=BB194_7 Depth=1
	s_or_b32 exec_lo, exec_lo, s22
	v_add_nc_u64_e32 v[6:7], s[20:21], v[6:7]
	s_delay_alu instid0(VALU_DEP_1) | instskip(SKIP_1) | instid1(SALU_CYCLE_1)
	v_cmp_le_i64_e32 vcc_lo, s[4:5], v[6:7]
	s_or_b32 s7, vcc_lo, s7
	s_and_not1_b32 exec_lo, exec_lo, s7
	s_cbranch_execz .LBB194_10
.LBB194_7:                              ; =>This Loop Header: Depth=1
                                        ;     Child Loop BB194_9 Depth 2
	s_delay_alu instid0(VALU_DEP_2) | instskip(SKIP_1) | instid1(VALU_DEP_1)
	v_lshlrev_b64_e32 v[8:9], 3, v[6:7]
	s_mov_b32 s22, exec_lo
	v_add_nc_u64_e32 v[10:11], s[10:11], v[8:9]
	v_add_nc_u64_e32 v[8:9], s[8:9], v[8:9]
	global_load_b64 v[12:13], v[10:11], off
	global_load_b64 v[14:15], v[8:9], off
	s_wait_loadcnt 0x1
	s_wait_xcnt 0x0
	v_sub_nc_u64_e64 v[8:9], v[12:13], s[2:3]
	s_wait_loadcnt 0x0
	v_add_nc_u64_e32 v[10:11], v[14:15], v[4:5]
	s_delay_alu instid0(VALU_DEP_1)
	v_cmpx_lt_i64_e64 v[10:11], v[8:9]
	s_cbranch_execz .LBB194_6
; %bb.8:                                ;   in Loop: Header=BB194_7 Depth=1
	s_wait_kmcnt 0x0
	v_add_nc_u64_e32 v[12:13], s[16:17], v[6:7]
	s_mov_b32 s23, 0
	global_load_i8 v1, v[12:13], off
	s_wait_xcnt 0x0
	v_lshl_add_u64 v[12:13], v[10:11], 3, s[12:13]
	s_wait_loadcnt 0x0
	v_cvt_f32_i32_e32 v1, v1
	s_delay_alu instid0(VALU_DEP_1)
	v_mul_f32_e32 v1, s6, v1
.LBB194_9:                              ;   Parent Loop BB194_7 Depth=1
                                        ; =>  This Inner Loop Header: Depth=2
	v_add_nc_u64_e32 v[14:15], s[14:15], v[10:11]
	v_add_nc_u64_e32 v[10:11], 8, v[10:11]
	global_load_b64 v[16:17], v[12:13], off
	global_load_i8 v18, v[14:15], off
	s_wait_xcnt 0x1
	v_add_nc_u64_e32 v[12:13], 64, v[12:13]
	v_cmp_ge_i64_e32 vcc_lo, v[10:11], v[8:9]
	s_or_b32 s23, vcc_lo, s23
	s_wait_loadcnt 0x1
	s_wait_xcnt 0x0
	v_sub_nc_u64_e64 v[14:15], v[16:17], s[2:3]
	s_wait_loadcnt 0x0
	v_cvt_f32_i32_e32 v16, v18
	s_delay_alu instid0(VALU_DEP_1) | instskip(NEXT) | instid1(VALU_DEP_3)
	v_mul_f32_e32 v16, v1, v16
	v_lshl_add_u64 v[14:15], v[14:15], 2, s[18:19]
	global_atomic_add_f32 v[14:15], v16, off scope:SCOPE_DEV
	s_wait_xcnt 0x0
	s_and_not1_b32 exec_lo, exec_lo, s23
	s_cbranch_execnz .LBB194_9
	s_branch .LBB194_6
.LBB194_10:
	s_or_b32 exec_lo, exec_lo, s1
	s_mov_b32 s1, 0
.LBB194_11:
	s_delay_alu instid0(SALU_CYCLE_1)
	s_and_not1_b32 vcc_lo, exec_lo, s1
	s_cbranch_vccnz .LBB194_20
; %bb.12:
	s_and_saveexec_b32 s1, s0
	s_cbranch_execz .LBB194_20
; %bb.13:
	v_mov_b32_e32 v1, 0
	s_mov_b32 s3, 0
	s_delay_alu instid0(SALU_CYCLE_1) | instskip(NEXT) | instid1(VALU_DEP_1)
	s_mov_b32 s0, s3
	v_sub_nc_u64_e64 v[0:1], v[0:1], s[2:3]
	s_branch .LBB194_15
.LBB194_14:                             ;   in Loop: Header=BB194_15 Depth=1
	s_or_b32 exec_lo, exec_lo, s1
	v_add_nc_u64_e32 v[2:3], s[20:21], v[2:3]
	s_delay_alu instid0(VALU_DEP_1) | instskip(SKIP_1) | instid1(SALU_CYCLE_1)
	v_cmp_le_i64_e32 vcc_lo, s[4:5], v[2:3]
	s_or_b32 s0, vcc_lo, s0
	s_and_not1_b32 exec_lo, exec_lo, s0
	s_cbranch_execz .LBB194_20
.LBB194_15:                             ; =>This Loop Header: Depth=1
                                        ;     Child Loop BB194_18 Depth 2
	v_lshlrev_b64_e32 v[4:5], 3, v[2:3]
	s_mov_b32 s1, exec_lo
	s_delay_alu instid0(VALU_DEP_1)
	v_add_nc_u64_e32 v[6:7], s[10:11], v[4:5]
	v_add_nc_u64_e32 v[4:5], s[8:9], v[4:5]
	global_load_b64 v[8:9], v[6:7], off
	global_load_b64 v[10:11], v[4:5], off
	s_wait_loadcnt 0x1
	s_wait_xcnt 0x0
	v_sub_nc_u64_e64 v[4:5], v[8:9], s[2:3]
	s_wait_loadcnt 0x0
	v_add_nc_u64_e32 v[6:7], v[10:11], v[0:1]
	s_delay_alu instid0(VALU_DEP_1)
	v_cmpx_lt_i64_e64 v[6:7], v[4:5]
	s_cbranch_execz .LBB194_14
; %bb.16:                               ;   in Loop: Header=BB194_15 Depth=1
	s_wait_kmcnt 0x0
	v_add_nc_u64_e32 v[8:9], s[16:17], v[2:3]
	s_mov_b32 s7, 0
	global_load_i8 v8, v[8:9], off
	s_wait_loadcnt 0x0
	v_cvt_f32_i32_e32 v8, v8
	s_delay_alu instid0(VALU_DEP_1)
	v_mul_f32_e32 v12, s6, v8
	v_lshl_add_u64 v[8:9], v[6:7], 3, s[12:13]
	s_branch .LBB194_18
.LBB194_17:                             ;   in Loop: Header=BB194_18 Depth=2
	s_wait_xcnt 0x0
	s_or_b32 exec_lo, exec_lo, s22
	v_add_nc_u64_e32 v[6:7], 8, v[6:7]
	v_add_nc_u64_e32 v[8:9], 64, v[8:9]
	s_delay_alu instid0(VALU_DEP_2) | instskip(SKIP_1) | instid1(SALU_CYCLE_1)
	v_cmp_ge_i64_e32 vcc_lo, v[6:7], v[4:5]
	s_or_b32 s7, vcc_lo, s7
	s_and_not1_b32 exec_lo, exec_lo, s7
	s_cbranch_execz .LBB194_14
.LBB194_18:                             ;   Parent Loop BB194_15 Depth=1
                                        ; =>  This Inner Loop Header: Depth=2
	global_load_b64 v[10:11], v[8:9], off
	s_mov_b32 s22, exec_lo
	s_wait_loadcnt 0x0
	v_sub_nc_u64_e64 v[10:11], v[10:11], s[2:3]
	s_wait_xcnt 0x0
	s_delay_alu instid0(VALU_DEP_1)
	v_cmpx_ne_u64_e64 v[10:11], v[2:3]
	s_cbranch_execz .LBB194_17
; %bb.19:                               ;   in Loop: Header=BB194_18 Depth=2
	v_add_nc_u64_e32 v[14:15], s[14:15], v[6:7]
	v_lshl_add_u64 v[10:11], v[10:11], 2, s[18:19]
	global_load_i8 v13, v[14:15], off
	s_wait_loadcnt 0x0
	v_cvt_f32_i32_e32 v13, v13
	s_delay_alu instid0(VALU_DEP_1)
	v_mul_f32_e32 v13, v12, v13
	s_wait_xcnt 0x0
	global_atomic_add_f32 v[10:11], v13, off scope:SCOPE_DEV
	s_branch .LBB194_17
.LBB194_20:
	s_endpgm
	.section	.rodata,"a",@progbits
	.p2align	6, 0x0
	.amdhsa_kernel _ZN9rocsparseL21csrmvt_general_kernelILj256ELj8EllaaffEEvbbT2_NS_24const_host_device_scalarIT6_EEPKT1_S7_PKS1_PKT3_PKT4_PT5_21rocsparse_index_base_b
		.amdhsa_group_segment_fixed_size 0
		.amdhsa_private_segment_fixed_size 0
		.amdhsa_kernarg_size 336
		.amdhsa_user_sgpr_count 2
		.amdhsa_user_sgpr_dispatch_ptr 0
		.amdhsa_user_sgpr_queue_ptr 0
		.amdhsa_user_sgpr_kernarg_segment_ptr 1
		.amdhsa_user_sgpr_dispatch_id 0
		.amdhsa_user_sgpr_kernarg_preload_length 0
		.amdhsa_user_sgpr_kernarg_preload_offset 0
		.amdhsa_user_sgpr_private_segment_size 0
		.amdhsa_wavefront_size32 1
		.amdhsa_uses_dynamic_stack 0
		.amdhsa_enable_private_segment 0
		.amdhsa_system_sgpr_workgroup_id_x 1
		.amdhsa_system_sgpr_workgroup_id_y 0
		.amdhsa_system_sgpr_workgroup_id_z 0
		.amdhsa_system_sgpr_workgroup_info 0
		.amdhsa_system_vgpr_workitem_id 0
		.amdhsa_next_free_vgpr 19
		.amdhsa_next_free_sgpr 24
		.amdhsa_named_barrier_count 0
		.amdhsa_reserve_vcc 1
		.amdhsa_float_round_mode_32 0
		.amdhsa_float_round_mode_16_64 0
		.amdhsa_float_denorm_mode_32 3
		.amdhsa_float_denorm_mode_16_64 3
		.amdhsa_fp16_overflow 0
		.amdhsa_memory_ordered 1
		.amdhsa_forward_progress 1
		.amdhsa_inst_pref_size 7
		.amdhsa_round_robin_scheduling 0
		.amdhsa_exception_fp_ieee_invalid_op 0
		.amdhsa_exception_fp_denorm_src 0
		.amdhsa_exception_fp_ieee_div_zero 0
		.amdhsa_exception_fp_ieee_overflow 0
		.amdhsa_exception_fp_ieee_underflow 0
		.amdhsa_exception_fp_ieee_inexact 0
		.amdhsa_exception_int_div_zero 0
	.end_amdhsa_kernel
	.section	.text._ZN9rocsparseL21csrmvt_general_kernelILj256ELj8EllaaffEEvbbT2_NS_24const_host_device_scalarIT6_EEPKT1_S7_PKS1_PKT3_PKT4_PT5_21rocsparse_index_base_b,"axG",@progbits,_ZN9rocsparseL21csrmvt_general_kernelILj256ELj8EllaaffEEvbbT2_NS_24const_host_device_scalarIT6_EEPKT1_S7_PKS1_PKT3_PKT4_PT5_21rocsparse_index_base_b,comdat
.Lfunc_end194:
	.size	_ZN9rocsparseL21csrmvt_general_kernelILj256ELj8EllaaffEEvbbT2_NS_24const_host_device_scalarIT6_EEPKT1_S7_PKS1_PKT3_PKT4_PT5_21rocsparse_index_base_b, .Lfunc_end194-_ZN9rocsparseL21csrmvt_general_kernelILj256ELj8EllaaffEEvbbT2_NS_24const_host_device_scalarIT6_EEPKT1_S7_PKS1_PKT3_PKT4_PT5_21rocsparse_index_base_b
                                        ; -- End function
	.set _ZN9rocsparseL21csrmvt_general_kernelILj256ELj8EllaaffEEvbbT2_NS_24const_host_device_scalarIT6_EEPKT1_S7_PKS1_PKT3_PKT4_PT5_21rocsparse_index_base_b.num_vgpr, 19
	.set _ZN9rocsparseL21csrmvt_general_kernelILj256ELj8EllaaffEEvbbT2_NS_24const_host_device_scalarIT6_EEPKT1_S7_PKS1_PKT3_PKT4_PT5_21rocsparse_index_base_b.num_agpr, 0
	.set _ZN9rocsparseL21csrmvt_general_kernelILj256ELj8EllaaffEEvbbT2_NS_24const_host_device_scalarIT6_EEPKT1_S7_PKS1_PKT3_PKT4_PT5_21rocsparse_index_base_b.numbered_sgpr, 24
	.set _ZN9rocsparseL21csrmvt_general_kernelILj256ELj8EllaaffEEvbbT2_NS_24const_host_device_scalarIT6_EEPKT1_S7_PKS1_PKT3_PKT4_PT5_21rocsparse_index_base_b.num_named_barrier, 0
	.set _ZN9rocsparseL21csrmvt_general_kernelILj256ELj8EllaaffEEvbbT2_NS_24const_host_device_scalarIT6_EEPKT1_S7_PKS1_PKT3_PKT4_PT5_21rocsparse_index_base_b.private_seg_size, 0
	.set _ZN9rocsparseL21csrmvt_general_kernelILj256ELj8EllaaffEEvbbT2_NS_24const_host_device_scalarIT6_EEPKT1_S7_PKS1_PKT3_PKT4_PT5_21rocsparse_index_base_b.uses_vcc, 1
	.set _ZN9rocsparseL21csrmvt_general_kernelILj256ELj8EllaaffEEvbbT2_NS_24const_host_device_scalarIT6_EEPKT1_S7_PKS1_PKT3_PKT4_PT5_21rocsparse_index_base_b.uses_flat_scratch, 0
	.set _ZN9rocsparseL21csrmvt_general_kernelILj256ELj8EllaaffEEvbbT2_NS_24const_host_device_scalarIT6_EEPKT1_S7_PKS1_PKT3_PKT4_PT5_21rocsparse_index_base_b.has_dyn_sized_stack, 0
	.set _ZN9rocsparseL21csrmvt_general_kernelILj256ELj8EllaaffEEvbbT2_NS_24const_host_device_scalarIT6_EEPKT1_S7_PKS1_PKT3_PKT4_PT5_21rocsparse_index_base_b.has_recursion, 0
	.set _ZN9rocsparseL21csrmvt_general_kernelILj256ELj8EllaaffEEvbbT2_NS_24const_host_device_scalarIT6_EEPKT1_S7_PKS1_PKT3_PKT4_PT5_21rocsparse_index_base_b.has_indirect_call, 0
	.section	.AMDGPU.csdata,"",@progbits
; Kernel info:
; codeLenInByte = 880
; TotalNumSgprs: 26
; NumVgprs: 19
; ScratchSize: 0
; MemoryBound: 0
; FloatMode: 240
; IeeeMode: 1
; LDSByteSize: 0 bytes/workgroup (compile time only)
; SGPRBlocks: 0
; VGPRBlocks: 1
; NumSGPRsForWavesPerEU: 26
; NumVGPRsForWavesPerEU: 19
; NamedBarCnt: 0
; Occupancy: 16
; WaveLimiterHint : 1
; COMPUTE_PGM_RSRC2:SCRATCH_EN: 0
; COMPUTE_PGM_RSRC2:USER_SGPR: 2
; COMPUTE_PGM_RSRC2:TRAP_HANDLER: 0
; COMPUTE_PGM_RSRC2:TGID_X_EN: 1
; COMPUTE_PGM_RSRC2:TGID_Y_EN: 0
; COMPUTE_PGM_RSRC2:TGID_Z_EN: 0
; COMPUTE_PGM_RSRC2:TIDIG_COMP_CNT: 0
	.section	.text._ZN9rocsparseL21csrmvt_general_kernelILj256ELj16EllaaffEEvbbT2_NS_24const_host_device_scalarIT6_EEPKT1_S7_PKS1_PKT3_PKT4_PT5_21rocsparse_index_base_b,"axG",@progbits,_ZN9rocsparseL21csrmvt_general_kernelILj256ELj16EllaaffEEvbbT2_NS_24const_host_device_scalarIT6_EEPKT1_S7_PKS1_PKT3_PKT4_PT5_21rocsparse_index_base_b,comdat
	.globl	_ZN9rocsparseL21csrmvt_general_kernelILj256ELj16EllaaffEEvbbT2_NS_24const_host_device_scalarIT6_EEPKT1_S7_PKS1_PKT3_PKT4_PT5_21rocsparse_index_base_b ; -- Begin function _ZN9rocsparseL21csrmvt_general_kernelILj256ELj16EllaaffEEvbbT2_NS_24const_host_device_scalarIT6_EEPKT1_S7_PKS1_PKT3_PKT4_PT5_21rocsparse_index_base_b
	.p2align	8
	.type	_ZN9rocsparseL21csrmvt_general_kernelILj256ELj16EllaaffEEvbbT2_NS_24const_host_device_scalarIT6_EEPKT1_S7_PKS1_PKT3_PKT4_PT5_21rocsparse_index_base_b,@function
_ZN9rocsparseL21csrmvt_general_kernelILj256ELj16EllaaffEEvbbT2_NS_24const_host_device_scalarIT6_EEPKT1_S7_PKS1_PKT3_PKT4_PT5_21rocsparse_index_base_b: ; @_ZN9rocsparseL21csrmvt_general_kernelILj256ELj16EllaaffEEvbbT2_NS_24const_host_device_scalarIT6_EEPKT1_S7_PKS1_PKT3_PKT4_PT5_21rocsparse_index_base_b
; %bb.0:
	s_clause 0x1
	s_load_b64 s[2:3], s[0:1], 0x48
	s_load_b256 s[4:11], s[0:1], 0x8
	s_wait_kmcnt 0x0
	s_bitcmp1_b32 s3, 0
	s_cselect_b32 s3, -1, 0
	s_delay_alu instid0(SALU_CYCLE_1)
	s_and_b32 vcc_lo, exec_lo, s3
	s_cbranch_vccnz .LBB195_2
; %bb.1:
	s_load_b32 s6, s[6:7], 0x0
.LBB195_2:
	s_wait_kmcnt 0x0
	s_cmp_eq_f32 s6, 0
	s_mov_b32 s21, 0
	s_cbranch_scc1 .LBB195_20
; %bb.3:
	s_clause 0x1
	s_load_b32 s3, s[0:1], 0x0
	s_load_b32 s7, s[0:1], 0x50
	s_bfe_u32 s12, ttmp6, 0x4000c
	s_and_b32 s13, ttmp6, 15
	s_add_co_i32 s12, s12, 1
	s_getreg_b32 s14, hwreg(HW_REG_IB_STS2, 6, 4)
	s_mul_i32 s12, ttmp9, s12
	v_mov_b32_e32 v3, 0
	s_add_co_i32 s22, s13, s12
	s_wait_kmcnt 0x0
	s_and_b32 s3, s3, 1
	s_lshl_b32 s20, s7, 4
	s_cmp_eq_u32 s14, 0
	s_load_b256 s[12:19], s[0:1], 0x28
	s_wait_xcnt 0x0
	s_cselect_b32 s0, ttmp9, s22
	s_cmp_eq_u32 s3, 0
	v_lshl_or_b32 v1, s0, 8, v0
	v_and_b32_e32 v0, 15, v0
	s_mov_b32 s1, -1
	s_delay_alu instid0(VALU_DEP_2) | instskip(NEXT) | instid1(VALU_DEP_1)
	v_lshrrev_b32_e32 v2, 4, v1
	v_cmp_gt_i64_e64 s0, s[4:5], v[2:3]
	s_cbranch_scc0 .LBB195_11
; %bb.4:
	s_and_saveexec_b32 s1, s0
	s_cbranch_execz .LBB195_10
; %bb.5:
	v_mov_b32_e32 v1, 0
	s_mov_b32 s3, 0
	v_mov_b64_e32 v[6:7], v[2:3]
	s_mov_b32 s7, s3
	s_delay_alu instid0(VALU_DEP_2)
	v_sub_nc_u64_e64 v[4:5], v[0:1], s[2:3]
	s_branch .LBB195_7
.LBB195_6:                              ;   in Loop: Header=BB195_7 Depth=1
	s_or_b32 exec_lo, exec_lo, s22
	v_add_nc_u64_e32 v[6:7], s[20:21], v[6:7]
	s_delay_alu instid0(VALU_DEP_1) | instskip(SKIP_1) | instid1(SALU_CYCLE_1)
	v_cmp_le_i64_e32 vcc_lo, s[4:5], v[6:7]
	s_or_b32 s7, vcc_lo, s7
	s_and_not1_b32 exec_lo, exec_lo, s7
	s_cbranch_execz .LBB195_10
.LBB195_7:                              ; =>This Loop Header: Depth=1
                                        ;     Child Loop BB195_9 Depth 2
	s_delay_alu instid0(VALU_DEP_2) | instskip(SKIP_1) | instid1(VALU_DEP_1)
	v_lshlrev_b64_e32 v[8:9], 3, v[6:7]
	s_mov_b32 s22, exec_lo
	v_add_nc_u64_e32 v[10:11], s[10:11], v[8:9]
	v_add_nc_u64_e32 v[8:9], s[8:9], v[8:9]
	global_load_b64 v[12:13], v[10:11], off
	global_load_b64 v[14:15], v[8:9], off
	s_wait_loadcnt 0x1
	s_wait_xcnt 0x0
	v_sub_nc_u64_e64 v[8:9], v[12:13], s[2:3]
	s_wait_loadcnt 0x0
	v_add_nc_u64_e32 v[10:11], v[14:15], v[4:5]
	s_delay_alu instid0(VALU_DEP_1)
	v_cmpx_lt_i64_e64 v[10:11], v[8:9]
	s_cbranch_execz .LBB195_6
; %bb.8:                                ;   in Loop: Header=BB195_7 Depth=1
	s_wait_kmcnt 0x0
	v_add_nc_u64_e32 v[12:13], s[16:17], v[6:7]
	s_mov_b32 s23, 0
	global_load_i8 v1, v[12:13], off
	s_wait_xcnt 0x0
	v_lshl_add_u64 v[12:13], v[10:11], 3, s[12:13]
	s_wait_loadcnt 0x0
	v_cvt_f32_i32_e32 v1, v1
	s_delay_alu instid0(VALU_DEP_1)
	v_mul_f32_e32 v1, s6, v1
.LBB195_9:                              ;   Parent Loop BB195_7 Depth=1
                                        ; =>  This Inner Loop Header: Depth=2
	v_add_nc_u64_e32 v[14:15], s[14:15], v[10:11]
	v_add_nc_u64_e32 v[10:11], 16, v[10:11]
	global_load_b64 v[16:17], v[12:13], off
	global_load_i8 v18, v[14:15], off
	s_wait_xcnt 0x1
	v_add_nc_u64_e32 v[12:13], 0x80, v[12:13]
	v_cmp_ge_i64_e32 vcc_lo, v[10:11], v[8:9]
	s_or_b32 s23, vcc_lo, s23
	s_wait_loadcnt 0x1
	s_wait_xcnt 0x0
	v_sub_nc_u64_e64 v[14:15], v[16:17], s[2:3]
	s_wait_loadcnt 0x0
	v_cvt_f32_i32_e32 v16, v18
	s_delay_alu instid0(VALU_DEP_1) | instskip(NEXT) | instid1(VALU_DEP_3)
	v_mul_f32_e32 v16, v1, v16
	v_lshl_add_u64 v[14:15], v[14:15], 2, s[18:19]
	global_atomic_add_f32 v[14:15], v16, off scope:SCOPE_DEV
	s_wait_xcnt 0x0
	s_and_not1_b32 exec_lo, exec_lo, s23
	s_cbranch_execnz .LBB195_9
	s_branch .LBB195_6
.LBB195_10:
	s_or_b32 exec_lo, exec_lo, s1
	s_mov_b32 s1, 0
.LBB195_11:
	s_delay_alu instid0(SALU_CYCLE_1)
	s_and_not1_b32 vcc_lo, exec_lo, s1
	s_cbranch_vccnz .LBB195_20
; %bb.12:
	s_and_saveexec_b32 s1, s0
	s_cbranch_execz .LBB195_20
; %bb.13:
	v_mov_b32_e32 v1, 0
	s_mov_b32 s3, 0
	s_delay_alu instid0(SALU_CYCLE_1) | instskip(NEXT) | instid1(VALU_DEP_1)
	s_mov_b32 s0, s3
	v_sub_nc_u64_e64 v[0:1], v[0:1], s[2:3]
	s_branch .LBB195_15
.LBB195_14:                             ;   in Loop: Header=BB195_15 Depth=1
	s_or_b32 exec_lo, exec_lo, s1
	v_add_nc_u64_e32 v[2:3], s[20:21], v[2:3]
	s_delay_alu instid0(VALU_DEP_1) | instskip(SKIP_1) | instid1(SALU_CYCLE_1)
	v_cmp_le_i64_e32 vcc_lo, s[4:5], v[2:3]
	s_or_b32 s0, vcc_lo, s0
	s_and_not1_b32 exec_lo, exec_lo, s0
	s_cbranch_execz .LBB195_20
.LBB195_15:                             ; =>This Loop Header: Depth=1
                                        ;     Child Loop BB195_18 Depth 2
	v_lshlrev_b64_e32 v[4:5], 3, v[2:3]
	s_mov_b32 s1, exec_lo
	s_delay_alu instid0(VALU_DEP_1)
	v_add_nc_u64_e32 v[6:7], s[10:11], v[4:5]
	v_add_nc_u64_e32 v[4:5], s[8:9], v[4:5]
	global_load_b64 v[8:9], v[6:7], off
	global_load_b64 v[10:11], v[4:5], off
	s_wait_loadcnt 0x1
	s_wait_xcnt 0x0
	v_sub_nc_u64_e64 v[4:5], v[8:9], s[2:3]
	s_wait_loadcnt 0x0
	v_add_nc_u64_e32 v[6:7], v[10:11], v[0:1]
	s_delay_alu instid0(VALU_DEP_1)
	v_cmpx_lt_i64_e64 v[6:7], v[4:5]
	s_cbranch_execz .LBB195_14
; %bb.16:                               ;   in Loop: Header=BB195_15 Depth=1
	s_wait_kmcnt 0x0
	v_add_nc_u64_e32 v[8:9], s[16:17], v[2:3]
	s_mov_b32 s7, 0
	global_load_i8 v8, v[8:9], off
	s_wait_loadcnt 0x0
	v_cvt_f32_i32_e32 v8, v8
	s_delay_alu instid0(VALU_DEP_1)
	v_mul_f32_e32 v12, s6, v8
	v_lshl_add_u64 v[8:9], v[6:7], 3, s[12:13]
	s_branch .LBB195_18
.LBB195_17:                             ;   in Loop: Header=BB195_18 Depth=2
	s_wait_xcnt 0x0
	s_or_b32 exec_lo, exec_lo, s22
	v_add_nc_u64_e32 v[6:7], 16, v[6:7]
	v_add_nc_u64_e32 v[8:9], 0x80, v[8:9]
	s_delay_alu instid0(VALU_DEP_2) | instskip(SKIP_1) | instid1(SALU_CYCLE_1)
	v_cmp_ge_i64_e32 vcc_lo, v[6:7], v[4:5]
	s_or_b32 s7, vcc_lo, s7
	s_and_not1_b32 exec_lo, exec_lo, s7
	s_cbranch_execz .LBB195_14
.LBB195_18:                             ;   Parent Loop BB195_15 Depth=1
                                        ; =>  This Inner Loop Header: Depth=2
	global_load_b64 v[10:11], v[8:9], off
	s_mov_b32 s22, exec_lo
	s_wait_loadcnt 0x0
	v_sub_nc_u64_e64 v[10:11], v[10:11], s[2:3]
	s_wait_xcnt 0x0
	s_delay_alu instid0(VALU_DEP_1)
	v_cmpx_ne_u64_e64 v[10:11], v[2:3]
	s_cbranch_execz .LBB195_17
; %bb.19:                               ;   in Loop: Header=BB195_18 Depth=2
	v_add_nc_u64_e32 v[14:15], s[14:15], v[6:7]
	v_lshl_add_u64 v[10:11], v[10:11], 2, s[18:19]
	global_load_i8 v13, v[14:15], off
	s_wait_loadcnt 0x0
	v_cvt_f32_i32_e32 v13, v13
	s_delay_alu instid0(VALU_DEP_1)
	v_mul_f32_e32 v13, v12, v13
	s_wait_xcnt 0x0
	global_atomic_add_f32 v[10:11], v13, off scope:SCOPE_DEV
	s_branch .LBB195_17
.LBB195_20:
	s_endpgm
	.section	.rodata,"a",@progbits
	.p2align	6, 0x0
	.amdhsa_kernel _ZN9rocsparseL21csrmvt_general_kernelILj256ELj16EllaaffEEvbbT2_NS_24const_host_device_scalarIT6_EEPKT1_S7_PKS1_PKT3_PKT4_PT5_21rocsparse_index_base_b
		.amdhsa_group_segment_fixed_size 0
		.amdhsa_private_segment_fixed_size 0
		.amdhsa_kernarg_size 336
		.amdhsa_user_sgpr_count 2
		.amdhsa_user_sgpr_dispatch_ptr 0
		.amdhsa_user_sgpr_queue_ptr 0
		.amdhsa_user_sgpr_kernarg_segment_ptr 1
		.amdhsa_user_sgpr_dispatch_id 0
		.amdhsa_user_sgpr_kernarg_preload_length 0
		.amdhsa_user_sgpr_kernarg_preload_offset 0
		.amdhsa_user_sgpr_private_segment_size 0
		.amdhsa_wavefront_size32 1
		.amdhsa_uses_dynamic_stack 0
		.amdhsa_enable_private_segment 0
		.amdhsa_system_sgpr_workgroup_id_x 1
		.amdhsa_system_sgpr_workgroup_id_y 0
		.amdhsa_system_sgpr_workgroup_id_z 0
		.amdhsa_system_sgpr_workgroup_info 0
		.amdhsa_system_vgpr_workitem_id 0
		.amdhsa_next_free_vgpr 19
		.amdhsa_next_free_sgpr 24
		.amdhsa_named_barrier_count 0
		.amdhsa_reserve_vcc 1
		.amdhsa_float_round_mode_32 0
		.amdhsa_float_round_mode_16_64 0
		.amdhsa_float_denorm_mode_32 3
		.amdhsa_float_denorm_mode_16_64 3
		.amdhsa_fp16_overflow 0
		.amdhsa_memory_ordered 1
		.amdhsa_forward_progress 1
		.amdhsa_inst_pref_size 7
		.amdhsa_round_robin_scheduling 0
		.amdhsa_exception_fp_ieee_invalid_op 0
		.amdhsa_exception_fp_denorm_src 0
		.amdhsa_exception_fp_ieee_div_zero 0
		.amdhsa_exception_fp_ieee_overflow 0
		.amdhsa_exception_fp_ieee_underflow 0
		.amdhsa_exception_fp_ieee_inexact 0
		.amdhsa_exception_int_div_zero 0
	.end_amdhsa_kernel
	.section	.text._ZN9rocsparseL21csrmvt_general_kernelILj256ELj16EllaaffEEvbbT2_NS_24const_host_device_scalarIT6_EEPKT1_S7_PKS1_PKT3_PKT4_PT5_21rocsparse_index_base_b,"axG",@progbits,_ZN9rocsparseL21csrmvt_general_kernelILj256ELj16EllaaffEEvbbT2_NS_24const_host_device_scalarIT6_EEPKT1_S7_PKS1_PKT3_PKT4_PT5_21rocsparse_index_base_b,comdat
.Lfunc_end195:
	.size	_ZN9rocsparseL21csrmvt_general_kernelILj256ELj16EllaaffEEvbbT2_NS_24const_host_device_scalarIT6_EEPKT1_S7_PKS1_PKT3_PKT4_PT5_21rocsparse_index_base_b, .Lfunc_end195-_ZN9rocsparseL21csrmvt_general_kernelILj256ELj16EllaaffEEvbbT2_NS_24const_host_device_scalarIT6_EEPKT1_S7_PKS1_PKT3_PKT4_PT5_21rocsparse_index_base_b
                                        ; -- End function
	.set _ZN9rocsparseL21csrmvt_general_kernelILj256ELj16EllaaffEEvbbT2_NS_24const_host_device_scalarIT6_EEPKT1_S7_PKS1_PKT3_PKT4_PT5_21rocsparse_index_base_b.num_vgpr, 19
	.set _ZN9rocsparseL21csrmvt_general_kernelILj256ELj16EllaaffEEvbbT2_NS_24const_host_device_scalarIT6_EEPKT1_S7_PKS1_PKT3_PKT4_PT5_21rocsparse_index_base_b.num_agpr, 0
	.set _ZN9rocsparseL21csrmvt_general_kernelILj256ELj16EllaaffEEvbbT2_NS_24const_host_device_scalarIT6_EEPKT1_S7_PKS1_PKT3_PKT4_PT5_21rocsparse_index_base_b.numbered_sgpr, 24
	.set _ZN9rocsparseL21csrmvt_general_kernelILj256ELj16EllaaffEEvbbT2_NS_24const_host_device_scalarIT6_EEPKT1_S7_PKS1_PKT3_PKT4_PT5_21rocsparse_index_base_b.num_named_barrier, 0
	.set _ZN9rocsparseL21csrmvt_general_kernelILj256ELj16EllaaffEEvbbT2_NS_24const_host_device_scalarIT6_EEPKT1_S7_PKS1_PKT3_PKT4_PT5_21rocsparse_index_base_b.private_seg_size, 0
	.set _ZN9rocsparseL21csrmvt_general_kernelILj256ELj16EllaaffEEvbbT2_NS_24const_host_device_scalarIT6_EEPKT1_S7_PKS1_PKT3_PKT4_PT5_21rocsparse_index_base_b.uses_vcc, 1
	.set _ZN9rocsparseL21csrmvt_general_kernelILj256ELj16EllaaffEEvbbT2_NS_24const_host_device_scalarIT6_EEPKT1_S7_PKS1_PKT3_PKT4_PT5_21rocsparse_index_base_b.uses_flat_scratch, 0
	.set _ZN9rocsparseL21csrmvt_general_kernelILj256ELj16EllaaffEEvbbT2_NS_24const_host_device_scalarIT6_EEPKT1_S7_PKS1_PKT3_PKT4_PT5_21rocsparse_index_base_b.has_dyn_sized_stack, 0
	.set _ZN9rocsparseL21csrmvt_general_kernelILj256ELj16EllaaffEEvbbT2_NS_24const_host_device_scalarIT6_EEPKT1_S7_PKS1_PKT3_PKT4_PT5_21rocsparse_index_base_b.has_recursion, 0
	.set _ZN9rocsparseL21csrmvt_general_kernelILj256ELj16EllaaffEEvbbT2_NS_24const_host_device_scalarIT6_EEPKT1_S7_PKS1_PKT3_PKT4_PT5_21rocsparse_index_base_b.has_indirect_call, 0
	.section	.AMDGPU.csdata,"",@progbits
; Kernel info:
; codeLenInByte = 888
; TotalNumSgprs: 26
; NumVgprs: 19
; ScratchSize: 0
; MemoryBound: 0
; FloatMode: 240
; IeeeMode: 1
; LDSByteSize: 0 bytes/workgroup (compile time only)
; SGPRBlocks: 0
; VGPRBlocks: 1
; NumSGPRsForWavesPerEU: 26
; NumVGPRsForWavesPerEU: 19
; NamedBarCnt: 0
; Occupancy: 16
; WaveLimiterHint : 1
; COMPUTE_PGM_RSRC2:SCRATCH_EN: 0
; COMPUTE_PGM_RSRC2:USER_SGPR: 2
; COMPUTE_PGM_RSRC2:TRAP_HANDLER: 0
; COMPUTE_PGM_RSRC2:TGID_X_EN: 1
; COMPUTE_PGM_RSRC2:TGID_Y_EN: 0
; COMPUTE_PGM_RSRC2:TGID_Z_EN: 0
; COMPUTE_PGM_RSRC2:TIDIG_COMP_CNT: 0
	.section	.text._ZN9rocsparseL21csrmvt_general_kernelILj256ELj32EllaaffEEvbbT2_NS_24const_host_device_scalarIT6_EEPKT1_S7_PKS1_PKT3_PKT4_PT5_21rocsparse_index_base_b,"axG",@progbits,_ZN9rocsparseL21csrmvt_general_kernelILj256ELj32EllaaffEEvbbT2_NS_24const_host_device_scalarIT6_EEPKT1_S7_PKS1_PKT3_PKT4_PT5_21rocsparse_index_base_b,comdat
	.globl	_ZN9rocsparseL21csrmvt_general_kernelILj256ELj32EllaaffEEvbbT2_NS_24const_host_device_scalarIT6_EEPKT1_S7_PKS1_PKT3_PKT4_PT5_21rocsparse_index_base_b ; -- Begin function _ZN9rocsparseL21csrmvt_general_kernelILj256ELj32EllaaffEEvbbT2_NS_24const_host_device_scalarIT6_EEPKT1_S7_PKS1_PKT3_PKT4_PT5_21rocsparse_index_base_b
	.p2align	8
	.type	_ZN9rocsparseL21csrmvt_general_kernelILj256ELj32EllaaffEEvbbT2_NS_24const_host_device_scalarIT6_EEPKT1_S7_PKS1_PKT3_PKT4_PT5_21rocsparse_index_base_b,@function
_ZN9rocsparseL21csrmvt_general_kernelILj256ELj32EllaaffEEvbbT2_NS_24const_host_device_scalarIT6_EEPKT1_S7_PKS1_PKT3_PKT4_PT5_21rocsparse_index_base_b: ; @_ZN9rocsparseL21csrmvt_general_kernelILj256ELj32EllaaffEEvbbT2_NS_24const_host_device_scalarIT6_EEPKT1_S7_PKS1_PKT3_PKT4_PT5_21rocsparse_index_base_b
; %bb.0:
	s_clause 0x1
	s_load_b64 s[2:3], s[0:1], 0x48
	s_load_b256 s[4:11], s[0:1], 0x8
	s_wait_kmcnt 0x0
	s_bitcmp1_b32 s3, 0
	s_cselect_b32 s3, -1, 0
	s_delay_alu instid0(SALU_CYCLE_1)
	s_and_b32 vcc_lo, exec_lo, s3
	s_cbranch_vccnz .LBB196_2
; %bb.1:
	s_load_b32 s6, s[6:7], 0x0
.LBB196_2:
	s_wait_kmcnt 0x0
	s_cmp_eq_f32 s6, 0
	s_mov_b32 s21, 0
	s_cbranch_scc1 .LBB196_20
; %bb.3:
	s_clause 0x1
	s_load_b32 s3, s[0:1], 0x0
	s_load_b32 s7, s[0:1], 0x50
	s_bfe_u32 s12, ttmp6, 0x4000c
	s_and_b32 s13, ttmp6, 15
	s_add_co_i32 s12, s12, 1
	s_getreg_b32 s14, hwreg(HW_REG_IB_STS2, 6, 4)
	s_mul_i32 s12, ttmp9, s12
	v_mov_b32_e32 v3, 0
	s_add_co_i32 s22, s13, s12
	s_wait_kmcnt 0x0
	s_and_b32 s3, s3, 1
	s_lshl_b32 s20, s7, 3
	s_cmp_eq_u32 s14, 0
	s_load_b256 s[12:19], s[0:1], 0x28
	s_wait_xcnt 0x0
	s_cselect_b32 s0, ttmp9, s22
	s_cmp_eq_u32 s3, 0
	v_lshl_or_b32 v1, s0, 8, v0
	v_and_b32_e32 v0, 31, v0
	s_mov_b32 s1, -1
	s_delay_alu instid0(VALU_DEP_2) | instskip(NEXT) | instid1(VALU_DEP_1)
	v_lshrrev_b32_e32 v2, 5, v1
	v_cmp_gt_i64_e64 s0, s[4:5], v[2:3]
	s_cbranch_scc0 .LBB196_11
; %bb.4:
	s_and_saveexec_b32 s1, s0
	s_cbranch_execz .LBB196_10
; %bb.5:
	v_mov_b32_e32 v1, 0
	s_mov_b32 s3, 0
	v_mov_b64_e32 v[6:7], v[2:3]
	s_mov_b32 s7, s3
	s_delay_alu instid0(VALU_DEP_2)
	v_sub_nc_u64_e64 v[4:5], v[0:1], s[2:3]
	s_branch .LBB196_7
.LBB196_6:                              ;   in Loop: Header=BB196_7 Depth=1
	s_or_b32 exec_lo, exec_lo, s22
	v_add_nc_u64_e32 v[6:7], s[20:21], v[6:7]
	s_delay_alu instid0(VALU_DEP_1) | instskip(SKIP_1) | instid1(SALU_CYCLE_1)
	v_cmp_le_i64_e32 vcc_lo, s[4:5], v[6:7]
	s_or_b32 s7, vcc_lo, s7
	s_and_not1_b32 exec_lo, exec_lo, s7
	s_cbranch_execz .LBB196_10
.LBB196_7:                              ; =>This Loop Header: Depth=1
                                        ;     Child Loop BB196_9 Depth 2
	s_delay_alu instid0(VALU_DEP_2) | instskip(SKIP_1) | instid1(VALU_DEP_1)
	v_lshlrev_b64_e32 v[8:9], 3, v[6:7]
	s_mov_b32 s22, exec_lo
	v_add_nc_u64_e32 v[10:11], s[10:11], v[8:9]
	v_add_nc_u64_e32 v[8:9], s[8:9], v[8:9]
	global_load_b64 v[12:13], v[10:11], off
	global_load_b64 v[14:15], v[8:9], off
	s_wait_loadcnt 0x1
	s_wait_xcnt 0x0
	v_sub_nc_u64_e64 v[8:9], v[12:13], s[2:3]
	s_wait_loadcnt 0x0
	v_add_nc_u64_e32 v[10:11], v[14:15], v[4:5]
	s_delay_alu instid0(VALU_DEP_1)
	v_cmpx_lt_i64_e64 v[10:11], v[8:9]
	s_cbranch_execz .LBB196_6
; %bb.8:                                ;   in Loop: Header=BB196_7 Depth=1
	s_wait_kmcnt 0x0
	v_add_nc_u64_e32 v[12:13], s[16:17], v[6:7]
	s_mov_b32 s23, 0
	global_load_i8 v1, v[12:13], off
	s_wait_xcnt 0x0
	v_lshl_add_u64 v[12:13], v[10:11], 3, s[12:13]
	s_wait_loadcnt 0x0
	v_cvt_f32_i32_e32 v1, v1
	s_delay_alu instid0(VALU_DEP_1)
	v_mul_f32_e32 v1, s6, v1
.LBB196_9:                              ;   Parent Loop BB196_7 Depth=1
                                        ; =>  This Inner Loop Header: Depth=2
	v_add_nc_u64_e32 v[14:15], s[14:15], v[10:11]
	v_add_nc_u64_e32 v[10:11], 32, v[10:11]
	global_load_b64 v[16:17], v[12:13], off
	global_load_i8 v18, v[14:15], off
	s_wait_xcnt 0x1
	v_add_nc_u64_e32 v[12:13], 0x100, v[12:13]
	v_cmp_ge_i64_e32 vcc_lo, v[10:11], v[8:9]
	s_or_b32 s23, vcc_lo, s23
	s_wait_loadcnt 0x1
	s_wait_xcnt 0x0
	v_sub_nc_u64_e64 v[14:15], v[16:17], s[2:3]
	s_wait_loadcnt 0x0
	v_cvt_f32_i32_e32 v16, v18
	s_delay_alu instid0(VALU_DEP_1) | instskip(NEXT) | instid1(VALU_DEP_3)
	v_mul_f32_e32 v16, v1, v16
	v_lshl_add_u64 v[14:15], v[14:15], 2, s[18:19]
	global_atomic_add_f32 v[14:15], v16, off scope:SCOPE_DEV
	s_wait_xcnt 0x0
	s_and_not1_b32 exec_lo, exec_lo, s23
	s_cbranch_execnz .LBB196_9
	s_branch .LBB196_6
.LBB196_10:
	s_or_b32 exec_lo, exec_lo, s1
	s_mov_b32 s1, 0
.LBB196_11:
	s_delay_alu instid0(SALU_CYCLE_1)
	s_and_not1_b32 vcc_lo, exec_lo, s1
	s_cbranch_vccnz .LBB196_20
; %bb.12:
	s_and_saveexec_b32 s1, s0
	s_cbranch_execz .LBB196_20
; %bb.13:
	v_mov_b32_e32 v1, 0
	s_mov_b32 s3, 0
	s_delay_alu instid0(SALU_CYCLE_1) | instskip(NEXT) | instid1(VALU_DEP_1)
	s_mov_b32 s0, s3
	v_sub_nc_u64_e64 v[0:1], v[0:1], s[2:3]
	s_branch .LBB196_15
.LBB196_14:                             ;   in Loop: Header=BB196_15 Depth=1
	s_or_b32 exec_lo, exec_lo, s1
	v_add_nc_u64_e32 v[2:3], s[20:21], v[2:3]
	s_delay_alu instid0(VALU_DEP_1) | instskip(SKIP_1) | instid1(SALU_CYCLE_1)
	v_cmp_le_i64_e32 vcc_lo, s[4:5], v[2:3]
	s_or_b32 s0, vcc_lo, s0
	s_and_not1_b32 exec_lo, exec_lo, s0
	s_cbranch_execz .LBB196_20
.LBB196_15:                             ; =>This Loop Header: Depth=1
                                        ;     Child Loop BB196_18 Depth 2
	v_lshlrev_b64_e32 v[4:5], 3, v[2:3]
	s_mov_b32 s1, exec_lo
	s_delay_alu instid0(VALU_DEP_1)
	v_add_nc_u64_e32 v[6:7], s[10:11], v[4:5]
	v_add_nc_u64_e32 v[4:5], s[8:9], v[4:5]
	global_load_b64 v[8:9], v[6:7], off
	global_load_b64 v[10:11], v[4:5], off
	s_wait_loadcnt 0x1
	s_wait_xcnt 0x0
	v_sub_nc_u64_e64 v[4:5], v[8:9], s[2:3]
	s_wait_loadcnt 0x0
	v_add_nc_u64_e32 v[6:7], v[10:11], v[0:1]
	s_delay_alu instid0(VALU_DEP_1)
	v_cmpx_lt_i64_e64 v[6:7], v[4:5]
	s_cbranch_execz .LBB196_14
; %bb.16:                               ;   in Loop: Header=BB196_15 Depth=1
	s_wait_kmcnt 0x0
	v_add_nc_u64_e32 v[8:9], s[16:17], v[2:3]
	s_mov_b32 s7, 0
	global_load_i8 v8, v[8:9], off
	s_wait_loadcnt 0x0
	v_cvt_f32_i32_e32 v8, v8
	s_delay_alu instid0(VALU_DEP_1)
	v_mul_f32_e32 v12, s6, v8
	v_lshl_add_u64 v[8:9], v[6:7], 3, s[12:13]
	s_branch .LBB196_18
.LBB196_17:                             ;   in Loop: Header=BB196_18 Depth=2
	s_wait_xcnt 0x0
	s_or_b32 exec_lo, exec_lo, s22
	v_add_nc_u64_e32 v[6:7], 32, v[6:7]
	v_add_nc_u64_e32 v[8:9], 0x100, v[8:9]
	s_delay_alu instid0(VALU_DEP_2) | instskip(SKIP_1) | instid1(SALU_CYCLE_1)
	v_cmp_ge_i64_e32 vcc_lo, v[6:7], v[4:5]
	s_or_b32 s7, vcc_lo, s7
	s_and_not1_b32 exec_lo, exec_lo, s7
	s_cbranch_execz .LBB196_14
.LBB196_18:                             ;   Parent Loop BB196_15 Depth=1
                                        ; =>  This Inner Loop Header: Depth=2
	global_load_b64 v[10:11], v[8:9], off
	s_mov_b32 s22, exec_lo
	s_wait_loadcnt 0x0
	v_sub_nc_u64_e64 v[10:11], v[10:11], s[2:3]
	s_wait_xcnt 0x0
	s_delay_alu instid0(VALU_DEP_1)
	v_cmpx_ne_u64_e64 v[10:11], v[2:3]
	s_cbranch_execz .LBB196_17
; %bb.19:                               ;   in Loop: Header=BB196_18 Depth=2
	v_add_nc_u64_e32 v[14:15], s[14:15], v[6:7]
	v_lshl_add_u64 v[10:11], v[10:11], 2, s[18:19]
	global_load_i8 v13, v[14:15], off
	s_wait_loadcnt 0x0
	v_cvt_f32_i32_e32 v13, v13
	s_delay_alu instid0(VALU_DEP_1)
	v_mul_f32_e32 v13, v12, v13
	s_wait_xcnt 0x0
	global_atomic_add_f32 v[10:11], v13, off scope:SCOPE_DEV
	s_branch .LBB196_17
.LBB196_20:
	s_endpgm
	.section	.rodata,"a",@progbits
	.p2align	6, 0x0
	.amdhsa_kernel _ZN9rocsparseL21csrmvt_general_kernelILj256ELj32EllaaffEEvbbT2_NS_24const_host_device_scalarIT6_EEPKT1_S7_PKS1_PKT3_PKT4_PT5_21rocsparse_index_base_b
		.amdhsa_group_segment_fixed_size 0
		.amdhsa_private_segment_fixed_size 0
		.amdhsa_kernarg_size 336
		.amdhsa_user_sgpr_count 2
		.amdhsa_user_sgpr_dispatch_ptr 0
		.amdhsa_user_sgpr_queue_ptr 0
		.amdhsa_user_sgpr_kernarg_segment_ptr 1
		.amdhsa_user_sgpr_dispatch_id 0
		.amdhsa_user_sgpr_kernarg_preload_length 0
		.amdhsa_user_sgpr_kernarg_preload_offset 0
		.amdhsa_user_sgpr_private_segment_size 0
		.amdhsa_wavefront_size32 1
		.amdhsa_uses_dynamic_stack 0
		.amdhsa_enable_private_segment 0
		.amdhsa_system_sgpr_workgroup_id_x 1
		.amdhsa_system_sgpr_workgroup_id_y 0
		.amdhsa_system_sgpr_workgroup_id_z 0
		.amdhsa_system_sgpr_workgroup_info 0
		.amdhsa_system_vgpr_workitem_id 0
		.amdhsa_next_free_vgpr 19
		.amdhsa_next_free_sgpr 24
		.amdhsa_named_barrier_count 0
		.amdhsa_reserve_vcc 1
		.amdhsa_float_round_mode_32 0
		.amdhsa_float_round_mode_16_64 0
		.amdhsa_float_denorm_mode_32 3
		.amdhsa_float_denorm_mode_16_64 3
		.amdhsa_fp16_overflow 0
		.amdhsa_memory_ordered 1
		.amdhsa_forward_progress 1
		.amdhsa_inst_pref_size 7
		.amdhsa_round_robin_scheduling 0
		.amdhsa_exception_fp_ieee_invalid_op 0
		.amdhsa_exception_fp_denorm_src 0
		.amdhsa_exception_fp_ieee_div_zero 0
		.amdhsa_exception_fp_ieee_overflow 0
		.amdhsa_exception_fp_ieee_underflow 0
		.amdhsa_exception_fp_ieee_inexact 0
		.amdhsa_exception_int_div_zero 0
	.end_amdhsa_kernel
	.section	.text._ZN9rocsparseL21csrmvt_general_kernelILj256ELj32EllaaffEEvbbT2_NS_24const_host_device_scalarIT6_EEPKT1_S7_PKS1_PKT3_PKT4_PT5_21rocsparse_index_base_b,"axG",@progbits,_ZN9rocsparseL21csrmvt_general_kernelILj256ELj32EllaaffEEvbbT2_NS_24const_host_device_scalarIT6_EEPKT1_S7_PKS1_PKT3_PKT4_PT5_21rocsparse_index_base_b,comdat
.Lfunc_end196:
	.size	_ZN9rocsparseL21csrmvt_general_kernelILj256ELj32EllaaffEEvbbT2_NS_24const_host_device_scalarIT6_EEPKT1_S7_PKS1_PKT3_PKT4_PT5_21rocsparse_index_base_b, .Lfunc_end196-_ZN9rocsparseL21csrmvt_general_kernelILj256ELj32EllaaffEEvbbT2_NS_24const_host_device_scalarIT6_EEPKT1_S7_PKS1_PKT3_PKT4_PT5_21rocsparse_index_base_b
                                        ; -- End function
	.set _ZN9rocsparseL21csrmvt_general_kernelILj256ELj32EllaaffEEvbbT2_NS_24const_host_device_scalarIT6_EEPKT1_S7_PKS1_PKT3_PKT4_PT5_21rocsparse_index_base_b.num_vgpr, 19
	.set _ZN9rocsparseL21csrmvt_general_kernelILj256ELj32EllaaffEEvbbT2_NS_24const_host_device_scalarIT6_EEPKT1_S7_PKS1_PKT3_PKT4_PT5_21rocsparse_index_base_b.num_agpr, 0
	.set _ZN9rocsparseL21csrmvt_general_kernelILj256ELj32EllaaffEEvbbT2_NS_24const_host_device_scalarIT6_EEPKT1_S7_PKS1_PKT3_PKT4_PT5_21rocsparse_index_base_b.numbered_sgpr, 24
	.set _ZN9rocsparseL21csrmvt_general_kernelILj256ELj32EllaaffEEvbbT2_NS_24const_host_device_scalarIT6_EEPKT1_S7_PKS1_PKT3_PKT4_PT5_21rocsparse_index_base_b.num_named_barrier, 0
	.set _ZN9rocsparseL21csrmvt_general_kernelILj256ELj32EllaaffEEvbbT2_NS_24const_host_device_scalarIT6_EEPKT1_S7_PKS1_PKT3_PKT4_PT5_21rocsparse_index_base_b.private_seg_size, 0
	.set _ZN9rocsparseL21csrmvt_general_kernelILj256ELj32EllaaffEEvbbT2_NS_24const_host_device_scalarIT6_EEPKT1_S7_PKS1_PKT3_PKT4_PT5_21rocsparse_index_base_b.uses_vcc, 1
	.set _ZN9rocsparseL21csrmvt_general_kernelILj256ELj32EllaaffEEvbbT2_NS_24const_host_device_scalarIT6_EEPKT1_S7_PKS1_PKT3_PKT4_PT5_21rocsparse_index_base_b.uses_flat_scratch, 0
	.set _ZN9rocsparseL21csrmvt_general_kernelILj256ELj32EllaaffEEvbbT2_NS_24const_host_device_scalarIT6_EEPKT1_S7_PKS1_PKT3_PKT4_PT5_21rocsparse_index_base_b.has_dyn_sized_stack, 0
	.set _ZN9rocsparseL21csrmvt_general_kernelILj256ELj32EllaaffEEvbbT2_NS_24const_host_device_scalarIT6_EEPKT1_S7_PKS1_PKT3_PKT4_PT5_21rocsparse_index_base_b.has_recursion, 0
	.set _ZN9rocsparseL21csrmvt_general_kernelILj256ELj32EllaaffEEvbbT2_NS_24const_host_device_scalarIT6_EEPKT1_S7_PKS1_PKT3_PKT4_PT5_21rocsparse_index_base_b.has_indirect_call, 0
	.section	.AMDGPU.csdata,"",@progbits
; Kernel info:
; codeLenInByte = 888
; TotalNumSgprs: 26
; NumVgprs: 19
; ScratchSize: 0
; MemoryBound: 0
; FloatMode: 240
; IeeeMode: 1
; LDSByteSize: 0 bytes/workgroup (compile time only)
; SGPRBlocks: 0
; VGPRBlocks: 1
; NumSGPRsForWavesPerEU: 26
; NumVGPRsForWavesPerEU: 19
; NamedBarCnt: 0
; Occupancy: 16
; WaveLimiterHint : 1
; COMPUTE_PGM_RSRC2:SCRATCH_EN: 0
; COMPUTE_PGM_RSRC2:USER_SGPR: 2
; COMPUTE_PGM_RSRC2:TRAP_HANDLER: 0
; COMPUTE_PGM_RSRC2:TGID_X_EN: 1
; COMPUTE_PGM_RSRC2:TGID_Y_EN: 0
; COMPUTE_PGM_RSRC2:TGID_Z_EN: 0
; COMPUTE_PGM_RSRC2:TIDIG_COMP_CNT: 0
	.section	.text._ZN9rocsparseL21csrmvt_general_kernelILj256ELj64EllaaffEEvbbT2_NS_24const_host_device_scalarIT6_EEPKT1_S7_PKS1_PKT3_PKT4_PT5_21rocsparse_index_base_b,"axG",@progbits,_ZN9rocsparseL21csrmvt_general_kernelILj256ELj64EllaaffEEvbbT2_NS_24const_host_device_scalarIT6_EEPKT1_S7_PKS1_PKT3_PKT4_PT5_21rocsparse_index_base_b,comdat
	.globl	_ZN9rocsparseL21csrmvt_general_kernelILj256ELj64EllaaffEEvbbT2_NS_24const_host_device_scalarIT6_EEPKT1_S7_PKS1_PKT3_PKT4_PT5_21rocsparse_index_base_b ; -- Begin function _ZN9rocsparseL21csrmvt_general_kernelILj256ELj64EllaaffEEvbbT2_NS_24const_host_device_scalarIT6_EEPKT1_S7_PKS1_PKT3_PKT4_PT5_21rocsparse_index_base_b
	.p2align	8
	.type	_ZN9rocsparseL21csrmvt_general_kernelILj256ELj64EllaaffEEvbbT2_NS_24const_host_device_scalarIT6_EEPKT1_S7_PKS1_PKT3_PKT4_PT5_21rocsparse_index_base_b,@function
_ZN9rocsparseL21csrmvt_general_kernelILj256ELj64EllaaffEEvbbT2_NS_24const_host_device_scalarIT6_EEPKT1_S7_PKS1_PKT3_PKT4_PT5_21rocsparse_index_base_b: ; @_ZN9rocsparseL21csrmvt_general_kernelILj256ELj64EllaaffEEvbbT2_NS_24const_host_device_scalarIT6_EEPKT1_S7_PKS1_PKT3_PKT4_PT5_21rocsparse_index_base_b
; %bb.0:
	s_clause 0x1
	s_load_b64 s[2:3], s[0:1], 0x48
	s_load_b256 s[4:11], s[0:1], 0x8
	s_wait_kmcnt 0x0
	s_bitcmp1_b32 s3, 0
	s_cselect_b32 s3, -1, 0
	s_delay_alu instid0(SALU_CYCLE_1)
	s_and_b32 vcc_lo, exec_lo, s3
	s_cbranch_vccnz .LBB197_2
; %bb.1:
	s_load_b32 s6, s[6:7], 0x0
.LBB197_2:
	s_wait_kmcnt 0x0
	s_cmp_eq_f32 s6, 0
	s_mov_b32 s21, 0
	s_cbranch_scc1 .LBB197_20
; %bb.3:
	s_clause 0x1
	s_load_b32 s3, s[0:1], 0x0
	s_load_b32 s7, s[0:1], 0x50
	s_bfe_u32 s12, ttmp6, 0x4000c
	s_and_b32 s13, ttmp6, 15
	s_add_co_i32 s12, s12, 1
	s_getreg_b32 s14, hwreg(HW_REG_IB_STS2, 6, 4)
	s_mul_i32 s12, ttmp9, s12
	v_mov_b32_e32 v3, 0
	s_add_co_i32 s22, s13, s12
	s_wait_kmcnt 0x0
	s_and_b32 s3, s3, 1
	s_lshl_b32 s20, s7, 2
	s_cmp_eq_u32 s14, 0
	s_load_b256 s[12:19], s[0:1], 0x28
	s_wait_xcnt 0x0
	s_cselect_b32 s0, ttmp9, s22
	s_cmp_eq_u32 s3, 0
	v_lshl_or_b32 v1, s0, 8, v0
	v_and_b32_e32 v0, 63, v0
	s_mov_b32 s1, -1
	s_delay_alu instid0(VALU_DEP_2) | instskip(NEXT) | instid1(VALU_DEP_1)
	v_lshrrev_b32_e32 v2, 6, v1
	v_cmp_gt_i64_e64 s0, s[4:5], v[2:3]
	s_cbranch_scc0 .LBB197_11
; %bb.4:
	s_and_saveexec_b32 s1, s0
	s_cbranch_execz .LBB197_10
; %bb.5:
	v_mov_b32_e32 v1, 0
	s_mov_b32 s3, 0
	v_mov_b64_e32 v[6:7], v[2:3]
	s_mov_b32 s7, s3
	s_delay_alu instid0(VALU_DEP_2)
	v_sub_nc_u64_e64 v[4:5], v[0:1], s[2:3]
	s_branch .LBB197_7
.LBB197_6:                              ;   in Loop: Header=BB197_7 Depth=1
	s_or_b32 exec_lo, exec_lo, s22
	v_add_nc_u64_e32 v[6:7], s[20:21], v[6:7]
	s_delay_alu instid0(VALU_DEP_1) | instskip(SKIP_1) | instid1(SALU_CYCLE_1)
	v_cmp_le_i64_e32 vcc_lo, s[4:5], v[6:7]
	s_or_b32 s7, vcc_lo, s7
	s_and_not1_b32 exec_lo, exec_lo, s7
	s_cbranch_execz .LBB197_10
.LBB197_7:                              ; =>This Loop Header: Depth=1
                                        ;     Child Loop BB197_9 Depth 2
	s_delay_alu instid0(VALU_DEP_2) | instskip(SKIP_1) | instid1(VALU_DEP_1)
	v_lshlrev_b64_e32 v[8:9], 3, v[6:7]
	s_mov_b32 s22, exec_lo
	v_add_nc_u64_e32 v[10:11], s[10:11], v[8:9]
	v_add_nc_u64_e32 v[8:9], s[8:9], v[8:9]
	global_load_b64 v[12:13], v[10:11], off
	global_load_b64 v[14:15], v[8:9], off
	s_wait_loadcnt 0x1
	s_wait_xcnt 0x0
	v_sub_nc_u64_e64 v[8:9], v[12:13], s[2:3]
	s_wait_loadcnt 0x0
	v_add_nc_u64_e32 v[10:11], v[14:15], v[4:5]
	s_delay_alu instid0(VALU_DEP_1)
	v_cmpx_lt_i64_e64 v[10:11], v[8:9]
	s_cbranch_execz .LBB197_6
; %bb.8:                                ;   in Loop: Header=BB197_7 Depth=1
	s_wait_kmcnt 0x0
	v_add_nc_u64_e32 v[12:13], s[16:17], v[6:7]
	s_mov_b32 s23, 0
	global_load_i8 v1, v[12:13], off
	s_wait_xcnt 0x0
	v_lshl_add_u64 v[12:13], v[10:11], 3, s[12:13]
	s_wait_loadcnt 0x0
	v_cvt_f32_i32_e32 v1, v1
	s_delay_alu instid0(VALU_DEP_1)
	v_mul_f32_e32 v1, s6, v1
.LBB197_9:                              ;   Parent Loop BB197_7 Depth=1
                                        ; =>  This Inner Loop Header: Depth=2
	v_add_nc_u64_e32 v[14:15], s[14:15], v[10:11]
	v_add_nc_u64_e32 v[10:11], 64, v[10:11]
	global_load_b64 v[16:17], v[12:13], off
	global_load_i8 v18, v[14:15], off
	s_wait_xcnt 0x1
	v_add_nc_u64_e32 v[12:13], 0x200, v[12:13]
	v_cmp_ge_i64_e32 vcc_lo, v[10:11], v[8:9]
	s_or_b32 s23, vcc_lo, s23
	s_wait_loadcnt 0x1
	s_wait_xcnt 0x0
	v_sub_nc_u64_e64 v[14:15], v[16:17], s[2:3]
	s_wait_loadcnt 0x0
	v_cvt_f32_i32_e32 v16, v18
	s_delay_alu instid0(VALU_DEP_1) | instskip(NEXT) | instid1(VALU_DEP_3)
	v_mul_f32_e32 v16, v1, v16
	v_lshl_add_u64 v[14:15], v[14:15], 2, s[18:19]
	global_atomic_add_f32 v[14:15], v16, off scope:SCOPE_DEV
	s_wait_xcnt 0x0
	s_and_not1_b32 exec_lo, exec_lo, s23
	s_cbranch_execnz .LBB197_9
	s_branch .LBB197_6
.LBB197_10:
	s_or_b32 exec_lo, exec_lo, s1
	s_mov_b32 s1, 0
.LBB197_11:
	s_delay_alu instid0(SALU_CYCLE_1)
	s_and_not1_b32 vcc_lo, exec_lo, s1
	s_cbranch_vccnz .LBB197_20
; %bb.12:
	s_and_saveexec_b32 s1, s0
	s_cbranch_execz .LBB197_20
; %bb.13:
	v_mov_b32_e32 v1, 0
	s_mov_b32 s3, 0
	s_delay_alu instid0(SALU_CYCLE_1) | instskip(NEXT) | instid1(VALU_DEP_1)
	s_mov_b32 s0, s3
	v_sub_nc_u64_e64 v[0:1], v[0:1], s[2:3]
	s_branch .LBB197_15
.LBB197_14:                             ;   in Loop: Header=BB197_15 Depth=1
	s_or_b32 exec_lo, exec_lo, s1
	v_add_nc_u64_e32 v[2:3], s[20:21], v[2:3]
	s_delay_alu instid0(VALU_DEP_1) | instskip(SKIP_1) | instid1(SALU_CYCLE_1)
	v_cmp_le_i64_e32 vcc_lo, s[4:5], v[2:3]
	s_or_b32 s0, vcc_lo, s0
	s_and_not1_b32 exec_lo, exec_lo, s0
	s_cbranch_execz .LBB197_20
.LBB197_15:                             ; =>This Loop Header: Depth=1
                                        ;     Child Loop BB197_18 Depth 2
	v_lshlrev_b64_e32 v[4:5], 3, v[2:3]
	s_mov_b32 s1, exec_lo
	s_delay_alu instid0(VALU_DEP_1)
	v_add_nc_u64_e32 v[6:7], s[10:11], v[4:5]
	v_add_nc_u64_e32 v[4:5], s[8:9], v[4:5]
	global_load_b64 v[8:9], v[6:7], off
	global_load_b64 v[10:11], v[4:5], off
	s_wait_loadcnt 0x1
	s_wait_xcnt 0x0
	v_sub_nc_u64_e64 v[4:5], v[8:9], s[2:3]
	s_wait_loadcnt 0x0
	v_add_nc_u64_e32 v[6:7], v[10:11], v[0:1]
	s_delay_alu instid0(VALU_DEP_1)
	v_cmpx_lt_i64_e64 v[6:7], v[4:5]
	s_cbranch_execz .LBB197_14
; %bb.16:                               ;   in Loop: Header=BB197_15 Depth=1
	s_wait_kmcnt 0x0
	v_add_nc_u64_e32 v[8:9], s[16:17], v[2:3]
	s_mov_b32 s7, 0
	global_load_i8 v8, v[8:9], off
	s_wait_loadcnt 0x0
	v_cvt_f32_i32_e32 v8, v8
	s_delay_alu instid0(VALU_DEP_1)
	v_mul_f32_e32 v12, s6, v8
	v_lshl_add_u64 v[8:9], v[6:7], 3, s[12:13]
	s_branch .LBB197_18
.LBB197_17:                             ;   in Loop: Header=BB197_18 Depth=2
	s_wait_xcnt 0x0
	s_or_b32 exec_lo, exec_lo, s22
	v_add_nc_u64_e32 v[6:7], 64, v[6:7]
	v_add_nc_u64_e32 v[8:9], 0x200, v[8:9]
	s_delay_alu instid0(VALU_DEP_2) | instskip(SKIP_1) | instid1(SALU_CYCLE_1)
	v_cmp_ge_i64_e32 vcc_lo, v[6:7], v[4:5]
	s_or_b32 s7, vcc_lo, s7
	s_and_not1_b32 exec_lo, exec_lo, s7
	s_cbranch_execz .LBB197_14
.LBB197_18:                             ;   Parent Loop BB197_15 Depth=1
                                        ; =>  This Inner Loop Header: Depth=2
	global_load_b64 v[10:11], v[8:9], off
	s_mov_b32 s22, exec_lo
	s_wait_loadcnt 0x0
	v_sub_nc_u64_e64 v[10:11], v[10:11], s[2:3]
	s_wait_xcnt 0x0
	s_delay_alu instid0(VALU_DEP_1)
	v_cmpx_ne_u64_e64 v[10:11], v[2:3]
	s_cbranch_execz .LBB197_17
; %bb.19:                               ;   in Loop: Header=BB197_18 Depth=2
	v_add_nc_u64_e32 v[14:15], s[14:15], v[6:7]
	v_lshl_add_u64 v[10:11], v[10:11], 2, s[18:19]
	global_load_i8 v13, v[14:15], off
	s_wait_loadcnt 0x0
	v_cvt_f32_i32_e32 v13, v13
	s_delay_alu instid0(VALU_DEP_1)
	v_mul_f32_e32 v13, v12, v13
	s_wait_xcnt 0x0
	global_atomic_add_f32 v[10:11], v13, off scope:SCOPE_DEV
	s_branch .LBB197_17
.LBB197_20:
	s_endpgm
	.section	.rodata,"a",@progbits
	.p2align	6, 0x0
	.amdhsa_kernel _ZN9rocsparseL21csrmvt_general_kernelILj256ELj64EllaaffEEvbbT2_NS_24const_host_device_scalarIT6_EEPKT1_S7_PKS1_PKT3_PKT4_PT5_21rocsparse_index_base_b
		.amdhsa_group_segment_fixed_size 0
		.amdhsa_private_segment_fixed_size 0
		.amdhsa_kernarg_size 336
		.amdhsa_user_sgpr_count 2
		.amdhsa_user_sgpr_dispatch_ptr 0
		.amdhsa_user_sgpr_queue_ptr 0
		.amdhsa_user_sgpr_kernarg_segment_ptr 1
		.amdhsa_user_sgpr_dispatch_id 0
		.amdhsa_user_sgpr_kernarg_preload_length 0
		.amdhsa_user_sgpr_kernarg_preload_offset 0
		.amdhsa_user_sgpr_private_segment_size 0
		.amdhsa_wavefront_size32 1
		.amdhsa_uses_dynamic_stack 0
		.amdhsa_enable_private_segment 0
		.amdhsa_system_sgpr_workgroup_id_x 1
		.amdhsa_system_sgpr_workgroup_id_y 0
		.amdhsa_system_sgpr_workgroup_id_z 0
		.amdhsa_system_sgpr_workgroup_info 0
		.amdhsa_system_vgpr_workitem_id 0
		.amdhsa_next_free_vgpr 19
		.amdhsa_next_free_sgpr 24
		.amdhsa_named_barrier_count 0
		.amdhsa_reserve_vcc 1
		.amdhsa_float_round_mode_32 0
		.amdhsa_float_round_mode_16_64 0
		.amdhsa_float_denorm_mode_32 3
		.amdhsa_float_denorm_mode_16_64 3
		.amdhsa_fp16_overflow 0
		.amdhsa_memory_ordered 1
		.amdhsa_forward_progress 1
		.amdhsa_inst_pref_size 7
		.amdhsa_round_robin_scheduling 0
		.amdhsa_exception_fp_ieee_invalid_op 0
		.amdhsa_exception_fp_denorm_src 0
		.amdhsa_exception_fp_ieee_div_zero 0
		.amdhsa_exception_fp_ieee_overflow 0
		.amdhsa_exception_fp_ieee_underflow 0
		.amdhsa_exception_fp_ieee_inexact 0
		.amdhsa_exception_int_div_zero 0
	.end_amdhsa_kernel
	.section	.text._ZN9rocsparseL21csrmvt_general_kernelILj256ELj64EllaaffEEvbbT2_NS_24const_host_device_scalarIT6_EEPKT1_S7_PKS1_PKT3_PKT4_PT5_21rocsparse_index_base_b,"axG",@progbits,_ZN9rocsparseL21csrmvt_general_kernelILj256ELj64EllaaffEEvbbT2_NS_24const_host_device_scalarIT6_EEPKT1_S7_PKS1_PKT3_PKT4_PT5_21rocsparse_index_base_b,comdat
.Lfunc_end197:
	.size	_ZN9rocsparseL21csrmvt_general_kernelILj256ELj64EllaaffEEvbbT2_NS_24const_host_device_scalarIT6_EEPKT1_S7_PKS1_PKT3_PKT4_PT5_21rocsparse_index_base_b, .Lfunc_end197-_ZN9rocsparseL21csrmvt_general_kernelILj256ELj64EllaaffEEvbbT2_NS_24const_host_device_scalarIT6_EEPKT1_S7_PKS1_PKT3_PKT4_PT5_21rocsparse_index_base_b
                                        ; -- End function
	.set _ZN9rocsparseL21csrmvt_general_kernelILj256ELj64EllaaffEEvbbT2_NS_24const_host_device_scalarIT6_EEPKT1_S7_PKS1_PKT3_PKT4_PT5_21rocsparse_index_base_b.num_vgpr, 19
	.set _ZN9rocsparseL21csrmvt_general_kernelILj256ELj64EllaaffEEvbbT2_NS_24const_host_device_scalarIT6_EEPKT1_S7_PKS1_PKT3_PKT4_PT5_21rocsparse_index_base_b.num_agpr, 0
	.set _ZN9rocsparseL21csrmvt_general_kernelILj256ELj64EllaaffEEvbbT2_NS_24const_host_device_scalarIT6_EEPKT1_S7_PKS1_PKT3_PKT4_PT5_21rocsparse_index_base_b.numbered_sgpr, 24
	.set _ZN9rocsparseL21csrmvt_general_kernelILj256ELj64EllaaffEEvbbT2_NS_24const_host_device_scalarIT6_EEPKT1_S7_PKS1_PKT3_PKT4_PT5_21rocsparse_index_base_b.num_named_barrier, 0
	.set _ZN9rocsparseL21csrmvt_general_kernelILj256ELj64EllaaffEEvbbT2_NS_24const_host_device_scalarIT6_EEPKT1_S7_PKS1_PKT3_PKT4_PT5_21rocsparse_index_base_b.private_seg_size, 0
	.set _ZN9rocsparseL21csrmvt_general_kernelILj256ELj64EllaaffEEvbbT2_NS_24const_host_device_scalarIT6_EEPKT1_S7_PKS1_PKT3_PKT4_PT5_21rocsparse_index_base_b.uses_vcc, 1
	.set _ZN9rocsparseL21csrmvt_general_kernelILj256ELj64EllaaffEEvbbT2_NS_24const_host_device_scalarIT6_EEPKT1_S7_PKS1_PKT3_PKT4_PT5_21rocsparse_index_base_b.uses_flat_scratch, 0
	.set _ZN9rocsparseL21csrmvt_general_kernelILj256ELj64EllaaffEEvbbT2_NS_24const_host_device_scalarIT6_EEPKT1_S7_PKS1_PKT3_PKT4_PT5_21rocsparse_index_base_b.has_dyn_sized_stack, 0
	.set _ZN9rocsparseL21csrmvt_general_kernelILj256ELj64EllaaffEEvbbT2_NS_24const_host_device_scalarIT6_EEPKT1_S7_PKS1_PKT3_PKT4_PT5_21rocsparse_index_base_b.has_recursion, 0
	.set _ZN9rocsparseL21csrmvt_general_kernelILj256ELj64EllaaffEEvbbT2_NS_24const_host_device_scalarIT6_EEPKT1_S7_PKS1_PKT3_PKT4_PT5_21rocsparse_index_base_b.has_indirect_call, 0
	.section	.AMDGPU.csdata,"",@progbits
; Kernel info:
; codeLenInByte = 888
; TotalNumSgprs: 26
; NumVgprs: 19
; ScratchSize: 0
; MemoryBound: 0
; FloatMode: 240
; IeeeMode: 1
; LDSByteSize: 0 bytes/workgroup (compile time only)
; SGPRBlocks: 0
; VGPRBlocks: 1
; NumSGPRsForWavesPerEU: 26
; NumVGPRsForWavesPerEU: 19
; NamedBarCnt: 0
; Occupancy: 16
; WaveLimiterHint : 1
; COMPUTE_PGM_RSRC2:SCRATCH_EN: 0
; COMPUTE_PGM_RSRC2:USER_SGPR: 2
; COMPUTE_PGM_RSRC2:TRAP_HANDLER: 0
; COMPUTE_PGM_RSRC2:TGID_X_EN: 1
; COMPUTE_PGM_RSRC2:TGID_Y_EN: 0
; COMPUTE_PGM_RSRC2:TGID_Z_EN: 0
; COMPUTE_PGM_RSRC2:TIDIG_COMP_CNT: 0
	.section	.text._ZN9rocsparseL21csrmvn_general_kernelILj256ELj2EiiDF16_DF16_ffEEvbT2_NS_24const_host_device_scalarIT6_EEPKT1_S7_PKS1_PKT3_PKT4_S4_PT5_21rocsparse_index_base_b,"axG",@progbits,_ZN9rocsparseL21csrmvn_general_kernelILj256ELj2EiiDF16_DF16_ffEEvbT2_NS_24const_host_device_scalarIT6_EEPKT1_S7_PKS1_PKT3_PKT4_S4_PT5_21rocsparse_index_base_b,comdat
	.globl	_ZN9rocsparseL21csrmvn_general_kernelILj256ELj2EiiDF16_DF16_ffEEvbT2_NS_24const_host_device_scalarIT6_EEPKT1_S7_PKS1_PKT3_PKT4_S4_PT5_21rocsparse_index_base_b ; -- Begin function _ZN9rocsparseL21csrmvn_general_kernelILj256ELj2EiiDF16_DF16_ffEEvbT2_NS_24const_host_device_scalarIT6_EEPKT1_S7_PKS1_PKT3_PKT4_S4_PT5_21rocsparse_index_base_b
	.p2align	8
	.type	_ZN9rocsparseL21csrmvn_general_kernelILj256ELj2EiiDF16_DF16_ffEEvbT2_NS_24const_host_device_scalarIT6_EEPKT1_S7_PKS1_PKT3_PKT4_S4_PT5_21rocsparse_index_base_b,@function
_ZN9rocsparseL21csrmvn_general_kernelILj256ELj2EiiDF16_DF16_ffEEvbT2_NS_24const_host_device_scalarIT6_EEPKT1_S7_PKS1_PKT3_PKT4_S4_PT5_21rocsparse_index_base_b: ; @_ZN9rocsparseL21csrmvn_general_kernelILj256ELj2EiiDF16_DF16_ffEEvbT2_NS_24const_host_device_scalarIT6_EEPKT1_S7_PKS1_PKT3_PKT4_S4_PT5_21rocsparse_index_base_b
; %bb.0:
	s_clause 0x2
	s_load_b64 s[2:3], s[0:1], 0x48
	s_load_b128 s[12:15], s[0:1], 0x8
	s_load_b64 s[16:17], s[0:1], 0x38
	s_wait_kmcnt 0x0
	s_bitcmp1_b32 s3, 0
	s_cselect_b32 s3, -1, 0
	s_delay_alu instid0(SALU_CYCLE_1)
	s_and_b32 vcc_lo, exec_lo, s3
	s_xor_b32 s3, s3, -1
	s_cbranch_vccnz .LBB198_2
; %bb.1:
	s_load_b32 s12, s[12:13], 0x0
.LBB198_2:
	s_and_not1_b32 vcc_lo, exec_lo, s3
	s_cbranch_vccnz .LBB198_4
; %bb.3:
	s_load_b32 s16, s[16:17], 0x0
.LBB198_4:
	s_wait_kmcnt 0x0
	s_cmp_neq_f32 s12, 0
	s_cselect_b32 s3, -1, 0
	s_cmp_neq_f32 s16, 1.0
	s_cselect_b32 s4, -1, 0
	s_delay_alu instid0(SALU_CYCLE_1) | instskip(NEXT) | instid1(SALU_CYCLE_1)
	s_or_b32 s3, s3, s4
	s_and_not1_b32 vcc_lo, exec_lo, s3
	s_cbranch_vccnz .LBB198_16
; %bb.5:
	s_bfe_u32 s3, ttmp6, 0x4000c
	s_load_b32 s13, s[0:1], 0x4
	s_add_co_i32 s3, s3, 1
	s_and_b32 s4, ttmp6, 15
	s_mul_i32 s3, ttmp9, s3
	s_getreg_b32 s5, hwreg(HW_REG_IB_STS2, 6, 4)
	s_add_co_i32 s4, s4, s3
	s_cmp_eq_u32 s5, 0
	s_cselect_b32 s3, ttmp9, s4
	s_delay_alu instid0(SALU_CYCLE_1) | instskip(SKIP_1) | instid1(VALU_DEP_1)
	v_lshl_or_b32 v1, s3, 8, v0
	s_mov_b32 s3, exec_lo
	v_lshrrev_b32_e32 v2, 1, v1
	s_wait_kmcnt 0x0
	s_delay_alu instid0(VALU_DEP_1)
	v_cmpx_gt_i32_e64 s13, v2
	s_cbranch_execz .LBB198_16
; %bb.6:
	s_clause 0x1
	s_load_b32 s17, s[0:1], 0x50
	s_load_b256 s[4:11], s[0:1], 0x18
	v_mbcnt_lo_u32_b32 v1, -1, 0
	s_load_b64 s[18:19], s[0:1], 0x40
	s_ashr_i32 s3, s2, 31
	s_delay_alu instid0(SALU_CYCLE_1) | instskip(NEXT) | instid1(VALU_DEP_1)
	s_lshl_b64 s[20:21], s[2:3], 1
	v_xor_b32_e32 v3, 1, v1
	s_delay_alu instid0(VALU_DEP_1) | instskip(SKIP_1) | instid1(VALU_DEP_1)
	v_cmp_gt_i32_e32 vcc_lo, 32, v3
	v_dual_cndmask_b32 v1, v1, v3, vcc_lo :: v_dual_bitop2_b32 v0, 1, v0 bitop3:0x40
	v_subrev_nc_u32_e32 v4, s2, v0
	s_wait_xcnt 0x0
	v_cmp_eq_u32_e64 s0, 1, v0
	s_wait_kmcnt 0x0
	s_lshl_b32 s1, s17, 7
	s_cmp_neq_f32 s16, 0
	v_lshlrev_b32_e32 v5, 2, v1
	s_sub_nc_u64 s[10:11], s[10:11], s[20:21]
	s_mov_b32 s17, 0
	s_cselect_b32 s3, -1, 0
	s_branch .LBB198_9
.LBB198_7:                              ;   in Loop: Header=BB198_9 Depth=1
	global_store_b32 v[0:1], v6, off
.LBB198_8:                              ;   in Loop: Header=BB198_9 Depth=1
	s_wait_xcnt 0x0
	s_or_b32 exec_lo, exec_lo, s20
	v_add_nc_u32_e32 v2, s1, v2
	s_delay_alu instid0(VALU_DEP_1) | instskip(SKIP_1) | instid1(SALU_CYCLE_1)
	v_cmp_le_i32_e32 vcc_lo, s13, v2
	s_or_b32 s17, vcc_lo, s17
	s_and_not1_b32 exec_lo, exec_lo, s17
	s_cbranch_execz .LBB198_16
.LBB198_9:                              ; =>This Loop Header: Depth=1
                                        ;     Child Loop BB198_11 Depth 2
	s_clause 0x1
	global_load_b32 v0, v2, s[4:5] scale_offset
	global_load_b32 v3, v2, s[14:15] scale_offset
	s_mov_b32 s20, exec_lo
	s_wait_loadcnt_dscnt 0x100
	v_subrev_nc_u32_e32 v1, s2, v0
	s_wait_loadcnt 0x0
	v_dual_mov_b32 v0, 0 :: v_dual_add_nc_u32 v3, v3, v4
	s_wait_xcnt 0x0
	s_delay_alu instid0(VALU_DEP_1)
	v_cmpx_lt_i32_e64 v3, v1
	s_cbranch_execz .LBB198_13
; %bb.10:                               ;   in Loop: Header=BB198_9 Depth=1
	v_mov_b32_e32 v0, 0
	s_mov_b32 s21, 0
.LBB198_11:                             ;   Parent Loop BB198_9 Depth=1
                                        ; =>  This Inner Loop Header: Depth=2
	s_clause 0x1
	global_load_b32 v6, v3, s[6:7] scale_offset
	global_load_u16 v7, v3, s[8:9] scale_offset
	s_wait_xcnt 0x0
	v_add_nc_u32_e32 v3, 2, v3
	s_delay_alu instid0(VALU_DEP_1)
	v_cmp_ge_i32_e32 vcc_lo, v3, v1
	s_or_b32 s21, vcc_lo, s21
	s_wait_loadcnt 0x1
	global_load_u16 v6, v6, s[10:11] scale_offset
	s_wait_loadcnt 0x1
	v_cvt_f32_f16_e32 v7, v7
	s_delay_alu instid0(VALU_DEP_1) | instskip(SKIP_1) | instid1(VALU_DEP_1)
	v_mul_f32_e32 v7, s12, v7
	s_wait_loadcnt 0x0
	v_fma_mix_f32 v0, v7, v6, v0 op_sel_hi:[0,1,0]
	s_wait_xcnt 0x0
	s_and_not1_b32 exec_lo, exec_lo, s21
	s_cbranch_execnz .LBB198_11
; %bb.12:                               ;   in Loop: Header=BB198_9 Depth=1
	s_or_b32 exec_lo, exec_lo, s21
.LBB198_13:                             ;   in Loop: Header=BB198_9 Depth=1
	s_delay_alu instid0(SALU_CYCLE_1)
	s_or_b32 exec_lo, exec_lo, s20
	ds_bpermute_b32 v1, v5, v0
	v_ashrrev_i32_e32 v3, 31, v2
	s_and_saveexec_b32 s20, s0
	s_cbranch_execz .LBB198_8
; %bb.14:                               ;   in Loop: Header=BB198_9 Depth=1
	s_wait_dscnt 0x0
	v_add_f32_e32 v6, v0, v1
	v_lshl_add_u64 v[0:1], v[2:3], 2, s[18:19]
	s_and_not1_b32 vcc_lo, exec_lo, s3
	s_cbranch_vccnz .LBB198_7
; %bb.15:                               ;   in Loop: Header=BB198_9 Depth=1
	global_load_b32 v3, v[0:1], off
	s_wait_loadcnt 0x0
	v_fmac_f32_e32 v6, s16, v3
	s_branch .LBB198_7
.LBB198_16:
	s_endpgm
	.section	.rodata,"a",@progbits
	.p2align	6, 0x0
	.amdhsa_kernel _ZN9rocsparseL21csrmvn_general_kernelILj256ELj2EiiDF16_DF16_ffEEvbT2_NS_24const_host_device_scalarIT6_EEPKT1_S7_PKS1_PKT3_PKT4_S4_PT5_21rocsparse_index_base_b
		.amdhsa_group_segment_fixed_size 0
		.amdhsa_private_segment_fixed_size 0
		.amdhsa_kernarg_size 336
		.amdhsa_user_sgpr_count 2
		.amdhsa_user_sgpr_dispatch_ptr 0
		.amdhsa_user_sgpr_queue_ptr 0
		.amdhsa_user_sgpr_kernarg_segment_ptr 1
		.amdhsa_user_sgpr_dispatch_id 0
		.amdhsa_user_sgpr_kernarg_preload_length 0
		.amdhsa_user_sgpr_kernarg_preload_offset 0
		.amdhsa_user_sgpr_private_segment_size 0
		.amdhsa_wavefront_size32 1
		.amdhsa_uses_dynamic_stack 0
		.amdhsa_enable_private_segment 0
		.amdhsa_system_sgpr_workgroup_id_x 1
		.amdhsa_system_sgpr_workgroup_id_y 0
		.amdhsa_system_sgpr_workgroup_id_z 0
		.amdhsa_system_sgpr_workgroup_info 0
		.amdhsa_system_vgpr_workitem_id 0
		.amdhsa_next_free_vgpr 8
		.amdhsa_next_free_sgpr 22
		.amdhsa_named_barrier_count 0
		.amdhsa_reserve_vcc 1
		.amdhsa_float_round_mode_32 0
		.amdhsa_float_round_mode_16_64 0
		.amdhsa_float_denorm_mode_32 3
		.amdhsa_float_denorm_mode_16_64 3
		.amdhsa_fp16_overflow 0
		.amdhsa_memory_ordered 1
		.amdhsa_forward_progress 1
		.amdhsa_inst_pref_size 5
		.amdhsa_round_robin_scheduling 0
		.amdhsa_exception_fp_ieee_invalid_op 0
		.amdhsa_exception_fp_denorm_src 0
		.amdhsa_exception_fp_ieee_div_zero 0
		.amdhsa_exception_fp_ieee_overflow 0
		.amdhsa_exception_fp_ieee_underflow 0
		.amdhsa_exception_fp_ieee_inexact 0
		.amdhsa_exception_int_div_zero 0
	.end_amdhsa_kernel
	.section	.text._ZN9rocsparseL21csrmvn_general_kernelILj256ELj2EiiDF16_DF16_ffEEvbT2_NS_24const_host_device_scalarIT6_EEPKT1_S7_PKS1_PKT3_PKT4_S4_PT5_21rocsparse_index_base_b,"axG",@progbits,_ZN9rocsparseL21csrmvn_general_kernelILj256ELj2EiiDF16_DF16_ffEEvbT2_NS_24const_host_device_scalarIT6_EEPKT1_S7_PKS1_PKT3_PKT4_S4_PT5_21rocsparse_index_base_b,comdat
.Lfunc_end198:
	.size	_ZN9rocsparseL21csrmvn_general_kernelILj256ELj2EiiDF16_DF16_ffEEvbT2_NS_24const_host_device_scalarIT6_EEPKT1_S7_PKS1_PKT3_PKT4_S4_PT5_21rocsparse_index_base_b, .Lfunc_end198-_ZN9rocsparseL21csrmvn_general_kernelILj256ELj2EiiDF16_DF16_ffEEvbT2_NS_24const_host_device_scalarIT6_EEPKT1_S7_PKS1_PKT3_PKT4_S4_PT5_21rocsparse_index_base_b
                                        ; -- End function
	.set _ZN9rocsparseL21csrmvn_general_kernelILj256ELj2EiiDF16_DF16_ffEEvbT2_NS_24const_host_device_scalarIT6_EEPKT1_S7_PKS1_PKT3_PKT4_S4_PT5_21rocsparse_index_base_b.num_vgpr, 8
	.set _ZN9rocsparseL21csrmvn_general_kernelILj256ELj2EiiDF16_DF16_ffEEvbT2_NS_24const_host_device_scalarIT6_EEPKT1_S7_PKS1_PKT3_PKT4_S4_PT5_21rocsparse_index_base_b.num_agpr, 0
	.set _ZN9rocsparseL21csrmvn_general_kernelILj256ELj2EiiDF16_DF16_ffEEvbT2_NS_24const_host_device_scalarIT6_EEPKT1_S7_PKS1_PKT3_PKT4_S4_PT5_21rocsparse_index_base_b.numbered_sgpr, 22
	.set _ZN9rocsparseL21csrmvn_general_kernelILj256ELj2EiiDF16_DF16_ffEEvbT2_NS_24const_host_device_scalarIT6_EEPKT1_S7_PKS1_PKT3_PKT4_S4_PT5_21rocsparse_index_base_b.num_named_barrier, 0
	.set _ZN9rocsparseL21csrmvn_general_kernelILj256ELj2EiiDF16_DF16_ffEEvbT2_NS_24const_host_device_scalarIT6_EEPKT1_S7_PKS1_PKT3_PKT4_S4_PT5_21rocsparse_index_base_b.private_seg_size, 0
	.set _ZN9rocsparseL21csrmvn_general_kernelILj256ELj2EiiDF16_DF16_ffEEvbT2_NS_24const_host_device_scalarIT6_EEPKT1_S7_PKS1_PKT3_PKT4_S4_PT5_21rocsparse_index_base_b.uses_vcc, 1
	.set _ZN9rocsparseL21csrmvn_general_kernelILj256ELj2EiiDF16_DF16_ffEEvbT2_NS_24const_host_device_scalarIT6_EEPKT1_S7_PKS1_PKT3_PKT4_S4_PT5_21rocsparse_index_base_b.uses_flat_scratch, 0
	.set _ZN9rocsparseL21csrmvn_general_kernelILj256ELj2EiiDF16_DF16_ffEEvbT2_NS_24const_host_device_scalarIT6_EEPKT1_S7_PKS1_PKT3_PKT4_S4_PT5_21rocsparse_index_base_b.has_dyn_sized_stack, 0
	.set _ZN9rocsparseL21csrmvn_general_kernelILj256ELj2EiiDF16_DF16_ffEEvbT2_NS_24const_host_device_scalarIT6_EEPKT1_S7_PKS1_PKT3_PKT4_S4_PT5_21rocsparse_index_base_b.has_recursion, 0
	.set _ZN9rocsparseL21csrmvn_general_kernelILj256ELj2EiiDF16_DF16_ffEEvbT2_NS_24const_host_device_scalarIT6_EEPKT1_S7_PKS1_PKT3_PKT4_S4_PT5_21rocsparse_index_base_b.has_indirect_call, 0
	.section	.AMDGPU.csdata,"",@progbits
; Kernel info:
; codeLenInByte = 632
; TotalNumSgprs: 24
; NumVgprs: 8
; ScratchSize: 0
; MemoryBound: 0
; FloatMode: 240
; IeeeMode: 1
; LDSByteSize: 0 bytes/workgroup (compile time only)
; SGPRBlocks: 0
; VGPRBlocks: 0
; NumSGPRsForWavesPerEU: 24
; NumVGPRsForWavesPerEU: 8
; NamedBarCnt: 0
; Occupancy: 16
; WaveLimiterHint : 1
; COMPUTE_PGM_RSRC2:SCRATCH_EN: 0
; COMPUTE_PGM_RSRC2:USER_SGPR: 2
; COMPUTE_PGM_RSRC2:TRAP_HANDLER: 0
; COMPUTE_PGM_RSRC2:TGID_X_EN: 1
; COMPUTE_PGM_RSRC2:TGID_Y_EN: 0
; COMPUTE_PGM_RSRC2:TGID_Z_EN: 0
; COMPUTE_PGM_RSRC2:TIDIG_COMP_CNT: 0
	.section	.text._ZN9rocsparseL21csrmvn_general_kernelILj256ELj4EiiDF16_DF16_ffEEvbT2_NS_24const_host_device_scalarIT6_EEPKT1_S7_PKS1_PKT3_PKT4_S4_PT5_21rocsparse_index_base_b,"axG",@progbits,_ZN9rocsparseL21csrmvn_general_kernelILj256ELj4EiiDF16_DF16_ffEEvbT2_NS_24const_host_device_scalarIT6_EEPKT1_S7_PKS1_PKT3_PKT4_S4_PT5_21rocsparse_index_base_b,comdat
	.globl	_ZN9rocsparseL21csrmvn_general_kernelILj256ELj4EiiDF16_DF16_ffEEvbT2_NS_24const_host_device_scalarIT6_EEPKT1_S7_PKS1_PKT3_PKT4_S4_PT5_21rocsparse_index_base_b ; -- Begin function _ZN9rocsparseL21csrmvn_general_kernelILj256ELj4EiiDF16_DF16_ffEEvbT2_NS_24const_host_device_scalarIT6_EEPKT1_S7_PKS1_PKT3_PKT4_S4_PT5_21rocsparse_index_base_b
	.p2align	8
	.type	_ZN9rocsparseL21csrmvn_general_kernelILj256ELj4EiiDF16_DF16_ffEEvbT2_NS_24const_host_device_scalarIT6_EEPKT1_S7_PKS1_PKT3_PKT4_S4_PT5_21rocsparse_index_base_b,@function
_ZN9rocsparseL21csrmvn_general_kernelILj256ELj4EiiDF16_DF16_ffEEvbT2_NS_24const_host_device_scalarIT6_EEPKT1_S7_PKS1_PKT3_PKT4_S4_PT5_21rocsparse_index_base_b: ; @_ZN9rocsparseL21csrmvn_general_kernelILj256ELj4EiiDF16_DF16_ffEEvbT2_NS_24const_host_device_scalarIT6_EEPKT1_S7_PKS1_PKT3_PKT4_S4_PT5_21rocsparse_index_base_b
; %bb.0:
	s_clause 0x2
	s_load_b64 s[2:3], s[0:1], 0x48
	s_load_b128 s[12:15], s[0:1], 0x8
	s_load_b64 s[16:17], s[0:1], 0x38
	s_wait_kmcnt 0x0
	s_bitcmp1_b32 s3, 0
	s_cselect_b32 s3, -1, 0
	s_delay_alu instid0(SALU_CYCLE_1)
	s_and_b32 vcc_lo, exec_lo, s3
	s_xor_b32 s3, s3, -1
	s_cbranch_vccnz .LBB199_2
; %bb.1:
	s_load_b32 s12, s[12:13], 0x0
.LBB199_2:
	s_and_not1_b32 vcc_lo, exec_lo, s3
	s_cbranch_vccnz .LBB199_4
; %bb.3:
	s_load_b32 s16, s[16:17], 0x0
.LBB199_4:
	s_wait_kmcnt 0x0
	s_cmp_neq_f32 s12, 0
	s_cselect_b32 s3, -1, 0
	s_cmp_neq_f32 s16, 1.0
	s_cselect_b32 s4, -1, 0
	s_delay_alu instid0(SALU_CYCLE_1) | instskip(NEXT) | instid1(SALU_CYCLE_1)
	s_or_b32 s3, s3, s4
	s_and_not1_b32 vcc_lo, exec_lo, s3
	s_cbranch_vccnz .LBB199_16
; %bb.5:
	s_bfe_u32 s3, ttmp6, 0x4000c
	s_load_b32 s13, s[0:1], 0x4
	s_add_co_i32 s3, s3, 1
	s_and_b32 s4, ttmp6, 15
	s_mul_i32 s3, ttmp9, s3
	s_getreg_b32 s5, hwreg(HW_REG_IB_STS2, 6, 4)
	s_add_co_i32 s4, s4, s3
	s_cmp_eq_u32 s5, 0
	s_cselect_b32 s3, ttmp9, s4
	s_delay_alu instid0(SALU_CYCLE_1) | instskip(SKIP_1) | instid1(VALU_DEP_1)
	v_lshl_or_b32 v1, s3, 8, v0
	s_mov_b32 s3, exec_lo
	v_lshrrev_b32_e32 v2, 2, v1
	s_wait_kmcnt 0x0
	s_delay_alu instid0(VALU_DEP_1)
	v_cmpx_gt_i32_e64 s13, v2
	s_cbranch_execz .LBB199_16
; %bb.6:
	v_mbcnt_lo_u32_b32 v1, -1, 0
	s_clause 0x2
	s_load_b32 s17, s[0:1], 0x50
	s_load_b256 s[4:11], s[0:1], 0x18
	s_load_b64 s[18:19], s[0:1], 0x40
	s_ashr_i32 s3, s2, 31
	s_delay_alu instid0(SALU_CYCLE_1) | instskip(SKIP_2) | instid1(VALU_DEP_2)
	s_lshl_b64 s[20:21], s[2:3], 1
	v_xor_b32_e32 v3, 2, v1
	v_xor_b32_e32 v5, 1, v1
	v_cmp_gt_i32_e32 vcc_lo, 32, v3
	v_dual_cndmask_b32 v3, v1, v3, vcc_lo :: v_dual_bitop2_b32 v0, 3, v0 bitop3:0x40
	s_delay_alu instid0(VALU_DEP_3) | instskip(NEXT) | instid1(VALU_DEP_2)
	v_cmp_gt_i32_e32 vcc_lo, 32, v5
	v_subrev_nc_u32_e32 v4, s2, v0
	s_wait_xcnt 0x0
	v_cmp_eq_u32_e64 s0, 3, v0
	s_wait_kmcnt 0x0
	s_lshl_b32 s1, s17, 6
	v_dual_cndmask_b32 v1, v1, v5, vcc_lo :: v_dual_lshlrev_b32 v5, 2, v3
	s_cmp_neq_f32 s16, 0
	s_sub_nc_u64 s[10:11], s[10:11], s[20:21]
	s_mov_b32 s17, 0
	s_delay_alu instid0(VALU_DEP_1)
	v_lshlrev_b32_e32 v6, 2, v1
	s_cselect_b32 s3, -1, 0
	s_branch .LBB199_9
.LBB199_7:                              ;   in Loop: Header=BB199_9 Depth=1
	global_store_b32 v[0:1], v7, off
.LBB199_8:                              ;   in Loop: Header=BB199_9 Depth=1
	s_wait_xcnt 0x0
	s_or_b32 exec_lo, exec_lo, s20
	v_add_nc_u32_e32 v2, s1, v2
	s_delay_alu instid0(VALU_DEP_1) | instskip(SKIP_1) | instid1(SALU_CYCLE_1)
	v_cmp_le_i32_e32 vcc_lo, s13, v2
	s_or_b32 s17, vcc_lo, s17
	s_and_not1_b32 exec_lo, exec_lo, s17
	s_cbranch_execz .LBB199_16
.LBB199_9:                              ; =>This Loop Header: Depth=1
                                        ;     Child Loop BB199_11 Depth 2
	s_clause 0x1
	global_load_b32 v0, v2, s[4:5] scale_offset
	global_load_b32 v3, v2, s[14:15] scale_offset
	s_mov_b32 s20, exec_lo
	s_wait_loadcnt_dscnt 0x100
	v_subrev_nc_u32_e32 v1, s2, v0
	s_wait_loadcnt 0x0
	v_dual_mov_b32 v0, 0 :: v_dual_add_nc_u32 v3, v3, v4
	s_wait_xcnt 0x0
	s_delay_alu instid0(VALU_DEP_1)
	v_cmpx_lt_i32_e64 v3, v1
	s_cbranch_execz .LBB199_13
; %bb.10:                               ;   in Loop: Header=BB199_9 Depth=1
	v_mov_b32_e32 v0, 0
	s_mov_b32 s21, 0
.LBB199_11:                             ;   Parent Loop BB199_9 Depth=1
                                        ; =>  This Inner Loop Header: Depth=2
	s_clause 0x1
	global_load_b32 v7, v3, s[6:7] scale_offset
	global_load_u16 v8, v3, s[8:9] scale_offset
	s_wait_loadcnt 0x1
	global_load_u16 v7, v7, s[10:11] scale_offset
	s_wait_loadcnt 0x1
	v_cvt_f32_f16_e32 v8, v8
	s_wait_xcnt 0x1
	s_delay_alu instid0(VALU_DEP_1) | instskip(NEXT) | instid1(VALU_DEP_1)
	v_dual_mul_f32 v8, s12, v8 :: v_dual_add_nc_u32 v3, 4, v3
	v_cmp_ge_i32_e32 vcc_lo, v3, v1
	s_or_b32 s21, vcc_lo, s21
	s_wait_loadcnt 0x0
	s_delay_alu instid0(VALU_DEP_2)
	v_fma_mix_f32 v0, v8, v7, v0 op_sel_hi:[0,1,0]
	s_wait_xcnt 0x0
	s_and_not1_b32 exec_lo, exec_lo, s21
	s_cbranch_execnz .LBB199_11
; %bb.12:                               ;   in Loop: Header=BB199_9 Depth=1
	s_or_b32 exec_lo, exec_lo, s21
.LBB199_13:                             ;   in Loop: Header=BB199_9 Depth=1
	s_delay_alu instid0(SALU_CYCLE_1)
	s_or_b32 exec_lo, exec_lo, s20
	ds_bpermute_b32 v1, v5, v0
	s_wait_dscnt 0x0
	v_dual_add_f32 v0, v0, v1 :: v_dual_ashrrev_i32 v3, 31, v2
	ds_bpermute_b32 v1, v6, v0
	s_and_saveexec_b32 s20, s0
	s_cbranch_execz .LBB199_8
; %bb.14:                               ;   in Loop: Header=BB199_9 Depth=1
	s_wait_dscnt 0x0
	v_add_f32_e32 v7, v0, v1
	v_lshl_add_u64 v[0:1], v[2:3], 2, s[18:19]
	s_and_not1_b32 vcc_lo, exec_lo, s3
	s_cbranch_vccnz .LBB199_7
; %bb.15:                               ;   in Loop: Header=BB199_9 Depth=1
	global_load_b32 v3, v[0:1], off
	s_wait_loadcnt 0x0
	v_fmac_f32_e32 v7, s16, v3
	s_branch .LBB199_7
.LBB199_16:
	s_endpgm
	.section	.rodata,"a",@progbits
	.p2align	6, 0x0
	.amdhsa_kernel _ZN9rocsparseL21csrmvn_general_kernelILj256ELj4EiiDF16_DF16_ffEEvbT2_NS_24const_host_device_scalarIT6_EEPKT1_S7_PKS1_PKT3_PKT4_S4_PT5_21rocsparse_index_base_b
		.amdhsa_group_segment_fixed_size 0
		.amdhsa_private_segment_fixed_size 0
		.amdhsa_kernarg_size 336
		.amdhsa_user_sgpr_count 2
		.amdhsa_user_sgpr_dispatch_ptr 0
		.amdhsa_user_sgpr_queue_ptr 0
		.amdhsa_user_sgpr_kernarg_segment_ptr 1
		.amdhsa_user_sgpr_dispatch_id 0
		.amdhsa_user_sgpr_kernarg_preload_length 0
		.amdhsa_user_sgpr_kernarg_preload_offset 0
		.amdhsa_user_sgpr_private_segment_size 0
		.amdhsa_wavefront_size32 1
		.amdhsa_uses_dynamic_stack 0
		.amdhsa_enable_private_segment 0
		.amdhsa_system_sgpr_workgroup_id_x 1
		.amdhsa_system_sgpr_workgroup_id_y 0
		.amdhsa_system_sgpr_workgroup_id_z 0
		.amdhsa_system_sgpr_workgroup_info 0
		.amdhsa_system_vgpr_workitem_id 0
		.amdhsa_next_free_vgpr 9
		.amdhsa_next_free_sgpr 22
		.amdhsa_named_barrier_count 0
		.amdhsa_reserve_vcc 1
		.amdhsa_float_round_mode_32 0
		.amdhsa_float_round_mode_16_64 0
		.amdhsa_float_denorm_mode_32 3
		.amdhsa_float_denorm_mode_16_64 3
		.amdhsa_fp16_overflow 0
		.amdhsa_memory_ordered 1
		.amdhsa_forward_progress 1
		.amdhsa_inst_pref_size 6
		.amdhsa_round_robin_scheduling 0
		.amdhsa_exception_fp_ieee_invalid_op 0
		.amdhsa_exception_fp_denorm_src 0
		.amdhsa_exception_fp_ieee_div_zero 0
		.amdhsa_exception_fp_ieee_overflow 0
		.amdhsa_exception_fp_ieee_underflow 0
		.amdhsa_exception_fp_ieee_inexact 0
		.amdhsa_exception_int_div_zero 0
	.end_amdhsa_kernel
	.section	.text._ZN9rocsparseL21csrmvn_general_kernelILj256ELj4EiiDF16_DF16_ffEEvbT2_NS_24const_host_device_scalarIT6_EEPKT1_S7_PKS1_PKT3_PKT4_S4_PT5_21rocsparse_index_base_b,"axG",@progbits,_ZN9rocsparseL21csrmvn_general_kernelILj256ELj4EiiDF16_DF16_ffEEvbT2_NS_24const_host_device_scalarIT6_EEPKT1_S7_PKS1_PKT3_PKT4_S4_PT5_21rocsparse_index_base_b,comdat
.Lfunc_end199:
	.size	_ZN9rocsparseL21csrmvn_general_kernelILj256ELj4EiiDF16_DF16_ffEEvbT2_NS_24const_host_device_scalarIT6_EEPKT1_S7_PKS1_PKT3_PKT4_S4_PT5_21rocsparse_index_base_b, .Lfunc_end199-_ZN9rocsparseL21csrmvn_general_kernelILj256ELj4EiiDF16_DF16_ffEEvbT2_NS_24const_host_device_scalarIT6_EEPKT1_S7_PKS1_PKT3_PKT4_S4_PT5_21rocsparse_index_base_b
                                        ; -- End function
	.set _ZN9rocsparseL21csrmvn_general_kernelILj256ELj4EiiDF16_DF16_ffEEvbT2_NS_24const_host_device_scalarIT6_EEPKT1_S7_PKS1_PKT3_PKT4_S4_PT5_21rocsparse_index_base_b.num_vgpr, 9
	.set _ZN9rocsparseL21csrmvn_general_kernelILj256ELj4EiiDF16_DF16_ffEEvbT2_NS_24const_host_device_scalarIT6_EEPKT1_S7_PKS1_PKT3_PKT4_S4_PT5_21rocsparse_index_base_b.num_agpr, 0
	.set _ZN9rocsparseL21csrmvn_general_kernelILj256ELj4EiiDF16_DF16_ffEEvbT2_NS_24const_host_device_scalarIT6_EEPKT1_S7_PKS1_PKT3_PKT4_S4_PT5_21rocsparse_index_base_b.numbered_sgpr, 22
	.set _ZN9rocsparseL21csrmvn_general_kernelILj256ELj4EiiDF16_DF16_ffEEvbT2_NS_24const_host_device_scalarIT6_EEPKT1_S7_PKS1_PKT3_PKT4_S4_PT5_21rocsparse_index_base_b.num_named_barrier, 0
	.set _ZN9rocsparseL21csrmvn_general_kernelILj256ELj4EiiDF16_DF16_ffEEvbT2_NS_24const_host_device_scalarIT6_EEPKT1_S7_PKS1_PKT3_PKT4_S4_PT5_21rocsparse_index_base_b.private_seg_size, 0
	.set _ZN9rocsparseL21csrmvn_general_kernelILj256ELj4EiiDF16_DF16_ffEEvbT2_NS_24const_host_device_scalarIT6_EEPKT1_S7_PKS1_PKT3_PKT4_S4_PT5_21rocsparse_index_base_b.uses_vcc, 1
	.set _ZN9rocsparseL21csrmvn_general_kernelILj256ELj4EiiDF16_DF16_ffEEvbT2_NS_24const_host_device_scalarIT6_EEPKT1_S7_PKS1_PKT3_PKT4_S4_PT5_21rocsparse_index_base_b.uses_flat_scratch, 0
	.set _ZN9rocsparseL21csrmvn_general_kernelILj256ELj4EiiDF16_DF16_ffEEvbT2_NS_24const_host_device_scalarIT6_EEPKT1_S7_PKS1_PKT3_PKT4_S4_PT5_21rocsparse_index_base_b.has_dyn_sized_stack, 0
	.set _ZN9rocsparseL21csrmvn_general_kernelILj256ELj4EiiDF16_DF16_ffEEvbT2_NS_24const_host_device_scalarIT6_EEPKT1_S7_PKS1_PKT3_PKT4_S4_PT5_21rocsparse_index_base_b.has_recursion, 0
	.set _ZN9rocsparseL21csrmvn_general_kernelILj256ELj4EiiDF16_DF16_ffEEvbT2_NS_24const_host_device_scalarIT6_EEPKT1_S7_PKS1_PKT3_PKT4_S4_PT5_21rocsparse_index_base_b.has_indirect_call, 0
	.section	.AMDGPU.csdata,"",@progbits
; Kernel info:
; codeLenInByte = 672
; TotalNumSgprs: 24
; NumVgprs: 9
; ScratchSize: 0
; MemoryBound: 0
; FloatMode: 240
; IeeeMode: 1
; LDSByteSize: 0 bytes/workgroup (compile time only)
; SGPRBlocks: 0
; VGPRBlocks: 0
; NumSGPRsForWavesPerEU: 24
; NumVGPRsForWavesPerEU: 9
; NamedBarCnt: 0
; Occupancy: 16
; WaveLimiterHint : 1
; COMPUTE_PGM_RSRC2:SCRATCH_EN: 0
; COMPUTE_PGM_RSRC2:USER_SGPR: 2
; COMPUTE_PGM_RSRC2:TRAP_HANDLER: 0
; COMPUTE_PGM_RSRC2:TGID_X_EN: 1
; COMPUTE_PGM_RSRC2:TGID_Y_EN: 0
; COMPUTE_PGM_RSRC2:TGID_Z_EN: 0
; COMPUTE_PGM_RSRC2:TIDIG_COMP_CNT: 0
	.section	.text._ZN9rocsparseL21csrmvn_general_kernelILj256ELj8EiiDF16_DF16_ffEEvbT2_NS_24const_host_device_scalarIT6_EEPKT1_S7_PKS1_PKT3_PKT4_S4_PT5_21rocsparse_index_base_b,"axG",@progbits,_ZN9rocsparseL21csrmvn_general_kernelILj256ELj8EiiDF16_DF16_ffEEvbT2_NS_24const_host_device_scalarIT6_EEPKT1_S7_PKS1_PKT3_PKT4_S4_PT5_21rocsparse_index_base_b,comdat
	.globl	_ZN9rocsparseL21csrmvn_general_kernelILj256ELj8EiiDF16_DF16_ffEEvbT2_NS_24const_host_device_scalarIT6_EEPKT1_S7_PKS1_PKT3_PKT4_S4_PT5_21rocsparse_index_base_b ; -- Begin function _ZN9rocsparseL21csrmvn_general_kernelILj256ELj8EiiDF16_DF16_ffEEvbT2_NS_24const_host_device_scalarIT6_EEPKT1_S7_PKS1_PKT3_PKT4_S4_PT5_21rocsparse_index_base_b
	.p2align	8
	.type	_ZN9rocsparseL21csrmvn_general_kernelILj256ELj8EiiDF16_DF16_ffEEvbT2_NS_24const_host_device_scalarIT6_EEPKT1_S7_PKS1_PKT3_PKT4_S4_PT5_21rocsparse_index_base_b,@function
_ZN9rocsparseL21csrmvn_general_kernelILj256ELj8EiiDF16_DF16_ffEEvbT2_NS_24const_host_device_scalarIT6_EEPKT1_S7_PKS1_PKT3_PKT4_S4_PT5_21rocsparse_index_base_b: ; @_ZN9rocsparseL21csrmvn_general_kernelILj256ELj8EiiDF16_DF16_ffEEvbT2_NS_24const_host_device_scalarIT6_EEPKT1_S7_PKS1_PKT3_PKT4_S4_PT5_21rocsparse_index_base_b
; %bb.0:
	s_clause 0x2
	s_load_b64 s[2:3], s[0:1], 0x48
	s_load_b128 s[12:15], s[0:1], 0x8
	s_load_b64 s[16:17], s[0:1], 0x38
	s_wait_kmcnt 0x0
	s_bitcmp1_b32 s3, 0
	s_cselect_b32 s3, -1, 0
	s_delay_alu instid0(SALU_CYCLE_1)
	s_and_b32 vcc_lo, exec_lo, s3
	s_xor_b32 s3, s3, -1
	s_cbranch_vccnz .LBB200_2
; %bb.1:
	s_load_b32 s12, s[12:13], 0x0
.LBB200_2:
	s_and_not1_b32 vcc_lo, exec_lo, s3
	s_cbranch_vccnz .LBB200_4
; %bb.3:
	s_load_b32 s16, s[16:17], 0x0
.LBB200_4:
	s_wait_kmcnt 0x0
	s_cmp_neq_f32 s12, 0
	s_cselect_b32 s3, -1, 0
	s_cmp_neq_f32 s16, 1.0
	s_cselect_b32 s4, -1, 0
	s_delay_alu instid0(SALU_CYCLE_1) | instskip(NEXT) | instid1(SALU_CYCLE_1)
	s_or_b32 s3, s3, s4
	s_and_not1_b32 vcc_lo, exec_lo, s3
	s_cbranch_vccnz .LBB200_16
; %bb.5:
	s_bfe_u32 s3, ttmp6, 0x4000c
	s_load_b32 s13, s[0:1], 0x4
	s_add_co_i32 s3, s3, 1
	s_and_b32 s4, ttmp6, 15
	s_mul_i32 s3, ttmp9, s3
	s_getreg_b32 s5, hwreg(HW_REG_IB_STS2, 6, 4)
	s_add_co_i32 s4, s4, s3
	s_cmp_eq_u32 s5, 0
	s_cselect_b32 s3, ttmp9, s4
	s_delay_alu instid0(SALU_CYCLE_1) | instskip(SKIP_1) | instid1(VALU_DEP_1)
	v_lshl_or_b32 v1, s3, 8, v0
	s_mov_b32 s3, exec_lo
	v_lshrrev_b32_e32 v2, 3, v1
	s_wait_kmcnt 0x0
	s_delay_alu instid0(VALU_DEP_1)
	v_cmpx_gt_i32_e64 s13, v2
	s_cbranch_execz .LBB200_16
; %bb.6:
	v_mbcnt_lo_u32_b32 v1, -1, 0
	s_clause 0x2
	s_load_b32 s17, s[0:1], 0x50
	s_load_b64 s[18:19], s[0:1], 0x40
	s_load_b256 s[4:11], s[0:1], 0x18
	s_ashr_i32 s3, s2, 31
	s_delay_alu instid0(SALU_CYCLE_1) | instskip(SKIP_2) | instid1(VALU_DEP_1)
	s_lshl_b64 s[20:21], s[2:3], 1
	v_xor_b32_e32 v6, 1, v1
	v_xor_b32_e32 v3, 4, v1
	v_cmp_gt_i32_e32 vcc_lo, 32, v3
	v_xor_b32_e32 v5, 2, v1
	v_and_b32_e32 v0, 7, v0
	s_delay_alu instid0(VALU_DEP_1)
	v_subrev_nc_u32_e32 v4, s2, v0
	s_wait_xcnt 0x0
	v_cmp_eq_u32_e64 s0, 7, v0
	v_cndmask_b32_e32 v0, v1, v3, vcc_lo
	v_cmp_gt_i32_e32 vcc_lo, 32, v5
	s_wait_kmcnt 0x0
	s_lshl_b32 s1, s17, 5
	s_cmp_neq_f32 s16, 0
	s_sub_nc_u64 s[10:11], s[10:11], s[20:21]
	s_mov_b32 s17, 0
	v_dual_cndmask_b32 v3, v1, v5, vcc_lo :: v_dual_lshlrev_b32 v5, 2, v0
	v_cmp_gt_i32_e32 vcc_lo, 32, v6
	s_cselect_b32 s3, -1, 0
	s_delay_alu instid0(VALU_DEP_2) | instskip(NEXT) | instid1(VALU_DEP_1)
	v_dual_cndmask_b32 v1, v1, v6 :: v_dual_lshlrev_b32 v6, 2, v3
	v_lshlrev_b32_e32 v7, 2, v1
	s_branch .LBB200_9
.LBB200_7:                              ;   in Loop: Header=BB200_9 Depth=1
	global_store_b32 v[0:1], v8, off
.LBB200_8:                              ;   in Loop: Header=BB200_9 Depth=1
	s_wait_xcnt 0x0
	s_or_b32 exec_lo, exec_lo, s20
	v_add_nc_u32_e32 v2, s1, v2
	s_delay_alu instid0(VALU_DEP_1) | instskip(SKIP_1) | instid1(SALU_CYCLE_1)
	v_cmp_le_i32_e32 vcc_lo, s13, v2
	s_or_b32 s17, vcc_lo, s17
	s_and_not1_b32 exec_lo, exec_lo, s17
	s_cbranch_execz .LBB200_16
.LBB200_9:                              ; =>This Loop Header: Depth=1
                                        ;     Child Loop BB200_11 Depth 2
	s_clause 0x1
	global_load_b32 v0, v2, s[4:5] scale_offset
	global_load_b32 v3, v2, s[14:15] scale_offset
	s_mov_b32 s20, exec_lo
	s_wait_loadcnt_dscnt 0x100
	v_subrev_nc_u32_e32 v1, s2, v0
	s_wait_loadcnt 0x0
	v_dual_mov_b32 v0, 0 :: v_dual_add_nc_u32 v3, v3, v4
	s_wait_xcnt 0x0
	s_delay_alu instid0(VALU_DEP_1)
	v_cmpx_lt_i32_e64 v3, v1
	s_cbranch_execz .LBB200_13
; %bb.10:                               ;   in Loop: Header=BB200_9 Depth=1
	v_mov_b32_e32 v0, 0
	s_mov_b32 s21, 0
.LBB200_11:                             ;   Parent Loop BB200_9 Depth=1
                                        ; =>  This Inner Loop Header: Depth=2
	s_clause 0x1
	global_load_b32 v8, v3, s[6:7] scale_offset
	global_load_u16 v9, v3, s[8:9] scale_offset
	s_wait_loadcnt 0x1
	global_load_u16 v8, v8, s[10:11] scale_offset
	s_wait_loadcnt 0x1
	v_cvt_f32_f16_e32 v9, v9
	s_wait_xcnt 0x1
	s_delay_alu instid0(VALU_DEP_1) | instskip(NEXT) | instid1(VALU_DEP_1)
	v_dual_add_nc_u32 v3, 8, v3 :: v_dual_mul_f32 v9, s12, v9
	v_cmp_ge_i32_e32 vcc_lo, v3, v1
	s_or_b32 s21, vcc_lo, s21
	s_wait_loadcnt 0x0
	s_delay_alu instid0(VALU_DEP_2)
	v_fma_mix_f32 v0, v9, v8, v0 op_sel_hi:[0,1,0]
	s_wait_xcnt 0x0
	s_and_not1_b32 exec_lo, exec_lo, s21
	s_cbranch_execnz .LBB200_11
; %bb.12:                               ;   in Loop: Header=BB200_9 Depth=1
	s_or_b32 exec_lo, exec_lo, s21
.LBB200_13:                             ;   in Loop: Header=BB200_9 Depth=1
	s_delay_alu instid0(SALU_CYCLE_1)
	s_or_b32 exec_lo, exec_lo, s20
	ds_bpermute_b32 v1, v5, v0
	s_wait_dscnt 0x0
	v_dual_add_f32 v0, v0, v1 :: v_dual_ashrrev_i32 v3, 31, v2
	ds_bpermute_b32 v1, v6, v0
	s_wait_dscnt 0x0
	v_add_f32_e32 v0, v0, v1
	ds_bpermute_b32 v1, v7, v0
	s_and_saveexec_b32 s20, s0
	s_cbranch_execz .LBB200_8
; %bb.14:                               ;   in Loop: Header=BB200_9 Depth=1
	s_wait_dscnt 0x0
	v_add_f32_e32 v8, v0, v1
	v_lshl_add_u64 v[0:1], v[2:3], 2, s[18:19]
	s_and_not1_b32 vcc_lo, exec_lo, s3
	s_cbranch_vccnz .LBB200_7
; %bb.15:                               ;   in Loop: Header=BB200_9 Depth=1
	global_load_b32 v3, v[0:1], off
	s_wait_loadcnt 0x0
	v_fmac_f32_e32 v8, s16, v3
	s_branch .LBB200_7
.LBB200_16:
	s_endpgm
	.section	.rodata,"a",@progbits
	.p2align	6, 0x0
	.amdhsa_kernel _ZN9rocsparseL21csrmvn_general_kernelILj256ELj8EiiDF16_DF16_ffEEvbT2_NS_24const_host_device_scalarIT6_EEPKT1_S7_PKS1_PKT3_PKT4_S4_PT5_21rocsparse_index_base_b
		.amdhsa_group_segment_fixed_size 0
		.amdhsa_private_segment_fixed_size 0
		.amdhsa_kernarg_size 336
		.amdhsa_user_sgpr_count 2
		.amdhsa_user_sgpr_dispatch_ptr 0
		.amdhsa_user_sgpr_queue_ptr 0
		.amdhsa_user_sgpr_kernarg_segment_ptr 1
		.amdhsa_user_sgpr_dispatch_id 0
		.amdhsa_user_sgpr_kernarg_preload_length 0
		.amdhsa_user_sgpr_kernarg_preload_offset 0
		.amdhsa_user_sgpr_private_segment_size 0
		.amdhsa_wavefront_size32 1
		.amdhsa_uses_dynamic_stack 0
		.amdhsa_enable_private_segment 0
		.amdhsa_system_sgpr_workgroup_id_x 1
		.amdhsa_system_sgpr_workgroup_id_y 0
		.amdhsa_system_sgpr_workgroup_id_z 0
		.amdhsa_system_sgpr_workgroup_info 0
		.amdhsa_system_vgpr_workitem_id 0
		.amdhsa_next_free_vgpr 10
		.amdhsa_next_free_sgpr 22
		.amdhsa_named_barrier_count 0
		.amdhsa_reserve_vcc 1
		.amdhsa_float_round_mode_32 0
		.amdhsa_float_round_mode_16_64 0
		.amdhsa_float_denorm_mode_32 3
		.amdhsa_float_denorm_mode_16_64 3
		.amdhsa_fp16_overflow 0
		.amdhsa_memory_ordered 1
		.amdhsa_forward_progress 1
		.amdhsa_inst_pref_size 6
		.amdhsa_round_robin_scheduling 0
		.amdhsa_exception_fp_ieee_invalid_op 0
		.amdhsa_exception_fp_denorm_src 0
		.amdhsa_exception_fp_ieee_div_zero 0
		.amdhsa_exception_fp_ieee_overflow 0
		.amdhsa_exception_fp_ieee_underflow 0
		.amdhsa_exception_fp_ieee_inexact 0
		.amdhsa_exception_int_div_zero 0
	.end_amdhsa_kernel
	.section	.text._ZN9rocsparseL21csrmvn_general_kernelILj256ELj8EiiDF16_DF16_ffEEvbT2_NS_24const_host_device_scalarIT6_EEPKT1_S7_PKS1_PKT3_PKT4_S4_PT5_21rocsparse_index_base_b,"axG",@progbits,_ZN9rocsparseL21csrmvn_general_kernelILj256ELj8EiiDF16_DF16_ffEEvbT2_NS_24const_host_device_scalarIT6_EEPKT1_S7_PKS1_PKT3_PKT4_S4_PT5_21rocsparse_index_base_b,comdat
.Lfunc_end200:
	.size	_ZN9rocsparseL21csrmvn_general_kernelILj256ELj8EiiDF16_DF16_ffEEvbT2_NS_24const_host_device_scalarIT6_EEPKT1_S7_PKS1_PKT3_PKT4_S4_PT5_21rocsparse_index_base_b, .Lfunc_end200-_ZN9rocsparseL21csrmvn_general_kernelILj256ELj8EiiDF16_DF16_ffEEvbT2_NS_24const_host_device_scalarIT6_EEPKT1_S7_PKS1_PKT3_PKT4_S4_PT5_21rocsparse_index_base_b
                                        ; -- End function
	.set _ZN9rocsparseL21csrmvn_general_kernelILj256ELj8EiiDF16_DF16_ffEEvbT2_NS_24const_host_device_scalarIT6_EEPKT1_S7_PKS1_PKT3_PKT4_S4_PT5_21rocsparse_index_base_b.num_vgpr, 10
	.set _ZN9rocsparseL21csrmvn_general_kernelILj256ELj8EiiDF16_DF16_ffEEvbT2_NS_24const_host_device_scalarIT6_EEPKT1_S7_PKS1_PKT3_PKT4_S4_PT5_21rocsparse_index_base_b.num_agpr, 0
	.set _ZN9rocsparseL21csrmvn_general_kernelILj256ELj8EiiDF16_DF16_ffEEvbT2_NS_24const_host_device_scalarIT6_EEPKT1_S7_PKS1_PKT3_PKT4_S4_PT5_21rocsparse_index_base_b.numbered_sgpr, 22
	.set _ZN9rocsparseL21csrmvn_general_kernelILj256ELj8EiiDF16_DF16_ffEEvbT2_NS_24const_host_device_scalarIT6_EEPKT1_S7_PKS1_PKT3_PKT4_S4_PT5_21rocsparse_index_base_b.num_named_barrier, 0
	.set _ZN9rocsparseL21csrmvn_general_kernelILj256ELj8EiiDF16_DF16_ffEEvbT2_NS_24const_host_device_scalarIT6_EEPKT1_S7_PKS1_PKT3_PKT4_S4_PT5_21rocsparse_index_base_b.private_seg_size, 0
	.set _ZN9rocsparseL21csrmvn_general_kernelILj256ELj8EiiDF16_DF16_ffEEvbT2_NS_24const_host_device_scalarIT6_EEPKT1_S7_PKS1_PKT3_PKT4_S4_PT5_21rocsparse_index_base_b.uses_vcc, 1
	.set _ZN9rocsparseL21csrmvn_general_kernelILj256ELj8EiiDF16_DF16_ffEEvbT2_NS_24const_host_device_scalarIT6_EEPKT1_S7_PKS1_PKT3_PKT4_S4_PT5_21rocsparse_index_base_b.uses_flat_scratch, 0
	.set _ZN9rocsparseL21csrmvn_general_kernelILj256ELj8EiiDF16_DF16_ffEEvbT2_NS_24const_host_device_scalarIT6_EEPKT1_S7_PKS1_PKT3_PKT4_S4_PT5_21rocsparse_index_base_b.has_dyn_sized_stack, 0
	.set _ZN9rocsparseL21csrmvn_general_kernelILj256ELj8EiiDF16_DF16_ffEEvbT2_NS_24const_host_device_scalarIT6_EEPKT1_S7_PKS1_PKT3_PKT4_S4_PT5_21rocsparse_index_base_b.has_recursion, 0
	.set _ZN9rocsparseL21csrmvn_general_kernelILj256ELj8EiiDF16_DF16_ffEEvbT2_NS_24const_host_device_scalarIT6_EEPKT1_S7_PKS1_PKT3_PKT4_S4_PT5_21rocsparse_index_base_b.has_indirect_call, 0
	.section	.AMDGPU.csdata,"",@progbits
; Kernel info:
; codeLenInByte = 704
; TotalNumSgprs: 24
; NumVgprs: 10
; ScratchSize: 0
; MemoryBound: 0
; FloatMode: 240
; IeeeMode: 1
; LDSByteSize: 0 bytes/workgroup (compile time only)
; SGPRBlocks: 0
; VGPRBlocks: 0
; NumSGPRsForWavesPerEU: 24
; NumVGPRsForWavesPerEU: 10
; NamedBarCnt: 0
; Occupancy: 16
; WaveLimiterHint : 1
; COMPUTE_PGM_RSRC2:SCRATCH_EN: 0
; COMPUTE_PGM_RSRC2:USER_SGPR: 2
; COMPUTE_PGM_RSRC2:TRAP_HANDLER: 0
; COMPUTE_PGM_RSRC2:TGID_X_EN: 1
; COMPUTE_PGM_RSRC2:TGID_Y_EN: 0
; COMPUTE_PGM_RSRC2:TGID_Z_EN: 0
; COMPUTE_PGM_RSRC2:TIDIG_COMP_CNT: 0
	.section	.text._ZN9rocsparseL21csrmvn_general_kernelILj256ELj16EiiDF16_DF16_ffEEvbT2_NS_24const_host_device_scalarIT6_EEPKT1_S7_PKS1_PKT3_PKT4_S4_PT5_21rocsparse_index_base_b,"axG",@progbits,_ZN9rocsparseL21csrmvn_general_kernelILj256ELj16EiiDF16_DF16_ffEEvbT2_NS_24const_host_device_scalarIT6_EEPKT1_S7_PKS1_PKT3_PKT4_S4_PT5_21rocsparse_index_base_b,comdat
	.globl	_ZN9rocsparseL21csrmvn_general_kernelILj256ELj16EiiDF16_DF16_ffEEvbT2_NS_24const_host_device_scalarIT6_EEPKT1_S7_PKS1_PKT3_PKT4_S4_PT5_21rocsparse_index_base_b ; -- Begin function _ZN9rocsparseL21csrmvn_general_kernelILj256ELj16EiiDF16_DF16_ffEEvbT2_NS_24const_host_device_scalarIT6_EEPKT1_S7_PKS1_PKT3_PKT4_S4_PT5_21rocsparse_index_base_b
	.p2align	8
	.type	_ZN9rocsparseL21csrmvn_general_kernelILj256ELj16EiiDF16_DF16_ffEEvbT2_NS_24const_host_device_scalarIT6_EEPKT1_S7_PKS1_PKT3_PKT4_S4_PT5_21rocsparse_index_base_b,@function
_ZN9rocsparseL21csrmvn_general_kernelILj256ELj16EiiDF16_DF16_ffEEvbT2_NS_24const_host_device_scalarIT6_EEPKT1_S7_PKS1_PKT3_PKT4_S4_PT5_21rocsparse_index_base_b: ; @_ZN9rocsparseL21csrmvn_general_kernelILj256ELj16EiiDF16_DF16_ffEEvbT2_NS_24const_host_device_scalarIT6_EEPKT1_S7_PKS1_PKT3_PKT4_S4_PT5_21rocsparse_index_base_b
; %bb.0:
	s_clause 0x2
	s_load_b64 s[2:3], s[0:1], 0x48
	s_load_b128 s[12:15], s[0:1], 0x8
	s_load_b64 s[16:17], s[0:1], 0x38
	s_wait_kmcnt 0x0
	s_bitcmp1_b32 s3, 0
	s_cselect_b32 s3, -1, 0
	s_delay_alu instid0(SALU_CYCLE_1)
	s_and_b32 vcc_lo, exec_lo, s3
	s_xor_b32 s3, s3, -1
	s_cbranch_vccnz .LBB201_2
; %bb.1:
	s_load_b32 s12, s[12:13], 0x0
.LBB201_2:
	s_and_not1_b32 vcc_lo, exec_lo, s3
	s_cbranch_vccnz .LBB201_4
; %bb.3:
	s_load_b32 s16, s[16:17], 0x0
.LBB201_4:
	s_wait_kmcnt 0x0
	s_cmp_neq_f32 s12, 0
	s_cselect_b32 s3, -1, 0
	s_cmp_neq_f32 s16, 1.0
	s_cselect_b32 s4, -1, 0
	s_delay_alu instid0(SALU_CYCLE_1) | instskip(NEXT) | instid1(SALU_CYCLE_1)
	s_or_b32 s3, s3, s4
	s_and_not1_b32 vcc_lo, exec_lo, s3
	s_cbranch_vccnz .LBB201_16
; %bb.5:
	s_bfe_u32 s3, ttmp6, 0x4000c
	s_load_b32 s13, s[0:1], 0x4
	s_add_co_i32 s3, s3, 1
	s_and_b32 s4, ttmp6, 15
	s_mul_i32 s3, ttmp9, s3
	s_getreg_b32 s5, hwreg(HW_REG_IB_STS2, 6, 4)
	s_add_co_i32 s4, s4, s3
	s_cmp_eq_u32 s5, 0
	s_cselect_b32 s3, ttmp9, s4
	s_delay_alu instid0(SALU_CYCLE_1) | instskip(SKIP_1) | instid1(VALU_DEP_1)
	v_lshl_or_b32 v1, s3, 8, v0
	s_mov_b32 s3, exec_lo
	v_lshrrev_b32_e32 v2, 4, v1
	s_wait_kmcnt 0x0
	s_delay_alu instid0(VALU_DEP_1)
	v_cmpx_gt_i32_e64 s13, v2
	s_cbranch_execz .LBB201_16
; %bb.6:
	v_mbcnt_lo_u32_b32 v1, -1, 0
	s_clause 0x2
	s_load_b32 s17, s[0:1], 0x50
	s_load_b64 s[18:19], s[0:1], 0x40
	s_load_b256 s[4:11], s[0:1], 0x18
	s_ashr_i32 s3, s2, 31
	s_delay_alu instid0(SALU_CYCLE_1) | instskip(SKIP_4) | instid1(VALU_DEP_3)
	s_lshl_b64 s[20:21], s[2:3], 1
	v_xor_b32_e32 v6, 2, v1
	v_xor_b32_e32 v3, 8, v1
	;; [unrolled: 1-line block ×4, first 2 shown]
	v_cmp_gt_i32_e32 vcc_lo, 32, v3
	v_dual_cndmask_b32 v3, v1, v3, vcc_lo :: v_dual_bitop2_b32 v0, 15, v0 bitop3:0x40
	s_delay_alu instid0(VALU_DEP_3) | instskip(NEXT) | instid1(VALU_DEP_2)
	v_cmp_gt_i32_e32 vcc_lo, 32, v5
	v_subrev_nc_u32_e32 v4, s2, v0
	s_wait_kmcnt 0x0
	s_lshl_b32 s1, s17, 4
	s_cmp_neq_f32 s16, 0
	v_cmp_eq_u32_e64 s0, 15, v0
	v_dual_cndmask_b32 v8, v1, v5 :: v_dual_lshlrev_b32 v5, 2, v3
	v_cmp_gt_i32_e32 vcc_lo, 32, v6
	s_cselect_b32 s3, -1, 0
	s_sub_nc_u64 s[10:11], s[10:11], s[20:21]
	s_mov_b32 s17, 0
	v_dual_cndmask_b32 v9, v1, v6 :: v_dual_lshlrev_b32 v6, 2, v8
	v_cmp_gt_i32_e32 vcc_lo, 32, v7
	s_delay_alu instid0(VALU_DEP_2) | instskip(NEXT) | instid1(VALU_DEP_1)
	v_dual_cndmask_b32 v1, v1, v7, vcc_lo :: v_dual_lshlrev_b32 v7, 2, v9
	v_lshlrev_b32_e32 v8, 2, v1
	s_branch .LBB201_9
.LBB201_7:                              ;   in Loop: Header=BB201_9 Depth=1
	global_store_b32 v[0:1], v9, off
.LBB201_8:                              ;   in Loop: Header=BB201_9 Depth=1
	s_wait_xcnt 0x0
	s_or_b32 exec_lo, exec_lo, s20
	v_add_nc_u32_e32 v2, s1, v2
	s_delay_alu instid0(VALU_DEP_1) | instskip(SKIP_1) | instid1(SALU_CYCLE_1)
	v_cmp_le_i32_e32 vcc_lo, s13, v2
	s_or_b32 s17, vcc_lo, s17
	s_and_not1_b32 exec_lo, exec_lo, s17
	s_cbranch_execz .LBB201_16
.LBB201_9:                              ; =>This Loop Header: Depth=1
                                        ;     Child Loop BB201_11 Depth 2
	s_clause 0x1
	global_load_b32 v0, v2, s[4:5] scale_offset
	global_load_b32 v3, v2, s[14:15] scale_offset
	s_mov_b32 s20, exec_lo
	s_wait_loadcnt_dscnt 0x100
	v_subrev_nc_u32_e32 v1, s2, v0
	s_wait_loadcnt 0x0
	v_dual_mov_b32 v0, 0 :: v_dual_add_nc_u32 v3, v3, v4
	s_wait_xcnt 0x0
	s_delay_alu instid0(VALU_DEP_1)
	v_cmpx_lt_i32_e64 v3, v1
	s_cbranch_execz .LBB201_13
; %bb.10:                               ;   in Loop: Header=BB201_9 Depth=1
	v_mov_b32_e32 v0, 0
	s_mov_b32 s21, 0
.LBB201_11:                             ;   Parent Loop BB201_9 Depth=1
                                        ; =>  This Inner Loop Header: Depth=2
	s_clause 0x1
	global_load_b32 v9, v3, s[6:7] scale_offset
	global_load_u16 v10, v3, s[8:9] scale_offset
	s_wait_loadcnt 0x1
	global_load_u16 v9, v9, s[10:11] scale_offset
	s_wait_loadcnt 0x1
	v_cvt_f32_f16_e32 v10, v10
	s_wait_xcnt 0x1
	s_delay_alu instid0(VALU_DEP_1) | instskip(NEXT) | instid1(VALU_DEP_1)
	v_dual_mul_f32 v10, s12, v10 :: v_dual_add_nc_u32 v3, 16, v3
	v_cmp_ge_i32_e32 vcc_lo, v3, v1
	s_or_b32 s21, vcc_lo, s21
	s_wait_loadcnt 0x0
	s_delay_alu instid0(VALU_DEP_2)
	v_fma_mix_f32 v0, v10, v9, v0 op_sel_hi:[0,1,0]
	s_wait_xcnt 0x0
	s_and_not1_b32 exec_lo, exec_lo, s21
	s_cbranch_execnz .LBB201_11
; %bb.12:                               ;   in Loop: Header=BB201_9 Depth=1
	s_or_b32 exec_lo, exec_lo, s21
.LBB201_13:                             ;   in Loop: Header=BB201_9 Depth=1
	s_delay_alu instid0(SALU_CYCLE_1)
	s_or_b32 exec_lo, exec_lo, s20
	ds_bpermute_b32 v1, v5, v0
	s_wait_dscnt 0x0
	v_dual_add_f32 v0, v0, v1 :: v_dual_ashrrev_i32 v3, 31, v2
	ds_bpermute_b32 v1, v6, v0
	s_wait_dscnt 0x0
	v_add_f32_e32 v0, v0, v1
	ds_bpermute_b32 v1, v7, v0
	s_wait_dscnt 0x0
	v_add_f32_e32 v0, v0, v1
	ds_bpermute_b32 v1, v8, v0
	s_and_saveexec_b32 s20, s0
	s_cbranch_execz .LBB201_8
; %bb.14:                               ;   in Loop: Header=BB201_9 Depth=1
	s_wait_dscnt 0x0
	v_add_f32_e32 v9, v0, v1
	v_lshl_add_u64 v[0:1], v[2:3], 2, s[18:19]
	s_and_not1_b32 vcc_lo, exec_lo, s3
	s_cbranch_vccnz .LBB201_7
; %bb.15:                               ;   in Loop: Header=BB201_9 Depth=1
	global_load_b32 v3, v[0:1], off
	s_wait_loadcnt 0x0
	v_fmac_f32_e32 v9, s16, v3
	s_branch .LBB201_7
.LBB201_16:
	s_endpgm
	.section	.rodata,"a",@progbits
	.p2align	6, 0x0
	.amdhsa_kernel _ZN9rocsparseL21csrmvn_general_kernelILj256ELj16EiiDF16_DF16_ffEEvbT2_NS_24const_host_device_scalarIT6_EEPKT1_S7_PKS1_PKT3_PKT4_S4_PT5_21rocsparse_index_base_b
		.amdhsa_group_segment_fixed_size 0
		.amdhsa_private_segment_fixed_size 0
		.amdhsa_kernarg_size 336
		.amdhsa_user_sgpr_count 2
		.amdhsa_user_sgpr_dispatch_ptr 0
		.amdhsa_user_sgpr_queue_ptr 0
		.amdhsa_user_sgpr_kernarg_segment_ptr 1
		.amdhsa_user_sgpr_dispatch_id 0
		.amdhsa_user_sgpr_kernarg_preload_length 0
		.amdhsa_user_sgpr_kernarg_preload_offset 0
		.amdhsa_user_sgpr_private_segment_size 0
		.amdhsa_wavefront_size32 1
		.amdhsa_uses_dynamic_stack 0
		.amdhsa_enable_private_segment 0
		.amdhsa_system_sgpr_workgroup_id_x 1
		.amdhsa_system_sgpr_workgroup_id_y 0
		.amdhsa_system_sgpr_workgroup_id_z 0
		.amdhsa_system_sgpr_workgroup_info 0
		.amdhsa_system_vgpr_workitem_id 0
		.amdhsa_next_free_vgpr 11
		.amdhsa_next_free_sgpr 22
		.amdhsa_named_barrier_count 0
		.amdhsa_reserve_vcc 1
		.amdhsa_float_round_mode_32 0
		.amdhsa_float_round_mode_16_64 0
		.amdhsa_float_denorm_mode_32 3
		.amdhsa_float_denorm_mode_16_64 3
		.amdhsa_fp16_overflow 0
		.amdhsa_memory_ordered 1
		.amdhsa_forward_progress 1
		.amdhsa_inst_pref_size 6
		.amdhsa_round_robin_scheduling 0
		.amdhsa_exception_fp_ieee_invalid_op 0
		.amdhsa_exception_fp_denorm_src 0
		.amdhsa_exception_fp_ieee_div_zero 0
		.amdhsa_exception_fp_ieee_overflow 0
		.amdhsa_exception_fp_ieee_underflow 0
		.amdhsa_exception_fp_ieee_inexact 0
		.amdhsa_exception_int_div_zero 0
	.end_amdhsa_kernel
	.section	.text._ZN9rocsparseL21csrmvn_general_kernelILj256ELj16EiiDF16_DF16_ffEEvbT2_NS_24const_host_device_scalarIT6_EEPKT1_S7_PKS1_PKT3_PKT4_S4_PT5_21rocsparse_index_base_b,"axG",@progbits,_ZN9rocsparseL21csrmvn_general_kernelILj256ELj16EiiDF16_DF16_ffEEvbT2_NS_24const_host_device_scalarIT6_EEPKT1_S7_PKS1_PKT3_PKT4_S4_PT5_21rocsparse_index_base_b,comdat
.Lfunc_end201:
	.size	_ZN9rocsparseL21csrmvn_general_kernelILj256ELj16EiiDF16_DF16_ffEEvbT2_NS_24const_host_device_scalarIT6_EEPKT1_S7_PKS1_PKT3_PKT4_S4_PT5_21rocsparse_index_base_b, .Lfunc_end201-_ZN9rocsparseL21csrmvn_general_kernelILj256ELj16EiiDF16_DF16_ffEEvbT2_NS_24const_host_device_scalarIT6_EEPKT1_S7_PKS1_PKT3_PKT4_S4_PT5_21rocsparse_index_base_b
                                        ; -- End function
	.set _ZN9rocsparseL21csrmvn_general_kernelILj256ELj16EiiDF16_DF16_ffEEvbT2_NS_24const_host_device_scalarIT6_EEPKT1_S7_PKS1_PKT3_PKT4_S4_PT5_21rocsparse_index_base_b.num_vgpr, 11
	.set _ZN9rocsparseL21csrmvn_general_kernelILj256ELj16EiiDF16_DF16_ffEEvbT2_NS_24const_host_device_scalarIT6_EEPKT1_S7_PKS1_PKT3_PKT4_S4_PT5_21rocsparse_index_base_b.num_agpr, 0
	.set _ZN9rocsparseL21csrmvn_general_kernelILj256ELj16EiiDF16_DF16_ffEEvbT2_NS_24const_host_device_scalarIT6_EEPKT1_S7_PKS1_PKT3_PKT4_S4_PT5_21rocsparse_index_base_b.numbered_sgpr, 22
	.set _ZN9rocsparseL21csrmvn_general_kernelILj256ELj16EiiDF16_DF16_ffEEvbT2_NS_24const_host_device_scalarIT6_EEPKT1_S7_PKS1_PKT3_PKT4_S4_PT5_21rocsparse_index_base_b.num_named_barrier, 0
	.set _ZN9rocsparseL21csrmvn_general_kernelILj256ELj16EiiDF16_DF16_ffEEvbT2_NS_24const_host_device_scalarIT6_EEPKT1_S7_PKS1_PKT3_PKT4_S4_PT5_21rocsparse_index_base_b.private_seg_size, 0
	.set _ZN9rocsparseL21csrmvn_general_kernelILj256ELj16EiiDF16_DF16_ffEEvbT2_NS_24const_host_device_scalarIT6_EEPKT1_S7_PKS1_PKT3_PKT4_S4_PT5_21rocsparse_index_base_b.uses_vcc, 1
	.set _ZN9rocsparseL21csrmvn_general_kernelILj256ELj16EiiDF16_DF16_ffEEvbT2_NS_24const_host_device_scalarIT6_EEPKT1_S7_PKS1_PKT3_PKT4_S4_PT5_21rocsparse_index_base_b.uses_flat_scratch, 0
	.set _ZN9rocsparseL21csrmvn_general_kernelILj256ELj16EiiDF16_DF16_ffEEvbT2_NS_24const_host_device_scalarIT6_EEPKT1_S7_PKS1_PKT3_PKT4_S4_PT5_21rocsparse_index_base_b.has_dyn_sized_stack, 0
	.set _ZN9rocsparseL21csrmvn_general_kernelILj256ELj16EiiDF16_DF16_ffEEvbT2_NS_24const_host_device_scalarIT6_EEPKT1_S7_PKS1_PKT3_PKT4_S4_PT5_21rocsparse_index_base_b.has_recursion, 0
	.set _ZN9rocsparseL21csrmvn_general_kernelILj256ELj16EiiDF16_DF16_ffEEvbT2_NS_24const_host_device_scalarIT6_EEPKT1_S7_PKS1_PKT3_PKT4_S4_PT5_21rocsparse_index_base_b.has_indirect_call, 0
	.section	.AMDGPU.csdata,"",@progbits
; Kernel info:
; codeLenInByte = 732
; TotalNumSgprs: 24
; NumVgprs: 11
; ScratchSize: 0
; MemoryBound: 0
; FloatMode: 240
; IeeeMode: 1
; LDSByteSize: 0 bytes/workgroup (compile time only)
; SGPRBlocks: 0
; VGPRBlocks: 0
; NumSGPRsForWavesPerEU: 24
; NumVGPRsForWavesPerEU: 11
; NamedBarCnt: 0
; Occupancy: 16
; WaveLimiterHint : 1
; COMPUTE_PGM_RSRC2:SCRATCH_EN: 0
; COMPUTE_PGM_RSRC2:USER_SGPR: 2
; COMPUTE_PGM_RSRC2:TRAP_HANDLER: 0
; COMPUTE_PGM_RSRC2:TGID_X_EN: 1
; COMPUTE_PGM_RSRC2:TGID_Y_EN: 0
; COMPUTE_PGM_RSRC2:TGID_Z_EN: 0
; COMPUTE_PGM_RSRC2:TIDIG_COMP_CNT: 0
	.section	.text._ZN9rocsparseL21csrmvn_general_kernelILj256ELj32EiiDF16_DF16_ffEEvbT2_NS_24const_host_device_scalarIT6_EEPKT1_S7_PKS1_PKT3_PKT4_S4_PT5_21rocsparse_index_base_b,"axG",@progbits,_ZN9rocsparseL21csrmvn_general_kernelILj256ELj32EiiDF16_DF16_ffEEvbT2_NS_24const_host_device_scalarIT6_EEPKT1_S7_PKS1_PKT3_PKT4_S4_PT5_21rocsparse_index_base_b,comdat
	.globl	_ZN9rocsparseL21csrmvn_general_kernelILj256ELj32EiiDF16_DF16_ffEEvbT2_NS_24const_host_device_scalarIT6_EEPKT1_S7_PKS1_PKT3_PKT4_S4_PT5_21rocsparse_index_base_b ; -- Begin function _ZN9rocsparseL21csrmvn_general_kernelILj256ELj32EiiDF16_DF16_ffEEvbT2_NS_24const_host_device_scalarIT6_EEPKT1_S7_PKS1_PKT3_PKT4_S4_PT5_21rocsparse_index_base_b
	.p2align	8
	.type	_ZN9rocsparseL21csrmvn_general_kernelILj256ELj32EiiDF16_DF16_ffEEvbT2_NS_24const_host_device_scalarIT6_EEPKT1_S7_PKS1_PKT3_PKT4_S4_PT5_21rocsparse_index_base_b,@function
_ZN9rocsparseL21csrmvn_general_kernelILj256ELj32EiiDF16_DF16_ffEEvbT2_NS_24const_host_device_scalarIT6_EEPKT1_S7_PKS1_PKT3_PKT4_S4_PT5_21rocsparse_index_base_b: ; @_ZN9rocsparseL21csrmvn_general_kernelILj256ELj32EiiDF16_DF16_ffEEvbT2_NS_24const_host_device_scalarIT6_EEPKT1_S7_PKS1_PKT3_PKT4_S4_PT5_21rocsparse_index_base_b
; %bb.0:
	s_clause 0x2
	s_load_b64 s[2:3], s[0:1], 0x48
	s_load_b128 s[12:15], s[0:1], 0x8
	s_load_b64 s[16:17], s[0:1], 0x38
	s_wait_kmcnt 0x0
	s_bitcmp1_b32 s3, 0
	s_cselect_b32 s3, -1, 0
	s_delay_alu instid0(SALU_CYCLE_1)
	s_and_b32 vcc_lo, exec_lo, s3
	s_xor_b32 s3, s3, -1
	s_cbranch_vccnz .LBB202_2
; %bb.1:
	s_load_b32 s12, s[12:13], 0x0
.LBB202_2:
	s_and_not1_b32 vcc_lo, exec_lo, s3
	s_cbranch_vccnz .LBB202_4
; %bb.3:
	s_load_b32 s16, s[16:17], 0x0
.LBB202_4:
	s_wait_kmcnt 0x0
	s_cmp_neq_f32 s12, 0
	s_cselect_b32 s3, -1, 0
	s_cmp_neq_f32 s16, 1.0
	s_cselect_b32 s4, -1, 0
	s_delay_alu instid0(SALU_CYCLE_1) | instskip(NEXT) | instid1(SALU_CYCLE_1)
	s_or_b32 s3, s3, s4
	s_and_not1_b32 vcc_lo, exec_lo, s3
	s_cbranch_vccnz .LBB202_16
; %bb.5:
	s_bfe_u32 s3, ttmp6, 0x4000c
	s_load_b32 s13, s[0:1], 0x4
	s_add_co_i32 s3, s3, 1
	s_and_b32 s4, ttmp6, 15
	s_mul_i32 s3, ttmp9, s3
	s_getreg_b32 s5, hwreg(HW_REG_IB_STS2, 6, 4)
	s_add_co_i32 s4, s4, s3
	s_cmp_eq_u32 s5, 0
	s_cselect_b32 s3, ttmp9, s4
	s_delay_alu instid0(SALU_CYCLE_1) | instskip(SKIP_1) | instid1(VALU_DEP_1)
	v_lshl_or_b32 v1, s3, 8, v0
	s_mov_b32 s3, exec_lo
	v_lshrrev_b32_e32 v2, 5, v1
	s_wait_kmcnt 0x0
	s_delay_alu instid0(VALU_DEP_1)
	v_cmpx_gt_i32_e64 s13, v2
	s_cbranch_execz .LBB202_16
; %bb.6:
	v_mbcnt_lo_u32_b32 v1, -1, 0
	s_clause 0x2
	s_load_b32 s17, s[0:1], 0x50
	s_load_b64 s[18:19], s[0:1], 0x40
	s_load_b256 s[4:11], s[0:1], 0x18
	s_ashr_i32 s3, s2, 31
	s_delay_alu instid0(SALU_CYCLE_1)
	s_lshl_b64 s[20:21], s[2:3], 1
	v_xor_b32_e32 v6, 4, v1
	v_xor_b32_e32 v3, 16, v1
	;; [unrolled: 1-line block ×5, first 2 shown]
	s_delay_alu instid0(VALU_DEP_4) | instskip(SKIP_1) | instid1(VALU_DEP_3)
	v_cmp_gt_i32_e32 vcc_lo, 32, v3
	v_dual_cndmask_b32 v3, v1, v3, vcc_lo :: v_dual_bitop2_b32 v0, 31, v0 bitop3:0x40
	v_cmp_gt_i32_e32 vcc_lo, 32, v5
	s_delay_alu instid0(VALU_DEP_2)
	v_subrev_nc_u32_e32 v4, s2, v0
	s_wait_kmcnt 0x0
	s_lshl_b32 s1, s17, 3
	s_cmp_neq_f32 s16, 0
	v_cmp_eq_u32_e64 s0, 31, v0
	v_dual_cndmask_b32 v9, v1, v5, vcc_lo :: v_dual_lshlrev_b32 v5, 2, v3
	v_cmp_gt_i32_e32 vcc_lo, 32, v6
	s_cselect_b32 s3, -1, 0
	s_sub_nc_u64 s[10:11], s[10:11], s[20:21]
	s_mov_b32 s17, 0
	v_cndmask_b32_e32 v10, v1, v6, vcc_lo
	v_cmp_gt_i32_e32 vcc_lo, 32, v7
	s_delay_alu instid0(VALU_DEP_2) | instskip(SKIP_1) | instid1(VALU_DEP_2)
	v_dual_cndmask_b32 v3, v1, v7, vcc_lo :: v_dual_lshlrev_b32 v7, 2, v10
	v_cmp_gt_i32_e32 vcc_lo, 32, v8
	v_dual_cndmask_b32 v1, v1, v8 :: v_dual_lshlrev_b32 v8, 2, v3
	v_lshlrev_b32_e32 v6, 2, v9
	s_delay_alu instid0(VALU_DEP_2)
	v_lshlrev_b32_e32 v9, 2, v1
	s_branch .LBB202_9
.LBB202_7:                              ;   in Loop: Header=BB202_9 Depth=1
	global_store_b32 v[0:1], v10, off
.LBB202_8:                              ;   in Loop: Header=BB202_9 Depth=1
	s_wait_xcnt 0x0
	s_or_b32 exec_lo, exec_lo, s20
	v_add_nc_u32_e32 v2, s1, v2
	s_delay_alu instid0(VALU_DEP_1) | instskip(SKIP_1) | instid1(SALU_CYCLE_1)
	v_cmp_le_i32_e32 vcc_lo, s13, v2
	s_or_b32 s17, vcc_lo, s17
	s_and_not1_b32 exec_lo, exec_lo, s17
	s_cbranch_execz .LBB202_16
.LBB202_9:                              ; =>This Loop Header: Depth=1
                                        ;     Child Loop BB202_11 Depth 2
	s_clause 0x1
	global_load_b32 v0, v2, s[4:5] scale_offset
	global_load_b32 v3, v2, s[14:15] scale_offset
	s_mov_b32 s20, exec_lo
	s_wait_loadcnt_dscnt 0x100
	v_subrev_nc_u32_e32 v1, s2, v0
	s_wait_loadcnt 0x0
	v_dual_mov_b32 v0, 0 :: v_dual_add_nc_u32 v3, v3, v4
	s_wait_xcnt 0x0
	s_delay_alu instid0(VALU_DEP_1)
	v_cmpx_lt_i32_e64 v3, v1
	s_cbranch_execz .LBB202_13
; %bb.10:                               ;   in Loop: Header=BB202_9 Depth=1
	v_mov_b32_e32 v0, 0
	s_mov_b32 s21, 0
.LBB202_11:                             ;   Parent Loop BB202_9 Depth=1
                                        ; =>  This Inner Loop Header: Depth=2
	s_clause 0x1
	global_load_b32 v10, v3, s[6:7] scale_offset
	global_load_u16 v11, v3, s[8:9] scale_offset
	s_wait_xcnt 0x0
	v_add_nc_u32_e32 v3, 32, v3
	s_delay_alu instid0(VALU_DEP_1)
	v_cmp_ge_i32_e32 vcc_lo, v3, v1
	s_or_b32 s21, vcc_lo, s21
	s_wait_loadcnt 0x1
	global_load_u16 v10, v10, s[10:11] scale_offset
	s_wait_loadcnt 0x1
	v_cvt_f32_f16_e32 v11, v11
	s_delay_alu instid0(VALU_DEP_1) | instskip(SKIP_1) | instid1(VALU_DEP_1)
	v_mul_f32_e32 v11, s12, v11
	s_wait_loadcnt 0x0
	v_fma_mix_f32 v0, v11, v10, v0 op_sel_hi:[0,1,0]
	s_wait_xcnt 0x0
	s_and_not1_b32 exec_lo, exec_lo, s21
	s_cbranch_execnz .LBB202_11
; %bb.12:                               ;   in Loop: Header=BB202_9 Depth=1
	s_or_b32 exec_lo, exec_lo, s21
.LBB202_13:                             ;   in Loop: Header=BB202_9 Depth=1
	s_delay_alu instid0(SALU_CYCLE_1)
	s_or_b32 exec_lo, exec_lo, s20
	ds_bpermute_b32 v1, v5, v0
	s_wait_dscnt 0x0
	v_dual_add_f32 v0, v0, v1 :: v_dual_ashrrev_i32 v3, 31, v2
	ds_bpermute_b32 v1, v6, v0
	s_wait_dscnt 0x0
	v_add_f32_e32 v0, v0, v1
	ds_bpermute_b32 v1, v7, v0
	s_wait_dscnt 0x0
	v_add_f32_e32 v0, v0, v1
	ds_bpermute_b32 v1, v8, v0
	s_wait_dscnt 0x0
	v_add_f32_e32 v0, v0, v1
	ds_bpermute_b32 v1, v9, v0
	s_and_saveexec_b32 s20, s0
	s_cbranch_execz .LBB202_8
; %bb.14:                               ;   in Loop: Header=BB202_9 Depth=1
	s_wait_dscnt 0x0
	v_add_f32_e32 v10, v0, v1
	v_lshl_add_u64 v[0:1], v[2:3], 2, s[18:19]
	s_and_not1_b32 vcc_lo, exec_lo, s3
	s_cbranch_vccnz .LBB202_7
; %bb.15:                               ;   in Loop: Header=BB202_9 Depth=1
	global_load_b32 v3, v[0:1], off
	s_wait_loadcnt 0x0
	v_fmac_f32_e32 v10, s16, v3
	s_branch .LBB202_7
.LBB202_16:
	s_endpgm
	.section	.rodata,"a",@progbits
	.p2align	6, 0x0
	.amdhsa_kernel _ZN9rocsparseL21csrmvn_general_kernelILj256ELj32EiiDF16_DF16_ffEEvbT2_NS_24const_host_device_scalarIT6_EEPKT1_S7_PKS1_PKT3_PKT4_S4_PT5_21rocsparse_index_base_b
		.amdhsa_group_segment_fixed_size 0
		.amdhsa_private_segment_fixed_size 0
		.amdhsa_kernarg_size 336
		.amdhsa_user_sgpr_count 2
		.amdhsa_user_sgpr_dispatch_ptr 0
		.amdhsa_user_sgpr_queue_ptr 0
		.amdhsa_user_sgpr_kernarg_segment_ptr 1
		.amdhsa_user_sgpr_dispatch_id 0
		.amdhsa_user_sgpr_kernarg_preload_length 0
		.amdhsa_user_sgpr_kernarg_preload_offset 0
		.amdhsa_user_sgpr_private_segment_size 0
		.amdhsa_wavefront_size32 1
		.amdhsa_uses_dynamic_stack 0
		.amdhsa_enable_private_segment 0
		.amdhsa_system_sgpr_workgroup_id_x 1
		.amdhsa_system_sgpr_workgroup_id_y 0
		.amdhsa_system_sgpr_workgroup_id_z 0
		.amdhsa_system_sgpr_workgroup_info 0
		.amdhsa_system_vgpr_workitem_id 0
		.amdhsa_next_free_vgpr 12
		.amdhsa_next_free_sgpr 22
		.amdhsa_named_barrier_count 0
		.amdhsa_reserve_vcc 1
		.amdhsa_float_round_mode_32 0
		.amdhsa_float_round_mode_16_64 0
		.amdhsa_float_denorm_mode_32 3
		.amdhsa_float_denorm_mode_16_64 3
		.amdhsa_fp16_overflow 0
		.amdhsa_memory_ordered 1
		.amdhsa_forward_progress 1
		.amdhsa_inst_pref_size 7
		.amdhsa_round_robin_scheduling 0
		.amdhsa_exception_fp_ieee_invalid_op 0
		.amdhsa_exception_fp_denorm_src 0
		.amdhsa_exception_fp_ieee_div_zero 0
		.amdhsa_exception_fp_ieee_overflow 0
		.amdhsa_exception_fp_ieee_underflow 0
		.amdhsa_exception_fp_ieee_inexact 0
		.amdhsa_exception_int_div_zero 0
	.end_amdhsa_kernel
	.section	.text._ZN9rocsparseL21csrmvn_general_kernelILj256ELj32EiiDF16_DF16_ffEEvbT2_NS_24const_host_device_scalarIT6_EEPKT1_S7_PKS1_PKT3_PKT4_S4_PT5_21rocsparse_index_base_b,"axG",@progbits,_ZN9rocsparseL21csrmvn_general_kernelILj256ELj32EiiDF16_DF16_ffEEvbT2_NS_24const_host_device_scalarIT6_EEPKT1_S7_PKS1_PKT3_PKT4_S4_PT5_21rocsparse_index_base_b,comdat
.Lfunc_end202:
	.size	_ZN9rocsparseL21csrmvn_general_kernelILj256ELj32EiiDF16_DF16_ffEEvbT2_NS_24const_host_device_scalarIT6_EEPKT1_S7_PKS1_PKT3_PKT4_S4_PT5_21rocsparse_index_base_b, .Lfunc_end202-_ZN9rocsparseL21csrmvn_general_kernelILj256ELj32EiiDF16_DF16_ffEEvbT2_NS_24const_host_device_scalarIT6_EEPKT1_S7_PKS1_PKT3_PKT4_S4_PT5_21rocsparse_index_base_b
                                        ; -- End function
	.set _ZN9rocsparseL21csrmvn_general_kernelILj256ELj32EiiDF16_DF16_ffEEvbT2_NS_24const_host_device_scalarIT6_EEPKT1_S7_PKS1_PKT3_PKT4_S4_PT5_21rocsparse_index_base_b.num_vgpr, 12
	.set _ZN9rocsparseL21csrmvn_general_kernelILj256ELj32EiiDF16_DF16_ffEEvbT2_NS_24const_host_device_scalarIT6_EEPKT1_S7_PKS1_PKT3_PKT4_S4_PT5_21rocsparse_index_base_b.num_agpr, 0
	.set _ZN9rocsparseL21csrmvn_general_kernelILj256ELj32EiiDF16_DF16_ffEEvbT2_NS_24const_host_device_scalarIT6_EEPKT1_S7_PKS1_PKT3_PKT4_S4_PT5_21rocsparse_index_base_b.numbered_sgpr, 22
	.set _ZN9rocsparseL21csrmvn_general_kernelILj256ELj32EiiDF16_DF16_ffEEvbT2_NS_24const_host_device_scalarIT6_EEPKT1_S7_PKS1_PKT3_PKT4_S4_PT5_21rocsparse_index_base_b.num_named_barrier, 0
	.set _ZN9rocsparseL21csrmvn_general_kernelILj256ELj32EiiDF16_DF16_ffEEvbT2_NS_24const_host_device_scalarIT6_EEPKT1_S7_PKS1_PKT3_PKT4_S4_PT5_21rocsparse_index_base_b.private_seg_size, 0
	.set _ZN9rocsparseL21csrmvn_general_kernelILj256ELj32EiiDF16_DF16_ffEEvbT2_NS_24const_host_device_scalarIT6_EEPKT1_S7_PKS1_PKT3_PKT4_S4_PT5_21rocsparse_index_base_b.uses_vcc, 1
	.set _ZN9rocsparseL21csrmvn_general_kernelILj256ELj32EiiDF16_DF16_ffEEvbT2_NS_24const_host_device_scalarIT6_EEPKT1_S7_PKS1_PKT3_PKT4_S4_PT5_21rocsparse_index_base_b.uses_flat_scratch, 0
	.set _ZN9rocsparseL21csrmvn_general_kernelILj256ELj32EiiDF16_DF16_ffEEvbT2_NS_24const_host_device_scalarIT6_EEPKT1_S7_PKS1_PKT3_PKT4_S4_PT5_21rocsparse_index_base_b.has_dyn_sized_stack, 0
	.set _ZN9rocsparseL21csrmvn_general_kernelILj256ELj32EiiDF16_DF16_ffEEvbT2_NS_24const_host_device_scalarIT6_EEPKT1_S7_PKS1_PKT3_PKT4_S4_PT5_21rocsparse_index_base_b.has_recursion, 0
	.set _ZN9rocsparseL21csrmvn_general_kernelILj256ELj32EiiDF16_DF16_ffEEvbT2_NS_24const_host_device_scalarIT6_EEPKT1_S7_PKS1_PKT3_PKT4_S4_PT5_21rocsparse_index_base_b.has_indirect_call, 0
	.section	.AMDGPU.csdata,"",@progbits
; Kernel info:
; codeLenInByte = 776
; TotalNumSgprs: 24
; NumVgprs: 12
; ScratchSize: 0
; MemoryBound: 0
; FloatMode: 240
; IeeeMode: 1
; LDSByteSize: 0 bytes/workgroup (compile time only)
; SGPRBlocks: 0
; VGPRBlocks: 0
; NumSGPRsForWavesPerEU: 24
; NumVGPRsForWavesPerEU: 12
; NamedBarCnt: 0
; Occupancy: 16
; WaveLimiterHint : 1
; COMPUTE_PGM_RSRC2:SCRATCH_EN: 0
; COMPUTE_PGM_RSRC2:USER_SGPR: 2
; COMPUTE_PGM_RSRC2:TRAP_HANDLER: 0
; COMPUTE_PGM_RSRC2:TGID_X_EN: 1
; COMPUTE_PGM_RSRC2:TGID_Y_EN: 0
; COMPUTE_PGM_RSRC2:TGID_Z_EN: 0
; COMPUTE_PGM_RSRC2:TIDIG_COMP_CNT: 0
	.section	.text._ZN9rocsparseL21csrmvn_general_kernelILj256ELj64EiiDF16_DF16_ffEEvbT2_NS_24const_host_device_scalarIT6_EEPKT1_S7_PKS1_PKT3_PKT4_S4_PT5_21rocsparse_index_base_b,"axG",@progbits,_ZN9rocsparseL21csrmvn_general_kernelILj256ELj64EiiDF16_DF16_ffEEvbT2_NS_24const_host_device_scalarIT6_EEPKT1_S7_PKS1_PKT3_PKT4_S4_PT5_21rocsparse_index_base_b,comdat
	.globl	_ZN9rocsparseL21csrmvn_general_kernelILj256ELj64EiiDF16_DF16_ffEEvbT2_NS_24const_host_device_scalarIT6_EEPKT1_S7_PKS1_PKT3_PKT4_S4_PT5_21rocsparse_index_base_b ; -- Begin function _ZN9rocsparseL21csrmvn_general_kernelILj256ELj64EiiDF16_DF16_ffEEvbT2_NS_24const_host_device_scalarIT6_EEPKT1_S7_PKS1_PKT3_PKT4_S4_PT5_21rocsparse_index_base_b
	.p2align	8
	.type	_ZN9rocsparseL21csrmvn_general_kernelILj256ELj64EiiDF16_DF16_ffEEvbT2_NS_24const_host_device_scalarIT6_EEPKT1_S7_PKS1_PKT3_PKT4_S4_PT5_21rocsparse_index_base_b,@function
_ZN9rocsparseL21csrmvn_general_kernelILj256ELj64EiiDF16_DF16_ffEEvbT2_NS_24const_host_device_scalarIT6_EEPKT1_S7_PKS1_PKT3_PKT4_S4_PT5_21rocsparse_index_base_b: ; @_ZN9rocsparseL21csrmvn_general_kernelILj256ELj64EiiDF16_DF16_ffEEvbT2_NS_24const_host_device_scalarIT6_EEPKT1_S7_PKS1_PKT3_PKT4_S4_PT5_21rocsparse_index_base_b
; %bb.0:
	s_clause 0x2
	s_load_b64 s[2:3], s[0:1], 0x48
	s_load_b128 s[12:15], s[0:1], 0x8
	s_load_b64 s[16:17], s[0:1], 0x38
	s_wait_kmcnt 0x0
	s_bitcmp1_b32 s3, 0
	s_cselect_b32 s3, -1, 0
	s_delay_alu instid0(SALU_CYCLE_1)
	s_and_b32 vcc_lo, exec_lo, s3
	s_xor_b32 s3, s3, -1
	s_cbranch_vccnz .LBB203_2
; %bb.1:
	s_load_b32 s12, s[12:13], 0x0
.LBB203_2:
	s_and_not1_b32 vcc_lo, exec_lo, s3
	s_cbranch_vccnz .LBB203_4
; %bb.3:
	s_load_b32 s16, s[16:17], 0x0
.LBB203_4:
	s_wait_kmcnt 0x0
	s_cmp_neq_f32 s12, 0
	s_cselect_b32 s3, -1, 0
	s_cmp_neq_f32 s16, 1.0
	s_cselect_b32 s4, -1, 0
	s_delay_alu instid0(SALU_CYCLE_1) | instskip(NEXT) | instid1(SALU_CYCLE_1)
	s_or_b32 s3, s3, s4
	s_and_not1_b32 vcc_lo, exec_lo, s3
	s_cbranch_vccnz .LBB203_16
; %bb.5:
	s_bfe_u32 s3, ttmp6, 0x4000c
	s_load_b32 s13, s[0:1], 0x4
	s_add_co_i32 s3, s3, 1
	s_and_b32 s4, ttmp6, 15
	s_mul_i32 s3, ttmp9, s3
	s_getreg_b32 s5, hwreg(HW_REG_IB_STS2, 6, 4)
	s_add_co_i32 s4, s4, s3
	s_cmp_eq_u32 s5, 0
	s_cselect_b32 s3, ttmp9, s4
	s_delay_alu instid0(SALU_CYCLE_1) | instskip(SKIP_1) | instid1(VALU_DEP_1)
	v_lshl_or_b32 v1, s3, 8, v0
	s_mov_b32 s3, exec_lo
	v_lshrrev_b32_e32 v2, 6, v1
	s_wait_kmcnt 0x0
	s_delay_alu instid0(VALU_DEP_1)
	v_cmpx_gt_i32_e64 s13, v2
	s_cbranch_execz .LBB203_16
; %bb.6:
	v_mbcnt_lo_u32_b32 v1, -1, 0
	s_clause 0x2
	s_load_b32 s17, s[0:1], 0x50
	s_load_b64 s[18:19], s[0:1], 0x40
	s_load_b256 s[4:11], s[0:1], 0x18
	s_ashr_i32 s3, s2, 31
	s_delay_alu instid0(SALU_CYCLE_1) | instskip(SKIP_4) | instid1(VALU_DEP_4)
	s_lshl_b64 s[20:21], s[2:3], 1
	v_or_b32_e32 v3, 32, v1
	v_xor_b32_e32 v8, 4, v1
	v_xor_b32_e32 v7, 8, v1
	;; [unrolled: 1-line block ×3, first 2 shown]
	v_cmp_gt_i32_e32 vcc_lo, 32, v3
	v_dual_cndmask_b32 v3, v1, v3, vcc_lo :: v_dual_bitop2_b32 v0, 63, v0 bitop3:0x40
	s_delay_alu instid0(VALU_DEP_3) | instskip(NEXT) | instid1(VALU_DEP_2)
	v_cmp_gt_i32_e32 vcc_lo, 32, v5
	v_subrev_nc_u32_e32 v4, s2, v0
	s_wait_xcnt 0x0
	v_cmp_eq_u32_e64 s0, 63, v0
	s_wait_kmcnt 0x0
	s_lshl_b32 s1, s17, 2
	v_dual_cndmask_b32 v6, v1, v5 :: v_dual_lshlrev_b32 v5, 2, v3
	v_cmp_gt_i32_e32 vcc_lo, 32, v7
	s_cmp_neq_f32 s16, 0
	s_sub_nc_u64 s[10:11], s[10:11], s[20:21]
	s_delay_alu instid0(VALU_DEP_2)
	v_lshlrev_b32_e32 v6, 2, v6
	s_mov_b32 s17, 0
	v_dual_cndmask_b32 v3, v1, v7, vcc_lo :: v_dual_bitop2_b32 v9, 2, v1 bitop3:0x14
	v_cmp_gt_i32_e32 vcc_lo, 32, v8
	s_cselect_b32 s3, -1, 0
	v_dual_cndmask_b32 v8, v1, v8, vcc_lo :: v_dual_bitop2_b32 v7, 1, v1 bitop3:0x14
	s_delay_alu instid0(VALU_DEP_3) | instskip(NEXT) | instid1(VALU_DEP_2)
	v_cmp_gt_i32_e32 vcc_lo, 32, v9
	v_dual_cndmask_b32 v9, v1, v9 :: v_dual_lshlrev_b32 v8, 2, v8
	s_delay_alu instid0(VALU_DEP_3) | instskip(NEXT) | instid1(VALU_DEP_2)
	v_cmp_gt_i32_e32 vcc_lo, 32, v7
	v_dual_lshlrev_b32 v9, 2, v9 :: v_dual_cndmask_b32 v1, v1, v7, vcc_lo
	s_delay_alu instid0(VALU_DEP_1)
	v_dual_lshlrev_b32 v7, 2, v3 :: v_dual_lshlrev_b32 v10, 2, v1
	s_branch .LBB203_9
.LBB203_7:                              ;   in Loop: Header=BB203_9 Depth=1
	global_store_b32 v[0:1], v11, off
.LBB203_8:                              ;   in Loop: Header=BB203_9 Depth=1
	s_wait_xcnt 0x0
	s_or_b32 exec_lo, exec_lo, s20
	v_add_nc_u32_e32 v2, s1, v2
	s_delay_alu instid0(VALU_DEP_1) | instskip(SKIP_1) | instid1(SALU_CYCLE_1)
	v_cmp_le_i32_e32 vcc_lo, s13, v2
	s_or_b32 s17, vcc_lo, s17
	s_and_not1_b32 exec_lo, exec_lo, s17
	s_cbranch_execz .LBB203_16
.LBB203_9:                              ; =>This Loop Header: Depth=1
                                        ;     Child Loop BB203_11 Depth 2
	s_clause 0x1
	global_load_b32 v0, v2, s[4:5] scale_offset
	global_load_b32 v3, v2, s[14:15] scale_offset
	s_mov_b32 s20, exec_lo
	s_wait_loadcnt_dscnt 0x100
	v_subrev_nc_u32_e32 v1, s2, v0
	s_wait_loadcnt 0x0
	v_dual_mov_b32 v0, 0 :: v_dual_add_nc_u32 v3, v3, v4
	s_wait_xcnt 0x0
	s_delay_alu instid0(VALU_DEP_1)
	v_cmpx_lt_i32_e64 v3, v1
	s_cbranch_execz .LBB203_13
; %bb.10:                               ;   in Loop: Header=BB203_9 Depth=1
	v_mov_b32_e32 v0, 0
	s_mov_b32 s21, 0
.LBB203_11:                             ;   Parent Loop BB203_9 Depth=1
                                        ; =>  This Inner Loop Header: Depth=2
	s_clause 0x1
	global_load_b32 v11, v3, s[6:7] scale_offset
	global_load_u16 v12, v3, s[8:9] scale_offset
	s_wait_loadcnt 0x1
	global_load_u16 v11, v11, s[10:11] scale_offset
	s_wait_loadcnt 0x1
	v_cvt_f32_f16_e32 v12, v12
	s_wait_xcnt 0x1
	s_delay_alu instid0(VALU_DEP_1) | instskip(NEXT) | instid1(VALU_DEP_1)
	v_dual_mul_f32 v12, s12, v12 :: v_dual_add_nc_u32 v3, 64, v3
	v_cmp_ge_i32_e32 vcc_lo, v3, v1
	s_or_b32 s21, vcc_lo, s21
	s_wait_loadcnt 0x0
	s_delay_alu instid0(VALU_DEP_2)
	v_fma_mix_f32 v0, v12, v11, v0 op_sel_hi:[0,1,0]
	s_wait_xcnt 0x0
	s_and_not1_b32 exec_lo, exec_lo, s21
	s_cbranch_execnz .LBB203_11
; %bb.12:                               ;   in Loop: Header=BB203_9 Depth=1
	s_or_b32 exec_lo, exec_lo, s21
.LBB203_13:                             ;   in Loop: Header=BB203_9 Depth=1
	s_delay_alu instid0(SALU_CYCLE_1)
	s_or_b32 exec_lo, exec_lo, s20
	ds_bpermute_b32 v1, v5, v0
	s_wait_dscnt 0x0
	v_dual_add_f32 v0, v0, v1 :: v_dual_ashrrev_i32 v3, 31, v2
	ds_bpermute_b32 v1, v6, v0
	s_wait_dscnt 0x0
	v_add_f32_e32 v0, v0, v1
	ds_bpermute_b32 v1, v7, v0
	s_wait_dscnt 0x0
	v_add_f32_e32 v0, v0, v1
	;; [unrolled: 3-line block ×4, first 2 shown]
	ds_bpermute_b32 v1, v10, v0
	s_and_saveexec_b32 s20, s0
	s_cbranch_execz .LBB203_8
; %bb.14:                               ;   in Loop: Header=BB203_9 Depth=1
	s_wait_dscnt 0x0
	v_add_f32_e32 v11, v0, v1
	v_lshl_add_u64 v[0:1], v[2:3], 2, s[18:19]
	s_and_not1_b32 vcc_lo, exec_lo, s3
	s_cbranch_vccnz .LBB203_7
; %bb.15:                               ;   in Loop: Header=BB203_9 Depth=1
	global_load_b32 v3, v[0:1], off
	s_wait_loadcnt 0x0
	v_fmac_f32_e32 v11, s16, v3
	s_branch .LBB203_7
.LBB203_16:
	s_endpgm
	.section	.rodata,"a",@progbits
	.p2align	6, 0x0
	.amdhsa_kernel _ZN9rocsparseL21csrmvn_general_kernelILj256ELj64EiiDF16_DF16_ffEEvbT2_NS_24const_host_device_scalarIT6_EEPKT1_S7_PKS1_PKT3_PKT4_S4_PT5_21rocsparse_index_base_b
		.amdhsa_group_segment_fixed_size 0
		.amdhsa_private_segment_fixed_size 0
		.amdhsa_kernarg_size 336
		.amdhsa_user_sgpr_count 2
		.amdhsa_user_sgpr_dispatch_ptr 0
		.amdhsa_user_sgpr_queue_ptr 0
		.amdhsa_user_sgpr_kernarg_segment_ptr 1
		.amdhsa_user_sgpr_dispatch_id 0
		.amdhsa_user_sgpr_kernarg_preload_length 0
		.amdhsa_user_sgpr_kernarg_preload_offset 0
		.amdhsa_user_sgpr_private_segment_size 0
		.amdhsa_wavefront_size32 1
		.amdhsa_uses_dynamic_stack 0
		.amdhsa_enable_private_segment 0
		.amdhsa_system_sgpr_workgroup_id_x 1
		.amdhsa_system_sgpr_workgroup_id_y 0
		.amdhsa_system_sgpr_workgroup_id_z 0
		.amdhsa_system_sgpr_workgroup_info 0
		.amdhsa_system_vgpr_workitem_id 0
		.amdhsa_next_free_vgpr 13
		.amdhsa_next_free_sgpr 22
		.amdhsa_named_barrier_count 0
		.amdhsa_reserve_vcc 1
		.amdhsa_float_round_mode_32 0
		.amdhsa_float_round_mode_16_64 0
		.amdhsa_float_denorm_mode_32 3
		.amdhsa_float_denorm_mode_16_64 3
		.amdhsa_fp16_overflow 0
		.amdhsa_memory_ordered 1
		.amdhsa_forward_progress 1
		.amdhsa_inst_pref_size 7
		.amdhsa_round_robin_scheduling 0
		.amdhsa_exception_fp_ieee_invalid_op 0
		.amdhsa_exception_fp_denorm_src 0
		.amdhsa_exception_fp_ieee_div_zero 0
		.amdhsa_exception_fp_ieee_overflow 0
		.amdhsa_exception_fp_ieee_underflow 0
		.amdhsa_exception_fp_ieee_inexact 0
		.amdhsa_exception_int_div_zero 0
	.end_amdhsa_kernel
	.section	.text._ZN9rocsparseL21csrmvn_general_kernelILj256ELj64EiiDF16_DF16_ffEEvbT2_NS_24const_host_device_scalarIT6_EEPKT1_S7_PKS1_PKT3_PKT4_S4_PT5_21rocsparse_index_base_b,"axG",@progbits,_ZN9rocsparseL21csrmvn_general_kernelILj256ELj64EiiDF16_DF16_ffEEvbT2_NS_24const_host_device_scalarIT6_EEPKT1_S7_PKS1_PKT3_PKT4_S4_PT5_21rocsparse_index_base_b,comdat
.Lfunc_end203:
	.size	_ZN9rocsparseL21csrmvn_general_kernelILj256ELj64EiiDF16_DF16_ffEEvbT2_NS_24const_host_device_scalarIT6_EEPKT1_S7_PKS1_PKT3_PKT4_S4_PT5_21rocsparse_index_base_b, .Lfunc_end203-_ZN9rocsparseL21csrmvn_general_kernelILj256ELj64EiiDF16_DF16_ffEEvbT2_NS_24const_host_device_scalarIT6_EEPKT1_S7_PKS1_PKT3_PKT4_S4_PT5_21rocsparse_index_base_b
                                        ; -- End function
	.set _ZN9rocsparseL21csrmvn_general_kernelILj256ELj64EiiDF16_DF16_ffEEvbT2_NS_24const_host_device_scalarIT6_EEPKT1_S7_PKS1_PKT3_PKT4_S4_PT5_21rocsparse_index_base_b.num_vgpr, 13
	.set _ZN9rocsparseL21csrmvn_general_kernelILj256ELj64EiiDF16_DF16_ffEEvbT2_NS_24const_host_device_scalarIT6_EEPKT1_S7_PKS1_PKT3_PKT4_S4_PT5_21rocsparse_index_base_b.num_agpr, 0
	.set _ZN9rocsparseL21csrmvn_general_kernelILj256ELj64EiiDF16_DF16_ffEEvbT2_NS_24const_host_device_scalarIT6_EEPKT1_S7_PKS1_PKT3_PKT4_S4_PT5_21rocsparse_index_base_b.numbered_sgpr, 22
	.set _ZN9rocsparseL21csrmvn_general_kernelILj256ELj64EiiDF16_DF16_ffEEvbT2_NS_24const_host_device_scalarIT6_EEPKT1_S7_PKS1_PKT3_PKT4_S4_PT5_21rocsparse_index_base_b.num_named_barrier, 0
	.set _ZN9rocsparseL21csrmvn_general_kernelILj256ELj64EiiDF16_DF16_ffEEvbT2_NS_24const_host_device_scalarIT6_EEPKT1_S7_PKS1_PKT3_PKT4_S4_PT5_21rocsparse_index_base_b.private_seg_size, 0
	.set _ZN9rocsparseL21csrmvn_general_kernelILj256ELj64EiiDF16_DF16_ffEEvbT2_NS_24const_host_device_scalarIT6_EEPKT1_S7_PKS1_PKT3_PKT4_S4_PT5_21rocsparse_index_base_b.uses_vcc, 1
	.set _ZN9rocsparseL21csrmvn_general_kernelILj256ELj64EiiDF16_DF16_ffEEvbT2_NS_24const_host_device_scalarIT6_EEPKT1_S7_PKS1_PKT3_PKT4_S4_PT5_21rocsparse_index_base_b.uses_flat_scratch, 0
	.set _ZN9rocsparseL21csrmvn_general_kernelILj256ELj64EiiDF16_DF16_ffEEvbT2_NS_24const_host_device_scalarIT6_EEPKT1_S7_PKS1_PKT3_PKT4_S4_PT5_21rocsparse_index_base_b.has_dyn_sized_stack, 0
	.set _ZN9rocsparseL21csrmvn_general_kernelILj256ELj64EiiDF16_DF16_ffEEvbT2_NS_24const_host_device_scalarIT6_EEPKT1_S7_PKS1_PKT3_PKT4_S4_PT5_21rocsparse_index_base_b.has_recursion, 0
	.set _ZN9rocsparseL21csrmvn_general_kernelILj256ELj64EiiDF16_DF16_ffEEvbT2_NS_24const_host_device_scalarIT6_EEPKT1_S7_PKS1_PKT3_PKT4_S4_PT5_21rocsparse_index_base_b.has_indirect_call, 0
	.section	.AMDGPU.csdata,"",@progbits
; Kernel info:
; codeLenInByte = 824
; TotalNumSgprs: 24
; NumVgprs: 13
; ScratchSize: 0
; MemoryBound: 0
; FloatMode: 240
; IeeeMode: 1
; LDSByteSize: 0 bytes/workgroup (compile time only)
; SGPRBlocks: 0
; VGPRBlocks: 0
; NumSGPRsForWavesPerEU: 24
; NumVGPRsForWavesPerEU: 13
; NamedBarCnt: 0
; Occupancy: 16
; WaveLimiterHint : 1
; COMPUTE_PGM_RSRC2:SCRATCH_EN: 0
; COMPUTE_PGM_RSRC2:USER_SGPR: 2
; COMPUTE_PGM_RSRC2:TRAP_HANDLER: 0
; COMPUTE_PGM_RSRC2:TGID_X_EN: 1
; COMPUTE_PGM_RSRC2:TGID_Y_EN: 0
; COMPUTE_PGM_RSRC2:TGID_Z_EN: 0
; COMPUTE_PGM_RSRC2:TIDIG_COMP_CNT: 0
	.section	.text._ZN9rocsparseL21csrmvt_general_kernelILj256ELj4EiiDF16_DF16_ffEEvbbT2_NS_24const_host_device_scalarIT6_EEPKT1_S7_PKS1_PKT3_PKT4_PT5_21rocsparse_index_base_b,"axG",@progbits,_ZN9rocsparseL21csrmvt_general_kernelILj256ELj4EiiDF16_DF16_ffEEvbbT2_NS_24const_host_device_scalarIT6_EEPKT1_S7_PKS1_PKT3_PKT4_PT5_21rocsparse_index_base_b,comdat
	.globl	_ZN9rocsparseL21csrmvt_general_kernelILj256ELj4EiiDF16_DF16_ffEEvbbT2_NS_24const_host_device_scalarIT6_EEPKT1_S7_PKS1_PKT3_PKT4_PT5_21rocsparse_index_base_b ; -- Begin function _ZN9rocsparseL21csrmvt_general_kernelILj256ELj4EiiDF16_DF16_ffEEvbbT2_NS_24const_host_device_scalarIT6_EEPKT1_S7_PKS1_PKT3_PKT4_PT5_21rocsparse_index_base_b
	.p2align	8
	.type	_ZN9rocsparseL21csrmvt_general_kernelILj256ELj4EiiDF16_DF16_ffEEvbbT2_NS_24const_host_device_scalarIT6_EEPKT1_S7_PKS1_PKT3_PKT4_PT5_21rocsparse_index_base_b,@function
_ZN9rocsparseL21csrmvt_general_kernelILj256ELj4EiiDF16_DF16_ffEEvbbT2_NS_24const_host_device_scalarIT6_EEPKT1_S7_PKS1_PKT3_PKT4_PT5_21rocsparse_index_base_b: ; @_ZN9rocsparseL21csrmvt_general_kernelILj256ELj4EiiDF16_DF16_ffEEvbbT2_NS_24const_host_device_scalarIT6_EEPKT1_S7_PKS1_PKT3_PKT4_PT5_21rocsparse_index_base_b
; %bb.0:
	s_clause 0x1
	s_load_b64 s[2:3], s[0:1], 0x40
	s_load_b128 s[12:15], s[0:1], 0x8
	s_wait_kmcnt 0x0
	s_bitcmp1_b32 s3, 0
	s_cselect_b32 s3, -1, 0
	s_delay_alu instid0(SALU_CYCLE_1)
	s_and_b32 vcc_lo, exec_lo, s3
	s_cbranch_vccnz .LBB204_2
; %bb.1:
	s_load_b32 s12, s[12:13], 0x0
.LBB204_2:
	s_wait_kmcnt 0x0
	s_cmp_eq_f32 s12, 0
	s_cbranch_scc1 .LBB204_20
; %bb.3:
	s_clause 0x3
	s_load_b64 s[16:17], s[0:1], 0x0
	s_load_b32 s3, s[0:1], 0x48
	s_load_b64 s[18:19], s[0:1], 0x38
	s_load_b256 s[4:11], s[0:1], 0x18
	s_wait_xcnt 0x0
	s_bfe_u32 s0, ttmp6, 0x4000c
	s_and_b32 s13, ttmp6, 15
	s_add_co_i32 s0, s0, 1
	s_getreg_b32 s20, hwreg(HW_REG_IB_STS2, 6, 4)
	s_mul_i32 s0, ttmp9, s0
	v_and_b32_e32 v3, 3, v0
	s_add_co_i32 s13, s13, s0
	s_wait_kmcnt 0x0
	s_and_b32 s16, s16, 1
	s_lshl_b32 s1, s3, 6
	s_cmp_eq_u32 s20, 0
	s_mov_b32 s3, -1
	s_cselect_b32 s0, ttmp9, s13
	s_cmp_eq_u32 s16, 0
	v_lshl_or_b32 v1, s0, 8, v0
	s_delay_alu instid0(VALU_DEP_1) | instskip(NEXT) | instid1(VALU_DEP_1)
	v_lshrrev_b32_e32 v2, 2, v1
	v_cmp_gt_i32_e64 s0, s17, v2
	s_cbranch_scc0 .LBB204_11
; %bb.4:
	s_and_saveexec_b32 s3, s0
	s_cbranch_execz .LBB204_10
; %bb.5:
	v_subrev_nc_u32_e32 v4, s2, v3
	v_mov_b32_e32 v0, v2
	s_mov_b32 s13, 0
	s_branch .LBB204_7
.LBB204_6:                              ;   in Loop: Header=BB204_7 Depth=1
	s_or_b32 exec_lo, exec_lo, s16
	v_add_nc_u32_e32 v0, s1, v0
	s_delay_alu instid0(VALU_DEP_1) | instskip(SKIP_1) | instid1(SALU_CYCLE_1)
	v_cmp_le_i32_e32 vcc_lo, s17, v0
	s_or_b32 s13, vcc_lo, s13
	s_and_not1_b32 exec_lo, exec_lo, s13
	s_cbranch_execz .LBB204_10
.LBB204_7:                              ; =>This Loop Header: Depth=1
                                        ;     Child Loop BB204_9 Depth 2
	s_clause 0x1
	global_load_b32 v1, v0, s[4:5] scale_offset
	global_load_b32 v6, v0, s[14:15] scale_offset
	s_mov_b32 s16, exec_lo
	s_wait_loadcnt 0x1
	v_subrev_nc_u32_e32 v5, s2, v1
	s_wait_loadcnt 0x0
	v_add_nc_u32_e32 v6, v6, v4
	s_wait_xcnt 0x0
	s_delay_alu instid0(VALU_DEP_1)
	v_cmpx_lt_i32_e64 v6, v5
	s_cbranch_execz .LBB204_6
; %bb.8:                                ;   in Loop: Header=BB204_7 Depth=1
	v_ashrrev_i32_e32 v1, 31, v0
	s_mov_b32 s20, 0
	s_delay_alu instid0(VALU_DEP_1) | instskip(SKIP_3) | instid1(VALU_DEP_1)
	v_lshl_add_u64 v[8:9], v[0:1], 1, s[10:11]
	global_load_u16 v1, v[8:9], off
	s_wait_loadcnt 0x0
	v_cvt_f32_f16_e32 v1, v1
	v_mul_f32_e32 v1, s12, v1
.LBB204_9:                              ;   Parent Loop BB204_7 Depth=1
                                        ; =>  This Inner Loop Header: Depth=2
	s_clause 0x1
	global_load_u16 v7, v6, s[8:9] scale_offset
	global_load_b32 v8, v6, s[6:7] scale_offset
	s_wait_xcnt 0x0
	v_add_nc_u32_e32 v6, 4, v6
	s_delay_alu instid0(VALU_DEP_1)
	v_cmp_ge_i32_e32 vcc_lo, v6, v5
	s_or_b32 s20, vcc_lo, s20
	s_wait_loadcnt 0x1
	v_cvt_f32_f16_e32 v7, v7
	s_wait_loadcnt 0x0
	v_subrev_nc_u32_e32 v8, s2, v8
	s_delay_alu instid0(VALU_DEP_2)
	v_mul_f32_e32 v7, v1, v7
	global_atomic_add_f32 v8, v7, s[18:19] scale_offset scope:SCOPE_DEV
	s_wait_xcnt 0x0
	s_and_not1_b32 exec_lo, exec_lo, s20
	s_cbranch_execnz .LBB204_9
	s_branch .LBB204_6
.LBB204_10:
	s_or_b32 exec_lo, exec_lo, s3
	s_mov_b32 s3, 0
.LBB204_11:
	s_delay_alu instid0(SALU_CYCLE_1)
	s_and_not1_b32 vcc_lo, exec_lo, s3
	s_cbranch_vccnz .LBB204_20
; %bb.12:
	s_and_saveexec_b32 s3, s0
	s_cbranch_execz .LBB204_20
; %bb.13:
	v_subrev_nc_u32_e32 v4, s2, v3
	s_mov_b32 s0, 0
	s_branch .LBB204_15
.LBB204_14:                             ;   in Loop: Header=BB204_15 Depth=1
	s_or_b32 exec_lo, exec_lo, s3
	v_add_nc_u32_e32 v2, s1, v2
	s_delay_alu instid0(VALU_DEP_1) | instskip(SKIP_1) | instid1(SALU_CYCLE_1)
	v_cmp_le_i32_e32 vcc_lo, s17, v2
	s_or_b32 s0, vcc_lo, s0
	s_and_not1_b32 exec_lo, exec_lo, s0
	s_cbranch_execz .LBB204_20
.LBB204_15:                             ; =>This Loop Header: Depth=1
                                        ;     Child Loop BB204_18 Depth 2
	s_clause 0x1
	global_load_b32 v0, v2, s[4:5] scale_offset
	global_load_b32 v1, v2, s[14:15] scale_offset
	s_mov_b32 s3, exec_lo
	s_wait_loadcnt 0x1
	v_subrev_nc_u32_e32 v5, s2, v0
	s_wait_loadcnt 0x0
	v_add_nc_u32_e32 v0, v1, v4
	s_wait_xcnt 0x0
	s_delay_alu instid0(VALU_DEP_1)
	v_cmpx_lt_i32_e64 v0, v5
	s_cbranch_execz .LBB204_14
; %bb.16:                               ;   in Loop: Header=BB204_15 Depth=1
	v_ashrrev_i32_e32 v3, 31, v2
	s_mov_b32 s13, 0
	s_delay_alu instid0(VALU_DEP_1) | instskip(SKIP_3) | instid1(VALU_DEP_1)
	v_lshl_add_u64 v[6:7], v[2:3], 1, s[10:11]
	global_load_u16 v1, v[6:7], off
	s_wait_loadcnt 0x0
	v_cvt_f32_f16_e32 v1, v1
	v_mul_f32_e32 v3, s12, v1
	s_branch .LBB204_18
.LBB204_17:                             ;   in Loop: Header=BB204_18 Depth=2
	s_wait_xcnt 0x0
	s_or_b32 exec_lo, exec_lo, s16
	v_add_nc_u32_e32 v0, 4, v0
	s_delay_alu instid0(VALU_DEP_1) | instskip(SKIP_1) | instid1(SALU_CYCLE_1)
	v_cmp_ge_i32_e32 vcc_lo, v0, v5
	s_or_b32 s13, vcc_lo, s13
	s_and_not1_b32 exec_lo, exec_lo, s13
	s_cbranch_execz .LBB204_14
.LBB204_18:                             ;   Parent Loop BB204_15 Depth=1
                                        ; =>  This Inner Loop Header: Depth=2
	global_load_b32 v1, v0, s[6:7] scale_offset
	s_mov_b32 s16, exec_lo
	s_wait_loadcnt 0x0
	s_wait_xcnt 0x1
	v_subrev_nc_u32_e32 v6, s2, v1
	v_ashrrev_i32_e32 v1, 31, v0
	s_wait_xcnt 0x0
	s_delay_alu instid0(VALU_DEP_2)
	v_cmpx_ne_u32_e64 v6, v2
	s_cbranch_execz .LBB204_17
; %bb.19:                               ;   in Loop: Header=BB204_18 Depth=2
	s_delay_alu instid0(VALU_DEP_2) | instskip(SKIP_3) | instid1(VALU_DEP_1)
	v_lshl_add_u64 v[8:9], v[0:1], 1, s[8:9]
	global_load_u16 v1, v[8:9], off
	s_wait_loadcnt 0x0
	v_cvt_f32_f16_e32 v1, v1
	v_mul_f32_e32 v1, v3, v1
	s_wait_xcnt 0x0
	global_atomic_add_f32 v6, v1, s[18:19] scale_offset scope:SCOPE_DEV
	s_branch .LBB204_17
.LBB204_20:
	s_endpgm
	.section	.rodata,"a",@progbits
	.p2align	6, 0x0
	.amdhsa_kernel _ZN9rocsparseL21csrmvt_general_kernelILj256ELj4EiiDF16_DF16_ffEEvbbT2_NS_24const_host_device_scalarIT6_EEPKT1_S7_PKS1_PKT3_PKT4_PT5_21rocsparse_index_base_b
		.amdhsa_group_segment_fixed_size 0
		.amdhsa_private_segment_fixed_size 0
		.amdhsa_kernarg_size 328
		.amdhsa_user_sgpr_count 2
		.amdhsa_user_sgpr_dispatch_ptr 0
		.amdhsa_user_sgpr_queue_ptr 0
		.amdhsa_user_sgpr_kernarg_segment_ptr 1
		.amdhsa_user_sgpr_dispatch_id 0
		.amdhsa_user_sgpr_kernarg_preload_length 0
		.amdhsa_user_sgpr_kernarg_preload_offset 0
		.amdhsa_user_sgpr_private_segment_size 0
		.amdhsa_wavefront_size32 1
		.amdhsa_uses_dynamic_stack 0
		.amdhsa_enable_private_segment 0
		.amdhsa_system_sgpr_workgroup_id_x 1
		.amdhsa_system_sgpr_workgroup_id_y 0
		.amdhsa_system_sgpr_workgroup_id_z 0
		.amdhsa_system_sgpr_workgroup_info 0
		.amdhsa_system_vgpr_workitem_id 0
		.amdhsa_next_free_vgpr 10
		.amdhsa_next_free_sgpr 21
		.amdhsa_named_barrier_count 0
		.amdhsa_reserve_vcc 1
		.amdhsa_float_round_mode_32 0
		.amdhsa_float_round_mode_16_64 0
		.amdhsa_float_denorm_mode_32 3
		.amdhsa_float_denorm_mode_16_64 3
		.amdhsa_fp16_overflow 0
		.amdhsa_memory_ordered 1
		.amdhsa_forward_progress 1
		.amdhsa_inst_pref_size 7
		.amdhsa_round_robin_scheduling 0
		.amdhsa_exception_fp_ieee_invalid_op 0
		.amdhsa_exception_fp_denorm_src 0
		.amdhsa_exception_fp_ieee_div_zero 0
		.amdhsa_exception_fp_ieee_overflow 0
		.amdhsa_exception_fp_ieee_underflow 0
		.amdhsa_exception_fp_ieee_inexact 0
		.amdhsa_exception_int_div_zero 0
	.end_amdhsa_kernel
	.section	.text._ZN9rocsparseL21csrmvt_general_kernelILj256ELj4EiiDF16_DF16_ffEEvbbT2_NS_24const_host_device_scalarIT6_EEPKT1_S7_PKS1_PKT3_PKT4_PT5_21rocsparse_index_base_b,"axG",@progbits,_ZN9rocsparseL21csrmvt_general_kernelILj256ELj4EiiDF16_DF16_ffEEvbbT2_NS_24const_host_device_scalarIT6_EEPKT1_S7_PKS1_PKT3_PKT4_PT5_21rocsparse_index_base_b,comdat
.Lfunc_end204:
	.size	_ZN9rocsparseL21csrmvt_general_kernelILj256ELj4EiiDF16_DF16_ffEEvbbT2_NS_24const_host_device_scalarIT6_EEPKT1_S7_PKS1_PKT3_PKT4_PT5_21rocsparse_index_base_b, .Lfunc_end204-_ZN9rocsparseL21csrmvt_general_kernelILj256ELj4EiiDF16_DF16_ffEEvbbT2_NS_24const_host_device_scalarIT6_EEPKT1_S7_PKS1_PKT3_PKT4_PT5_21rocsparse_index_base_b
                                        ; -- End function
	.set _ZN9rocsparseL21csrmvt_general_kernelILj256ELj4EiiDF16_DF16_ffEEvbbT2_NS_24const_host_device_scalarIT6_EEPKT1_S7_PKS1_PKT3_PKT4_PT5_21rocsparse_index_base_b.num_vgpr, 10
	.set _ZN9rocsparseL21csrmvt_general_kernelILj256ELj4EiiDF16_DF16_ffEEvbbT2_NS_24const_host_device_scalarIT6_EEPKT1_S7_PKS1_PKT3_PKT4_PT5_21rocsparse_index_base_b.num_agpr, 0
	.set _ZN9rocsparseL21csrmvt_general_kernelILj256ELj4EiiDF16_DF16_ffEEvbbT2_NS_24const_host_device_scalarIT6_EEPKT1_S7_PKS1_PKT3_PKT4_PT5_21rocsparse_index_base_b.numbered_sgpr, 21
	.set _ZN9rocsparseL21csrmvt_general_kernelILj256ELj4EiiDF16_DF16_ffEEvbbT2_NS_24const_host_device_scalarIT6_EEPKT1_S7_PKS1_PKT3_PKT4_PT5_21rocsparse_index_base_b.num_named_barrier, 0
	.set _ZN9rocsparseL21csrmvt_general_kernelILj256ELj4EiiDF16_DF16_ffEEvbbT2_NS_24const_host_device_scalarIT6_EEPKT1_S7_PKS1_PKT3_PKT4_PT5_21rocsparse_index_base_b.private_seg_size, 0
	.set _ZN9rocsparseL21csrmvt_general_kernelILj256ELj4EiiDF16_DF16_ffEEvbbT2_NS_24const_host_device_scalarIT6_EEPKT1_S7_PKS1_PKT3_PKT4_PT5_21rocsparse_index_base_b.uses_vcc, 1
	.set _ZN9rocsparseL21csrmvt_general_kernelILj256ELj4EiiDF16_DF16_ffEEvbbT2_NS_24const_host_device_scalarIT6_EEPKT1_S7_PKS1_PKT3_PKT4_PT5_21rocsparse_index_base_b.uses_flat_scratch, 0
	.set _ZN9rocsparseL21csrmvt_general_kernelILj256ELj4EiiDF16_DF16_ffEEvbbT2_NS_24const_host_device_scalarIT6_EEPKT1_S7_PKS1_PKT3_PKT4_PT5_21rocsparse_index_base_b.has_dyn_sized_stack, 0
	.set _ZN9rocsparseL21csrmvt_general_kernelILj256ELj4EiiDF16_DF16_ffEEvbbT2_NS_24const_host_device_scalarIT6_EEPKT1_S7_PKS1_PKT3_PKT4_PT5_21rocsparse_index_base_b.has_recursion, 0
	.set _ZN9rocsparseL21csrmvt_general_kernelILj256ELj4EiiDF16_DF16_ffEEvbbT2_NS_24const_host_device_scalarIT6_EEPKT1_S7_PKS1_PKT3_PKT4_PT5_21rocsparse_index_base_b.has_indirect_call, 0
	.section	.AMDGPU.csdata,"",@progbits
; Kernel info:
; codeLenInByte = 784
; TotalNumSgprs: 23
; NumVgprs: 10
; ScratchSize: 0
; MemoryBound: 0
; FloatMode: 240
; IeeeMode: 1
; LDSByteSize: 0 bytes/workgroup (compile time only)
; SGPRBlocks: 0
; VGPRBlocks: 0
; NumSGPRsForWavesPerEU: 23
; NumVGPRsForWavesPerEU: 10
; NamedBarCnt: 0
; Occupancy: 16
; WaveLimiterHint : 1
; COMPUTE_PGM_RSRC2:SCRATCH_EN: 0
; COMPUTE_PGM_RSRC2:USER_SGPR: 2
; COMPUTE_PGM_RSRC2:TRAP_HANDLER: 0
; COMPUTE_PGM_RSRC2:TGID_X_EN: 1
; COMPUTE_PGM_RSRC2:TGID_Y_EN: 0
; COMPUTE_PGM_RSRC2:TGID_Z_EN: 0
; COMPUTE_PGM_RSRC2:TIDIG_COMP_CNT: 0
	.section	.text._ZN9rocsparseL21csrmvt_general_kernelILj256ELj8EiiDF16_DF16_ffEEvbbT2_NS_24const_host_device_scalarIT6_EEPKT1_S7_PKS1_PKT3_PKT4_PT5_21rocsparse_index_base_b,"axG",@progbits,_ZN9rocsparseL21csrmvt_general_kernelILj256ELj8EiiDF16_DF16_ffEEvbbT2_NS_24const_host_device_scalarIT6_EEPKT1_S7_PKS1_PKT3_PKT4_PT5_21rocsparse_index_base_b,comdat
	.globl	_ZN9rocsparseL21csrmvt_general_kernelILj256ELj8EiiDF16_DF16_ffEEvbbT2_NS_24const_host_device_scalarIT6_EEPKT1_S7_PKS1_PKT3_PKT4_PT5_21rocsparse_index_base_b ; -- Begin function _ZN9rocsparseL21csrmvt_general_kernelILj256ELj8EiiDF16_DF16_ffEEvbbT2_NS_24const_host_device_scalarIT6_EEPKT1_S7_PKS1_PKT3_PKT4_PT5_21rocsparse_index_base_b
	.p2align	8
	.type	_ZN9rocsparseL21csrmvt_general_kernelILj256ELj8EiiDF16_DF16_ffEEvbbT2_NS_24const_host_device_scalarIT6_EEPKT1_S7_PKS1_PKT3_PKT4_PT5_21rocsparse_index_base_b,@function
_ZN9rocsparseL21csrmvt_general_kernelILj256ELj8EiiDF16_DF16_ffEEvbbT2_NS_24const_host_device_scalarIT6_EEPKT1_S7_PKS1_PKT3_PKT4_PT5_21rocsparse_index_base_b: ; @_ZN9rocsparseL21csrmvt_general_kernelILj256ELj8EiiDF16_DF16_ffEEvbbT2_NS_24const_host_device_scalarIT6_EEPKT1_S7_PKS1_PKT3_PKT4_PT5_21rocsparse_index_base_b
; %bb.0:
	s_clause 0x1
	s_load_b64 s[2:3], s[0:1], 0x40
	s_load_b128 s[12:15], s[0:1], 0x8
	s_wait_kmcnt 0x0
	s_bitcmp1_b32 s3, 0
	s_cselect_b32 s3, -1, 0
	s_delay_alu instid0(SALU_CYCLE_1)
	s_and_b32 vcc_lo, exec_lo, s3
	s_cbranch_vccnz .LBB205_2
; %bb.1:
	s_load_b32 s12, s[12:13], 0x0
.LBB205_2:
	s_wait_kmcnt 0x0
	s_cmp_eq_f32 s12, 0
	s_cbranch_scc1 .LBB205_20
; %bb.3:
	s_clause 0x3
	s_load_b64 s[16:17], s[0:1], 0x0
	s_load_b32 s3, s[0:1], 0x48
	s_load_b64 s[18:19], s[0:1], 0x38
	s_load_b256 s[4:11], s[0:1], 0x18
	s_wait_xcnt 0x0
	s_bfe_u32 s0, ttmp6, 0x4000c
	s_and_b32 s13, ttmp6, 15
	s_add_co_i32 s0, s0, 1
	s_getreg_b32 s20, hwreg(HW_REG_IB_STS2, 6, 4)
	s_mul_i32 s0, ttmp9, s0
	v_and_b32_e32 v3, 7, v0
	s_add_co_i32 s13, s13, s0
	s_wait_kmcnt 0x0
	s_and_b32 s16, s16, 1
	s_lshl_b32 s1, s3, 5
	s_cmp_eq_u32 s20, 0
	s_mov_b32 s3, -1
	s_cselect_b32 s0, ttmp9, s13
	s_cmp_eq_u32 s16, 0
	v_lshl_or_b32 v1, s0, 8, v0
	s_delay_alu instid0(VALU_DEP_1) | instskip(NEXT) | instid1(VALU_DEP_1)
	v_lshrrev_b32_e32 v2, 3, v1
	v_cmp_gt_i32_e64 s0, s17, v2
	s_cbranch_scc0 .LBB205_11
; %bb.4:
	s_and_saveexec_b32 s3, s0
	s_cbranch_execz .LBB205_10
; %bb.5:
	v_subrev_nc_u32_e32 v4, s2, v3
	v_mov_b32_e32 v0, v2
	s_mov_b32 s13, 0
	s_branch .LBB205_7
.LBB205_6:                              ;   in Loop: Header=BB205_7 Depth=1
	s_or_b32 exec_lo, exec_lo, s16
	v_add_nc_u32_e32 v0, s1, v0
	s_delay_alu instid0(VALU_DEP_1) | instskip(SKIP_1) | instid1(SALU_CYCLE_1)
	v_cmp_le_i32_e32 vcc_lo, s17, v0
	s_or_b32 s13, vcc_lo, s13
	s_and_not1_b32 exec_lo, exec_lo, s13
	s_cbranch_execz .LBB205_10
.LBB205_7:                              ; =>This Loop Header: Depth=1
                                        ;     Child Loop BB205_9 Depth 2
	s_clause 0x1
	global_load_b32 v1, v0, s[4:5] scale_offset
	global_load_b32 v6, v0, s[14:15] scale_offset
	s_mov_b32 s16, exec_lo
	s_wait_loadcnt 0x1
	v_subrev_nc_u32_e32 v5, s2, v1
	s_wait_loadcnt 0x0
	v_add_nc_u32_e32 v6, v6, v4
	s_wait_xcnt 0x0
	s_delay_alu instid0(VALU_DEP_1)
	v_cmpx_lt_i32_e64 v6, v5
	s_cbranch_execz .LBB205_6
; %bb.8:                                ;   in Loop: Header=BB205_7 Depth=1
	v_ashrrev_i32_e32 v1, 31, v0
	s_mov_b32 s20, 0
	s_delay_alu instid0(VALU_DEP_1) | instskip(SKIP_3) | instid1(VALU_DEP_1)
	v_lshl_add_u64 v[8:9], v[0:1], 1, s[10:11]
	global_load_u16 v1, v[8:9], off
	s_wait_loadcnt 0x0
	v_cvt_f32_f16_e32 v1, v1
	v_mul_f32_e32 v1, s12, v1
.LBB205_9:                              ;   Parent Loop BB205_7 Depth=1
                                        ; =>  This Inner Loop Header: Depth=2
	s_clause 0x1
	global_load_u16 v7, v6, s[8:9] scale_offset
	global_load_b32 v8, v6, s[6:7] scale_offset
	s_wait_xcnt 0x0
	v_add_nc_u32_e32 v6, 8, v6
	s_delay_alu instid0(VALU_DEP_1)
	v_cmp_ge_i32_e32 vcc_lo, v6, v5
	s_or_b32 s20, vcc_lo, s20
	s_wait_loadcnt 0x1
	v_cvt_f32_f16_e32 v7, v7
	s_wait_loadcnt 0x0
	v_subrev_nc_u32_e32 v8, s2, v8
	s_delay_alu instid0(VALU_DEP_2)
	v_mul_f32_e32 v7, v1, v7
	global_atomic_add_f32 v8, v7, s[18:19] scale_offset scope:SCOPE_DEV
	s_wait_xcnt 0x0
	s_and_not1_b32 exec_lo, exec_lo, s20
	s_cbranch_execnz .LBB205_9
	s_branch .LBB205_6
.LBB205_10:
	s_or_b32 exec_lo, exec_lo, s3
	s_mov_b32 s3, 0
.LBB205_11:
	s_delay_alu instid0(SALU_CYCLE_1)
	s_and_not1_b32 vcc_lo, exec_lo, s3
	s_cbranch_vccnz .LBB205_20
; %bb.12:
	s_and_saveexec_b32 s3, s0
	s_cbranch_execz .LBB205_20
; %bb.13:
	v_subrev_nc_u32_e32 v4, s2, v3
	s_mov_b32 s0, 0
	s_branch .LBB205_15
.LBB205_14:                             ;   in Loop: Header=BB205_15 Depth=1
	s_or_b32 exec_lo, exec_lo, s3
	v_add_nc_u32_e32 v2, s1, v2
	s_delay_alu instid0(VALU_DEP_1) | instskip(SKIP_1) | instid1(SALU_CYCLE_1)
	v_cmp_le_i32_e32 vcc_lo, s17, v2
	s_or_b32 s0, vcc_lo, s0
	s_and_not1_b32 exec_lo, exec_lo, s0
	s_cbranch_execz .LBB205_20
.LBB205_15:                             ; =>This Loop Header: Depth=1
                                        ;     Child Loop BB205_18 Depth 2
	s_clause 0x1
	global_load_b32 v0, v2, s[4:5] scale_offset
	global_load_b32 v1, v2, s[14:15] scale_offset
	s_mov_b32 s3, exec_lo
	s_wait_loadcnt 0x1
	v_subrev_nc_u32_e32 v5, s2, v0
	s_wait_loadcnt 0x0
	v_add_nc_u32_e32 v0, v1, v4
	s_wait_xcnt 0x0
	s_delay_alu instid0(VALU_DEP_1)
	v_cmpx_lt_i32_e64 v0, v5
	s_cbranch_execz .LBB205_14
; %bb.16:                               ;   in Loop: Header=BB205_15 Depth=1
	v_ashrrev_i32_e32 v3, 31, v2
	s_mov_b32 s13, 0
	s_delay_alu instid0(VALU_DEP_1) | instskip(SKIP_3) | instid1(VALU_DEP_1)
	v_lshl_add_u64 v[6:7], v[2:3], 1, s[10:11]
	global_load_u16 v1, v[6:7], off
	s_wait_loadcnt 0x0
	v_cvt_f32_f16_e32 v1, v1
	v_mul_f32_e32 v3, s12, v1
	s_branch .LBB205_18
.LBB205_17:                             ;   in Loop: Header=BB205_18 Depth=2
	s_wait_xcnt 0x0
	s_or_b32 exec_lo, exec_lo, s16
	v_add_nc_u32_e32 v0, 8, v0
	s_delay_alu instid0(VALU_DEP_1) | instskip(SKIP_1) | instid1(SALU_CYCLE_1)
	v_cmp_ge_i32_e32 vcc_lo, v0, v5
	s_or_b32 s13, vcc_lo, s13
	s_and_not1_b32 exec_lo, exec_lo, s13
	s_cbranch_execz .LBB205_14
.LBB205_18:                             ;   Parent Loop BB205_15 Depth=1
                                        ; =>  This Inner Loop Header: Depth=2
	global_load_b32 v1, v0, s[6:7] scale_offset
	s_mov_b32 s16, exec_lo
	s_wait_loadcnt 0x0
	s_wait_xcnt 0x1
	v_subrev_nc_u32_e32 v6, s2, v1
	v_ashrrev_i32_e32 v1, 31, v0
	s_wait_xcnt 0x0
	s_delay_alu instid0(VALU_DEP_2)
	v_cmpx_ne_u32_e64 v6, v2
	s_cbranch_execz .LBB205_17
; %bb.19:                               ;   in Loop: Header=BB205_18 Depth=2
	s_delay_alu instid0(VALU_DEP_2) | instskip(SKIP_3) | instid1(VALU_DEP_1)
	v_lshl_add_u64 v[8:9], v[0:1], 1, s[8:9]
	global_load_u16 v1, v[8:9], off
	s_wait_loadcnt 0x0
	v_cvt_f32_f16_e32 v1, v1
	v_mul_f32_e32 v1, v3, v1
	s_wait_xcnt 0x0
	global_atomic_add_f32 v6, v1, s[18:19] scale_offset scope:SCOPE_DEV
	s_branch .LBB205_17
.LBB205_20:
	s_endpgm
	.section	.rodata,"a",@progbits
	.p2align	6, 0x0
	.amdhsa_kernel _ZN9rocsparseL21csrmvt_general_kernelILj256ELj8EiiDF16_DF16_ffEEvbbT2_NS_24const_host_device_scalarIT6_EEPKT1_S7_PKS1_PKT3_PKT4_PT5_21rocsparse_index_base_b
		.amdhsa_group_segment_fixed_size 0
		.amdhsa_private_segment_fixed_size 0
		.amdhsa_kernarg_size 328
		.amdhsa_user_sgpr_count 2
		.amdhsa_user_sgpr_dispatch_ptr 0
		.amdhsa_user_sgpr_queue_ptr 0
		.amdhsa_user_sgpr_kernarg_segment_ptr 1
		.amdhsa_user_sgpr_dispatch_id 0
		.amdhsa_user_sgpr_kernarg_preload_length 0
		.amdhsa_user_sgpr_kernarg_preload_offset 0
		.amdhsa_user_sgpr_private_segment_size 0
		.amdhsa_wavefront_size32 1
		.amdhsa_uses_dynamic_stack 0
		.amdhsa_enable_private_segment 0
		.amdhsa_system_sgpr_workgroup_id_x 1
		.amdhsa_system_sgpr_workgroup_id_y 0
		.amdhsa_system_sgpr_workgroup_id_z 0
		.amdhsa_system_sgpr_workgroup_info 0
		.amdhsa_system_vgpr_workitem_id 0
		.amdhsa_next_free_vgpr 10
		.amdhsa_next_free_sgpr 21
		.amdhsa_named_barrier_count 0
		.amdhsa_reserve_vcc 1
		.amdhsa_float_round_mode_32 0
		.amdhsa_float_round_mode_16_64 0
		.amdhsa_float_denorm_mode_32 3
		.amdhsa_float_denorm_mode_16_64 3
		.amdhsa_fp16_overflow 0
		.amdhsa_memory_ordered 1
		.amdhsa_forward_progress 1
		.amdhsa_inst_pref_size 7
		.amdhsa_round_robin_scheduling 0
		.amdhsa_exception_fp_ieee_invalid_op 0
		.amdhsa_exception_fp_denorm_src 0
		.amdhsa_exception_fp_ieee_div_zero 0
		.amdhsa_exception_fp_ieee_overflow 0
		.amdhsa_exception_fp_ieee_underflow 0
		.amdhsa_exception_fp_ieee_inexact 0
		.amdhsa_exception_int_div_zero 0
	.end_amdhsa_kernel
	.section	.text._ZN9rocsparseL21csrmvt_general_kernelILj256ELj8EiiDF16_DF16_ffEEvbbT2_NS_24const_host_device_scalarIT6_EEPKT1_S7_PKS1_PKT3_PKT4_PT5_21rocsparse_index_base_b,"axG",@progbits,_ZN9rocsparseL21csrmvt_general_kernelILj256ELj8EiiDF16_DF16_ffEEvbbT2_NS_24const_host_device_scalarIT6_EEPKT1_S7_PKS1_PKT3_PKT4_PT5_21rocsparse_index_base_b,comdat
.Lfunc_end205:
	.size	_ZN9rocsparseL21csrmvt_general_kernelILj256ELj8EiiDF16_DF16_ffEEvbbT2_NS_24const_host_device_scalarIT6_EEPKT1_S7_PKS1_PKT3_PKT4_PT5_21rocsparse_index_base_b, .Lfunc_end205-_ZN9rocsparseL21csrmvt_general_kernelILj256ELj8EiiDF16_DF16_ffEEvbbT2_NS_24const_host_device_scalarIT6_EEPKT1_S7_PKS1_PKT3_PKT4_PT5_21rocsparse_index_base_b
                                        ; -- End function
	.set _ZN9rocsparseL21csrmvt_general_kernelILj256ELj8EiiDF16_DF16_ffEEvbbT2_NS_24const_host_device_scalarIT6_EEPKT1_S7_PKS1_PKT3_PKT4_PT5_21rocsparse_index_base_b.num_vgpr, 10
	.set _ZN9rocsparseL21csrmvt_general_kernelILj256ELj8EiiDF16_DF16_ffEEvbbT2_NS_24const_host_device_scalarIT6_EEPKT1_S7_PKS1_PKT3_PKT4_PT5_21rocsparse_index_base_b.num_agpr, 0
	.set _ZN9rocsparseL21csrmvt_general_kernelILj256ELj8EiiDF16_DF16_ffEEvbbT2_NS_24const_host_device_scalarIT6_EEPKT1_S7_PKS1_PKT3_PKT4_PT5_21rocsparse_index_base_b.numbered_sgpr, 21
	.set _ZN9rocsparseL21csrmvt_general_kernelILj256ELj8EiiDF16_DF16_ffEEvbbT2_NS_24const_host_device_scalarIT6_EEPKT1_S7_PKS1_PKT3_PKT4_PT5_21rocsparse_index_base_b.num_named_barrier, 0
	.set _ZN9rocsparseL21csrmvt_general_kernelILj256ELj8EiiDF16_DF16_ffEEvbbT2_NS_24const_host_device_scalarIT6_EEPKT1_S7_PKS1_PKT3_PKT4_PT5_21rocsparse_index_base_b.private_seg_size, 0
	.set _ZN9rocsparseL21csrmvt_general_kernelILj256ELj8EiiDF16_DF16_ffEEvbbT2_NS_24const_host_device_scalarIT6_EEPKT1_S7_PKS1_PKT3_PKT4_PT5_21rocsparse_index_base_b.uses_vcc, 1
	.set _ZN9rocsparseL21csrmvt_general_kernelILj256ELj8EiiDF16_DF16_ffEEvbbT2_NS_24const_host_device_scalarIT6_EEPKT1_S7_PKS1_PKT3_PKT4_PT5_21rocsparse_index_base_b.uses_flat_scratch, 0
	.set _ZN9rocsparseL21csrmvt_general_kernelILj256ELj8EiiDF16_DF16_ffEEvbbT2_NS_24const_host_device_scalarIT6_EEPKT1_S7_PKS1_PKT3_PKT4_PT5_21rocsparse_index_base_b.has_dyn_sized_stack, 0
	.set _ZN9rocsparseL21csrmvt_general_kernelILj256ELj8EiiDF16_DF16_ffEEvbbT2_NS_24const_host_device_scalarIT6_EEPKT1_S7_PKS1_PKT3_PKT4_PT5_21rocsparse_index_base_b.has_recursion, 0
	.set _ZN9rocsparseL21csrmvt_general_kernelILj256ELj8EiiDF16_DF16_ffEEvbbT2_NS_24const_host_device_scalarIT6_EEPKT1_S7_PKS1_PKT3_PKT4_PT5_21rocsparse_index_base_b.has_indirect_call, 0
	.section	.AMDGPU.csdata,"",@progbits
; Kernel info:
; codeLenInByte = 784
; TotalNumSgprs: 23
; NumVgprs: 10
; ScratchSize: 0
; MemoryBound: 0
; FloatMode: 240
; IeeeMode: 1
; LDSByteSize: 0 bytes/workgroup (compile time only)
; SGPRBlocks: 0
; VGPRBlocks: 0
; NumSGPRsForWavesPerEU: 23
; NumVGPRsForWavesPerEU: 10
; NamedBarCnt: 0
; Occupancy: 16
; WaveLimiterHint : 1
; COMPUTE_PGM_RSRC2:SCRATCH_EN: 0
; COMPUTE_PGM_RSRC2:USER_SGPR: 2
; COMPUTE_PGM_RSRC2:TRAP_HANDLER: 0
; COMPUTE_PGM_RSRC2:TGID_X_EN: 1
; COMPUTE_PGM_RSRC2:TGID_Y_EN: 0
; COMPUTE_PGM_RSRC2:TGID_Z_EN: 0
; COMPUTE_PGM_RSRC2:TIDIG_COMP_CNT: 0
	.section	.text._ZN9rocsparseL21csrmvt_general_kernelILj256ELj16EiiDF16_DF16_ffEEvbbT2_NS_24const_host_device_scalarIT6_EEPKT1_S7_PKS1_PKT3_PKT4_PT5_21rocsparse_index_base_b,"axG",@progbits,_ZN9rocsparseL21csrmvt_general_kernelILj256ELj16EiiDF16_DF16_ffEEvbbT2_NS_24const_host_device_scalarIT6_EEPKT1_S7_PKS1_PKT3_PKT4_PT5_21rocsparse_index_base_b,comdat
	.globl	_ZN9rocsparseL21csrmvt_general_kernelILj256ELj16EiiDF16_DF16_ffEEvbbT2_NS_24const_host_device_scalarIT6_EEPKT1_S7_PKS1_PKT3_PKT4_PT5_21rocsparse_index_base_b ; -- Begin function _ZN9rocsparseL21csrmvt_general_kernelILj256ELj16EiiDF16_DF16_ffEEvbbT2_NS_24const_host_device_scalarIT6_EEPKT1_S7_PKS1_PKT3_PKT4_PT5_21rocsparse_index_base_b
	.p2align	8
	.type	_ZN9rocsparseL21csrmvt_general_kernelILj256ELj16EiiDF16_DF16_ffEEvbbT2_NS_24const_host_device_scalarIT6_EEPKT1_S7_PKS1_PKT3_PKT4_PT5_21rocsparse_index_base_b,@function
_ZN9rocsparseL21csrmvt_general_kernelILj256ELj16EiiDF16_DF16_ffEEvbbT2_NS_24const_host_device_scalarIT6_EEPKT1_S7_PKS1_PKT3_PKT4_PT5_21rocsparse_index_base_b: ; @_ZN9rocsparseL21csrmvt_general_kernelILj256ELj16EiiDF16_DF16_ffEEvbbT2_NS_24const_host_device_scalarIT6_EEPKT1_S7_PKS1_PKT3_PKT4_PT5_21rocsparse_index_base_b
; %bb.0:
	s_clause 0x1
	s_load_b64 s[2:3], s[0:1], 0x40
	s_load_b128 s[12:15], s[0:1], 0x8
	s_wait_kmcnt 0x0
	s_bitcmp1_b32 s3, 0
	s_cselect_b32 s3, -1, 0
	s_delay_alu instid0(SALU_CYCLE_1)
	s_and_b32 vcc_lo, exec_lo, s3
	s_cbranch_vccnz .LBB206_2
; %bb.1:
	s_load_b32 s12, s[12:13], 0x0
.LBB206_2:
	s_wait_kmcnt 0x0
	s_cmp_eq_f32 s12, 0
	s_cbranch_scc1 .LBB206_20
; %bb.3:
	s_clause 0x3
	s_load_b64 s[16:17], s[0:1], 0x0
	s_load_b32 s3, s[0:1], 0x48
	s_load_b64 s[18:19], s[0:1], 0x38
	s_load_b256 s[4:11], s[0:1], 0x18
	s_wait_xcnt 0x0
	s_bfe_u32 s0, ttmp6, 0x4000c
	s_and_b32 s13, ttmp6, 15
	s_add_co_i32 s0, s0, 1
	s_getreg_b32 s20, hwreg(HW_REG_IB_STS2, 6, 4)
	s_mul_i32 s0, ttmp9, s0
	v_and_b32_e32 v3, 15, v0
	s_add_co_i32 s13, s13, s0
	s_wait_kmcnt 0x0
	s_and_b32 s16, s16, 1
	s_lshl_b32 s1, s3, 4
	s_cmp_eq_u32 s20, 0
	s_mov_b32 s3, -1
	s_cselect_b32 s0, ttmp9, s13
	s_cmp_eq_u32 s16, 0
	v_lshl_or_b32 v1, s0, 8, v0
	s_delay_alu instid0(VALU_DEP_1) | instskip(NEXT) | instid1(VALU_DEP_1)
	v_lshrrev_b32_e32 v2, 4, v1
	v_cmp_gt_i32_e64 s0, s17, v2
	s_cbranch_scc0 .LBB206_11
; %bb.4:
	s_and_saveexec_b32 s3, s0
	s_cbranch_execz .LBB206_10
; %bb.5:
	v_subrev_nc_u32_e32 v4, s2, v3
	v_mov_b32_e32 v0, v2
	s_mov_b32 s13, 0
	s_branch .LBB206_7
.LBB206_6:                              ;   in Loop: Header=BB206_7 Depth=1
	s_or_b32 exec_lo, exec_lo, s16
	v_add_nc_u32_e32 v0, s1, v0
	s_delay_alu instid0(VALU_DEP_1) | instskip(SKIP_1) | instid1(SALU_CYCLE_1)
	v_cmp_le_i32_e32 vcc_lo, s17, v0
	s_or_b32 s13, vcc_lo, s13
	s_and_not1_b32 exec_lo, exec_lo, s13
	s_cbranch_execz .LBB206_10
.LBB206_7:                              ; =>This Loop Header: Depth=1
                                        ;     Child Loop BB206_9 Depth 2
	s_clause 0x1
	global_load_b32 v1, v0, s[4:5] scale_offset
	global_load_b32 v6, v0, s[14:15] scale_offset
	s_mov_b32 s16, exec_lo
	s_wait_loadcnt 0x1
	v_subrev_nc_u32_e32 v5, s2, v1
	s_wait_loadcnt 0x0
	v_add_nc_u32_e32 v6, v6, v4
	s_wait_xcnt 0x0
	s_delay_alu instid0(VALU_DEP_1)
	v_cmpx_lt_i32_e64 v6, v5
	s_cbranch_execz .LBB206_6
; %bb.8:                                ;   in Loop: Header=BB206_7 Depth=1
	v_ashrrev_i32_e32 v1, 31, v0
	s_mov_b32 s20, 0
	s_delay_alu instid0(VALU_DEP_1) | instskip(SKIP_3) | instid1(VALU_DEP_1)
	v_lshl_add_u64 v[8:9], v[0:1], 1, s[10:11]
	global_load_u16 v1, v[8:9], off
	s_wait_loadcnt 0x0
	v_cvt_f32_f16_e32 v1, v1
	v_mul_f32_e32 v1, s12, v1
.LBB206_9:                              ;   Parent Loop BB206_7 Depth=1
                                        ; =>  This Inner Loop Header: Depth=2
	s_clause 0x1
	global_load_u16 v7, v6, s[8:9] scale_offset
	global_load_b32 v8, v6, s[6:7] scale_offset
	s_wait_xcnt 0x0
	v_add_nc_u32_e32 v6, 16, v6
	s_delay_alu instid0(VALU_DEP_1)
	v_cmp_ge_i32_e32 vcc_lo, v6, v5
	s_or_b32 s20, vcc_lo, s20
	s_wait_loadcnt 0x1
	v_cvt_f32_f16_e32 v7, v7
	s_wait_loadcnt 0x0
	v_subrev_nc_u32_e32 v8, s2, v8
	s_delay_alu instid0(VALU_DEP_2)
	v_mul_f32_e32 v7, v1, v7
	global_atomic_add_f32 v8, v7, s[18:19] scale_offset scope:SCOPE_DEV
	s_wait_xcnt 0x0
	s_and_not1_b32 exec_lo, exec_lo, s20
	s_cbranch_execnz .LBB206_9
	s_branch .LBB206_6
.LBB206_10:
	s_or_b32 exec_lo, exec_lo, s3
	s_mov_b32 s3, 0
.LBB206_11:
	s_delay_alu instid0(SALU_CYCLE_1)
	s_and_not1_b32 vcc_lo, exec_lo, s3
	s_cbranch_vccnz .LBB206_20
; %bb.12:
	s_and_saveexec_b32 s3, s0
	s_cbranch_execz .LBB206_20
; %bb.13:
	v_subrev_nc_u32_e32 v4, s2, v3
	s_mov_b32 s0, 0
	s_branch .LBB206_15
.LBB206_14:                             ;   in Loop: Header=BB206_15 Depth=1
	s_or_b32 exec_lo, exec_lo, s3
	v_add_nc_u32_e32 v2, s1, v2
	s_delay_alu instid0(VALU_DEP_1) | instskip(SKIP_1) | instid1(SALU_CYCLE_1)
	v_cmp_le_i32_e32 vcc_lo, s17, v2
	s_or_b32 s0, vcc_lo, s0
	s_and_not1_b32 exec_lo, exec_lo, s0
	s_cbranch_execz .LBB206_20
.LBB206_15:                             ; =>This Loop Header: Depth=1
                                        ;     Child Loop BB206_18 Depth 2
	s_clause 0x1
	global_load_b32 v0, v2, s[4:5] scale_offset
	global_load_b32 v1, v2, s[14:15] scale_offset
	s_mov_b32 s3, exec_lo
	s_wait_loadcnt 0x1
	v_subrev_nc_u32_e32 v5, s2, v0
	s_wait_loadcnt 0x0
	v_add_nc_u32_e32 v0, v1, v4
	s_wait_xcnt 0x0
	s_delay_alu instid0(VALU_DEP_1)
	v_cmpx_lt_i32_e64 v0, v5
	s_cbranch_execz .LBB206_14
; %bb.16:                               ;   in Loop: Header=BB206_15 Depth=1
	v_ashrrev_i32_e32 v3, 31, v2
	s_mov_b32 s13, 0
	s_delay_alu instid0(VALU_DEP_1) | instskip(SKIP_3) | instid1(VALU_DEP_1)
	v_lshl_add_u64 v[6:7], v[2:3], 1, s[10:11]
	global_load_u16 v1, v[6:7], off
	s_wait_loadcnt 0x0
	v_cvt_f32_f16_e32 v1, v1
	v_mul_f32_e32 v3, s12, v1
	s_branch .LBB206_18
.LBB206_17:                             ;   in Loop: Header=BB206_18 Depth=2
	s_wait_xcnt 0x0
	s_or_b32 exec_lo, exec_lo, s16
	v_add_nc_u32_e32 v0, 16, v0
	s_delay_alu instid0(VALU_DEP_1) | instskip(SKIP_1) | instid1(SALU_CYCLE_1)
	v_cmp_ge_i32_e32 vcc_lo, v0, v5
	s_or_b32 s13, vcc_lo, s13
	s_and_not1_b32 exec_lo, exec_lo, s13
	s_cbranch_execz .LBB206_14
.LBB206_18:                             ;   Parent Loop BB206_15 Depth=1
                                        ; =>  This Inner Loop Header: Depth=2
	global_load_b32 v1, v0, s[6:7] scale_offset
	s_mov_b32 s16, exec_lo
	s_wait_loadcnt 0x0
	s_wait_xcnt 0x1
	v_subrev_nc_u32_e32 v6, s2, v1
	v_ashrrev_i32_e32 v1, 31, v0
	s_wait_xcnt 0x0
	s_delay_alu instid0(VALU_DEP_2)
	v_cmpx_ne_u32_e64 v6, v2
	s_cbranch_execz .LBB206_17
; %bb.19:                               ;   in Loop: Header=BB206_18 Depth=2
	s_delay_alu instid0(VALU_DEP_2) | instskip(SKIP_3) | instid1(VALU_DEP_1)
	v_lshl_add_u64 v[8:9], v[0:1], 1, s[8:9]
	global_load_u16 v1, v[8:9], off
	s_wait_loadcnt 0x0
	v_cvt_f32_f16_e32 v1, v1
	v_mul_f32_e32 v1, v3, v1
	s_wait_xcnt 0x0
	global_atomic_add_f32 v6, v1, s[18:19] scale_offset scope:SCOPE_DEV
	s_branch .LBB206_17
.LBB206_20:
	s_endpgm
	.section	.rodata,"a",@progbits
	.p2align	6, 0x0
	.amdhsa_kernel _ZN9rocsparseL21csrmvt_general_kernelILj256ELj16EiiDF16_DF16_ffEEvbbT2_NS_24const_host_device_scalarIT6_EEPKT1_S7_PKS1_PKT3_PKT4_PT5_21rocsparse_index_base_b
		.amdhsa_group_segment_fixed_size 0
		.amdhsa_private_segment_fixed_size 0
		.amdhsa_kernarg_size 328
		.amdhsa_user_sgpr_count 2
		.amdhsa_user_sgpr_dispatch_ptr 0
		.amdhsa_user_sgpr_queue_ptr 0
		.amdhsa_user_sgpr_kernarg_segment_ptr 1
		.amdhsa_user_sgpr_dispatch_id 0
		.amdhsa_user_sgpr_kernarg_preload_length 0
		.amdhsa_user_sgpr_kernarg_preload_offset 0
		.amdhsa_user_sgpr_private_segment_size 0
		.amdhsa_wavefront_size32 1
		.amdhsa_uses_dynamic_stack 0
		.amdhsa_enable_private_segment 0
		.amdhsa_system_sgpr_workgroup_id_x 1
		.amdhsa_system_sgpr_workgroup_id_y 0
		.amdhsa_system_sgpr_workgroup_id_z 0
		.amdhsa_system_sgpr_workgroup_info 0
		.amdhsa_system_vgpr_workitem_id 0
		.amdhsa_next_free_vgpr 10
		.amdhsa_next_free_sgpr 21
		.amdhsa_named_barrier_count 0
		.amdhsa_reserve_vcc 1
		.amdhsa_float_round_mode_32 0
		.amdhsa_float_round_mode_16_64 0
		.amdhsa_float_denorm_mode_32 3
		.amdhsa_float_denorm_mode_16_64 3
		.amdhsa_fp16_overflow 0
		.amdhsa_memory_ordered 1
		.amdhsa_forward_progress 1
		.amdhsa_inst_pref_size 7
		.amdhsa_round_robin_scheduling 0
		.amdhsa_exception_fp_ieee_invalid_op 0
		.amdhsa_exception_fp_denorm_src 0
		.amdhsa_exception_fp_ieee_div_zero 0
		.amdhsa_exception_fp_ieee_overflow 0
		.amdhsa_exception_fp_ieee_underflow 0
		.amdhsa_exception_fp_ieee_inexact 0
		.amdhsa_exception_int_div_zero 0
	.end_amdhsa_kernel
	.section	.text._ZN9rocsparseL21csrmvt_general_kernelILj256ELj16EiiDF16_DF16_ffEEvbbT2_NS_24const_host_device_scalarIT6_EEPKT1_S7_PKS1_PKT3_PKT4_PT5_21rocsparse_index_base_b,"axG",@progbits,_ZN9rocsparseL21csrmvt_general_kernelILj256ELj16EiiDF16_DF16_ffEEvbbT2_NS_24const_host_device_scalarIT6_EEPKT1_S7_PKS1_PKT3_PKT4_PT5_21rocsparse_index_base_b,comdat
.Lfunc_end206:
	.size	_ZN9rocsparseL21csrmvt_general_kernelILj256ELj16EiiDF16_DF16_ffEEvbbT2_NS_24const_host_device_scalarIT6_EEPKT1_S7_PKS1_PKT3_PKT4_PT5_21rocsparse_index_base_b, .Lfunc_end206-_ZN9rocsparseL21csrmvt_general_kernelILj256ELj16EiiDF16_DF16_ffEEvbbT2_NS_24const_host_device_scalarIT6_EEPKT1_S7_PKS1_PKT3_PKT4_PT5_21rocsparse_index_base_b
                                        ; -- End function
	.set _ZN9rocsparseL21csrmvt_general_kernelILj256ELj16EiiDF16_DF16_ffEEvbbT2_NS_24const_host_device_scalarIT6_EEPKT1_S7_PKS1_PKT3_PKT4_PT5_21rocsparse_index_base_b.num_vgpr, 10
	.set _ZN9rocsparseL21csrmvt_general_kernelILj256ELj16EiiDF16_DF16_ffEEvbbT2_NS_24const_host_device_scalarIT6_EEPKT1_S7_PKS1_PKT3_PKT4_PT5_21rocsparse_index_base_b.num_agpr, 0
	.set _ZN9rocsparseL21csrmvt_general_kernelILj256ELj16EiiDF16_DF16_ffEEvbbT2_NS_24const_host_device_scalarIT6_EEPKT1_S7_PKS1_PKT3_PKT4_PT5_21rocsparse_index_base_b.numbered_sgpr, 21
	.set _ZN9rocsparseL21csrmvt_general_kernelILj256ELj16EiiDF16_DF16_ffEEvbbT2_NS_24const_host_device_scalarIT6_EEPKT1_S7_PKS1_PKT3_PKT4_PT5_21rocsparse_index_base_b.num_named_barrier, 0
	.set _ZN9rocsparseL21csrmvt_general_kernelILj256ELj16EiiDF16_DF16_ffEEvbbT2_NS_24const_host_device_scalarIT6_EEPKT1_S7_PKS1_PKT3_PKT4_PT5_21rocsparse_index_base_b.private_seg_size, 0
	.set _ZN9rocsparseL21csrmvt_general_kernelILj256ELj16EiiDF16_DF16_ffEEvbbT2_NS_24const_host_device_scalarIT6_EEPKT1_S7_PKS1_PKT3_PKT4_PT5_21rocsparse_index_base_b.uses_vcc, 1
	.set _ZN9rocsparseL21csrmvt_general_kernelILj256ELj16EiiDF16_DF16_ffEEvbbT2_NS_24const_host_device_scalarIT6_EEPKT1_S7_PKS1_PKT3_PKT4_PT5_21rocsparse_index_base_b.uses_flat_scratch, 0
	.set _ZN9rocsparseL21csrmvt_general_kernelILj256ELj16EiiDF16_DF16_ffEEvbbT2_NS_24const_host_device_scalarIT6_EEPKT1_S7_PKS1_PKT3_PKT4_PT5_21rocsparse_index_base_b.has_dyn_sized_stack, 0
	.set _ZN9rocsparseL21csrmvt_general_kernelILj256ELj16EiiDF16_DF16_ffEEvbbT2_NS_24const_host_device_scalarIT6_EEPKT1_S7_PKS1_PKT3_PKT4_PT5_21rocsparse_index_base_b.has_recursion, 0
	.set _ZN9rocsparseL21csrmvt_general_kernelILj256ELj16EiiDF16_DF16_ffEEvbbT2_NS_24const_host_device_scalarIT6_EEPKT1_S7_PKS1_PKT3_PKT4_PT5_21rocsparse_index_base_b.has_indirect_call, 0
	.section	.AMDGPU.csdata,"",@progbits
; Kernel info:
; codeLenInByte = 784
; TotalNumSgprs: 23
; NumVgprs: 10
; ScratchSize: 0
; MemoryBound: 0
; FloatMode: 240
; IeeeMode: 1
; LDSByteSize: 0 bytes/workgroup (compile time only)
; SGPRBlocks: 0
; VGPRBlocks: 0
; NumSGPRsForWavesPerEU: 23
; NumVGPRsForWavesPerEU: 10
; NamedBarCnt: 0
; Occupancy: 16
; WaveLimiterHint : 1
; COMPUTE_PGM_RSRC2:SCRATCH_EN: 0
; COMPUTE_PGM_RSRC2:USER_SGPR: 2
; COMPUTE_PGM_RSRC2:TRAP_HANDLER: 0
; COMPUTE_PGM_RSRC2:TGID_X_EN: 1
; COMPUTE_PGM_RSRC2:TGID_Y_EN: 0
; COMPUTE_PGM_RSRC2:TGID_Z_EN: 0
; COMPUTE_PGM_RSRC2:TIDIG_COMP_CNT: 0
	.section	.text._ZN9rocsparseL21csrmvt_general_kernelILj256ELj32EiiDF16_DF16_ffEEvbbT2_NS_24const_host_device_scalarIT6_EEPKT1_S7_PKS1_PKT3_PKT4_PT5_21rocsparse_index_base_b,"axG",@progbits,_ZN9rocsparseL21csrmvt_general_kernelILj256ELj32EiiDF16_DF16_ffEEvbbT2_NS_24const_host_device_scalarIT6_EEPKT1_S7_PKS1_PKT3_PKT4_PT5_21rocsparse_index_base_b,comdat
	.globl	_ZN9rocsparseL21csrmvt_general_kernelILj256ELj32EiiDF16_DF16_ffEEvbbT2_NS_24const_host_device_scalarIT6_EEPKT1_S7_PKS1_PKT3_PKT4_PT5_21rocsparse_index_base_b ; -- Begin function _ZN9rocsparseL21csrmvt_general_kernelILj256ELj32EiiDF16_DF16_ffEEvbbT2_NS_24const_host_device_scalarIT6_EEPKT1_S7_PKS1_PKT3_PKT4_PT5_21rocsparse_index_base_b
	.p2align	8
	.type	_ZN9rocsparseL21csrmvt_general_kernelILj256ELj32EiiDF16_DF16_ffEEvbbT2_NS_24const_host_device_scalarIT6_EEPKT1_S7_PKS1_PKT3_PKT4_PT5_21rocsparse_index_base_b,@function
_ZN9rocsparseL21csrmvt_general_kernelILj256ELj32EiiDF16_DF16_ffEEvbbT2_NS_24const_host_device_scalarIT6_EEPKT1_S7_PKS1_PKT3_PKT4_PT5_21rocsparse_index_base_b: ; @_ZN9rocsparseL21csrmvt_general_kernelILj256ELj32EiiDF16_DF16_ffEEvbbT2_NS_24const_host_device_scalarIT6_EEPKT1_S7_PKS1_PKT3_PKT4_PT5_21rocsparse_index_base_b
; %bb.0:
	s_clause 0x1
	s_load_b64 s[2:3], s[0:1], 0x40
	s_load_b128 s[12:15], s[0:1], 0x8
	s_wait_kmcnt 0x0
	s_bitcmp1_b32 s3, 0
	s_cselect_b32 s3, -1, 0
	s_delay_alu instid0(SALU_CYCLE_1)
	s_and_b32 vcc_lo, exec_lo, s3
	s_cbranch_vccnz .LBB207_2
; %bb.1:
	s_load_b32 s12, s[12:13], 0x0
.LBB207_2:
	s_wait_kmcnt 0x0
	s_cmp_eq_f32 s12, 0
	s_cbranch_scc1 .LBB207_20
; %bb.3:
	s_clause 0x3
	s_load_b64 s[16:17], s[0:1], 0x0
	s_load_b32 s3, s[0:1], 0x48
	s_load_b64 s[18:19], s[0:1], 0x38
	s_load_b256 s[4:11], s[0:1], 0x18
	s_wait_xcnt 0x0
	s_bfe_u32 s0, ttmp6, 0x4000c
	s_and_b32 s13, ttmp6, 15
	s_add_co_i32 s0, s0, 1
	s_getreg_b32 s20, hwreg(HW_REG_IB_STS2, 6, 4)
	s_mul_i32 s0, ttmp9, s0
	v_and_b32_e32 v3, 31, v0
	s_add_co_i32 s13, s13, s0
	s_wait_kmcnt 0x0
	s_and_b32 s16, s16, 1
	s_lshl_b32 s1, s3, 3
	s_cmp_eq_u32 s20, 0
	s_mov_b32 s3, -1
	s_cselect_b32 s0, ttmp9, s13
	s_cmp_eq_u32 s16, 0
	v_lshl_or_b32 v1, s0, 8, v0
	s_delay_alu instid0(VALU_DEP_1) | instskip(NEXT) | instid1(VALU_DEP_1)
	v_lshrrev_b32_e32 v2, 5, v1
	v_cmp_gt_i32_e64 s0, s17, v2
	s_cbranch_scc0 .LBB207_11
; %bb.4:
	s_and_saveexec_b32 s3, s0
	s_cbranch_execz .LBB207_10
; %bb.5:
	v_subrev_nc_u32_e32 v4, s2, v3
	v_mov_b32_e32 v0, v2
	s_mov_b32 s13, 0
	s_branch .LBB207_7
.LBB207_6:                              ;   in Loop: Header=BB207_7 Depth=1
	s_or_b32 exec_lo, exec_lo, s16
	v_add_nc_u32_e32 v0, s1, v0
	s_delay_alu instid0(VALU_DEP_1) | instskip(SKIP_1) | instid1(SALU_CYCLE_1)
	v_cmp_le_i32_e32 vcc_lo, s17, v0
	s_or_b32 s13, vcc_lo, s13
	s_and_not1_b32 exec_lo, exec_lo, s13
	s_cbranch_execz .LBB207_10
.LBB207_7:                              ; =>This Loop Header: Depth=1
                                        ;     Child Loop BB207_9 Depth 2
	s_clause 0x1
	global_load_b32 v1, v0, s[4:5] scale_offset
	global_load_b32 v6, v0, s[14:15] scale_offset
	s_mov_b32 s16, exec_lo
	s_wait_loadcnt 0x1
	v_subrev_nc_u32_e32 v5, s2, v1
	s_wait_loadcnt 0x0
	v_add_nc_u32_e32 v6, v6, v4
	s_wait_xcnt 0x0
	s_delay_alu instid0(VALU_DEP_1)
	v_cmpx_lt_i32_e64 v6, v5
	s_cbranch_execz .LBB207_6
; %bb.8:                                ;   in Loop: Header=BB207_7 Depth=1
	v_ashrrev_i32_e32 v1, 31, v0
	s_mov_b32 s20, 0
	s_delay_alu instid0(VALU_DEP_1) | instskip(SKIP_3) | instid1(VALU_DEP_1)
	v_lshl_add_u64 v[8:9], v[0:1], 1, s[10:11]
	global_load_u16 v1, v[8:9], off
	s_wait_loadcnt 0x0
	v_cvt_f32_f16_e32 v1, v1
	v_mul_f32_e32 v1, s12, v1
.LBB207_9:                              ;   Parent Loop BB207_7 Depth=1
                                        ; =>  This Inner Loop Header: Depth=2
	s_clause 0x1
	global_load_u16 v7, v6, s[8:9] scale_offset
	global_load_b32 v8, v6, s[6:7] scale_offset
	s_wait_xcnt 0x0
	v_add_nc_u32_e32 v6, 32, v6
	s_delay_alu instid0(VALU_DEP_1)
	v_cmp_ge_i32_e32 vcc_lo, v6, v5
	s_or_b32 s20, vcc_lo, s20
	s_wait_loadcnt 0x1
	v_cvt_f32_f16_e32 v7, v7
	s_wait_loadcnt 0x0
	v_subrev_nc_u32_e32 v8, s2, v8
	s_delay_alu instid0(VALU_DEP_2)
	v_mul_f32_e32 v7, v1, v7
	global_atomic_add_f32 v8, v7, s[18:19] scale_offset scope:SCOPE_DEV
	s_wait_xcnt 0x0
	s_and_not1_b32 exec_lo, exec_lo, s20
	s_cbranch_execnz .LBB207_9
	s_branch .LBB207_6
.LBB207_10:
	s_or_b32 exec_lo, exec_lo, s3
	s_mov_b32 s3, 0
.LBB207_11:
	s_delay_alu instid0(SALU_CYCLE_1)
	s_and_not1_b32 vcc_lo, exec_lo, s3
	s_cbranch_vccnz .LBB207_20
; %bb.12:
	s_and_saveexec_b32 s3, s0
	s_cbranch_execz .LBB207_20
; %bb.13:
	v_subrev_nc_u32_e32 v4, s2, v3
	s_mov_b32 s0, 0
	s_branch .LBB207_15
.LBB207_14:                             ;   in Loop: Header=BB207_15 Depth=1
	s_or_b32 exec_lo, exec_lo, s3
	v_add_nc_u32_e32 v2, s1, v2
	s_delay_alu instid0(VALU_DEP_1) | instskip(SKIP_1) | instid1(SALU_CYCLE_1)
	v_cmp_le_i32_e32 vcc_lo, s17, v2
	s_or_b32 s0, vcc_lo, s0
	s_and_not1_b32 exec_lo, exec_lo, s0
	s_cbranch_execz .LBB207_20
.LBB207_15:                             ; =>This Loop Header: Depth=1
                                        ;     Child Loop BB207_18 Depth 2
	s_clause 0x1
	global_load_b32 v0, v2, s[4:5] scale_offset
	global_load_b32 v1, v2, s[14:15] scale_offset
	s_mov_b32 s3, exec_lo
	s_wait_loadcnt 0x1
	v_subrev_nc_u32_e32 v5, s2, v0
	s_wait_loadcnt 0x0
	v_add_nc_u32_e32 v0, v1, v4
	s_wait_xcnt 0x0
	s_delay_alu instid0(VALU_DEP_1)
	v_cmpx_lt_i32_e64 v0, v5
	s_cbranch_execz .LBB207_14
; %bb.16:                               ;   in Loop: Header=BB207_15 Depth=1
	v_ashrrev_i32_e32 v3, 31, v2
	s_mov_b32 s13, 0
	s_delay_alu instid0(VALU_DEP_1) | instskip(SKIP_3) | instid1(VALU_DEP_1)
	v_lshl_add_u64 v[6:7], v[2:3], 1, s[10:11]
	global_load_u16 v1, v[6:7], off
	s_wait_loadcnt 0x0
	v_cvt_f32_f16_e32 v1, v1
	v_mul_f32_e32 v3, s12, v1
	s_branch .LBB207_18
.LBB207_17:                             ;   in Loop: Header=BB207_18 Depth=2
	s_wait_xcnt 0x0
	s_or_b32 exec_lo, exec_lo, s16
	v_add_nc_u32_e32 v0, 32, v0
	s_delay_alu instid0(VALU_DEP_1) | instskip(SKIP_1) | instid1(SALU_CYCLE_1)
	v_cmp_ge_i32_e32 vcc_lo, v0, v5
	s_or_b32 s13, vcc_lo, s13
	s_and_not1_b32 exec_lo, exec_lo, s13
	s_cbranch_execz .LBB207_14
.LBB207_18:                             ;   Parent Loop BB207_15 Depth=1
                                        ; =>  This Inner Loop Header: Depth=2
	global_load_b32 v1, v0, s[6:7] scale_offset
	s_mov_b32 s16, exec_lo
	s_wait_loadcnt 0x0
	s_wait_xcnt 0x1
	v_subrev_nc_u32_e32 v6, s2, v1
	v_ashrrev_i32_e32 v1, 31, v0
	s_wait_xcnt 0x0
	s_delay_alu instid0(VALU_DEP_2)
	v_cmpx_ne_u32_e64 v6, v2
	s_cbranch_execz .LBB207_17
; %bb.19:                               ;   in Loop: Header=BB207_18 Depth=2
	s_delay_alu instid0(VALU_DEP_2) | instskip(SKIP_3) | instid1(VALU_DEP_1)
	v_lshl_add_u64 v[8:9], v[0:1], 1, s[8:9]
	global_load_u16 v1, v[8:9], off
	s_wait_loadcnt 0x0
	v_cvt_f32_f16_e32 v1, v1
	v_mul_f32_e32 v1, v3, v1
	s_wait_xcnt 0x0
	global_atomic_add_f32 v6, v1, s[18:19] scale_offset scope:SCOPE_DEV
	s_branch .LBB207_17
.LBB207_20:
	s_endpgm
	.section	.rodata,"a",@progbits
	.p2align	6, 0x0
	.amdhsa_kernel _ZN9rocsparseL21csrmvt_general_kernelILj256ELj32EiiDF16_DF16_ffEEvbbT2_NS_24const_host_device_scalarIT6_EEPKT1_S7_PKS1_PKT3_PKT4_PT5_21rocsparse_index_base_b
		.amdhsa_group_segment_fixed_size 0
		.amdhsa_private_segment_fixed_size 0
		.amdhsa_kernarg_size 328
		.amdhsa_user_sgpr_count 2
		.amdhsa_user_sgpr_dispatch_ptr 0
		.amdhsa_user_sgpr_queue_ptr 0
		.amdhsa_user_sgpr_kernarg_segment_ptr 1
		.amdhsa_user_sgpr_dispatch_id 0
		.amdhsa_user_sgpr_kernarg_preload_length 0
		.amdhsa_user_sgpr_kernarg_preload_offset 0
		.amdhsa_user_sgpr_private_segment_size 0
		.amdhsa_wavefront_size32 1
		.amdhsa_uses_dynamic_stack 0
		.amdhsa_enable_private_segment 0
		.amdhsa_system_sgpr_workgroup_id_x 1
		.amdhsa_system_sgpr_workgroup_id_y 0
		.amdhsa_system_sgpr_workgroup_id_z 0
		.amdhsa_system_sgpr_workgroup_info 0
		.amdhsa_system_vgpr_workitem_id 0
		.amdhsa_next_free_vgpr 10
		.amdhsa_next_free_sgpr 21
		.amdhsa_named_barrier_count 0
		.amdhsa_reserve_vcc 1
		.amdhsa_float_round_mode_32 0
		.amdhsa_float_round_mode_16_64 0
		.amdhsa_float_denorm_mode_32 3
		.amdhsa_float_denorm_mode_16_64 3
		.amdhsa_fp16_overflow 0
		.amdhsa_memory_ordered 1
		.amdhsa_forward_progress 1
		.amdhsa_inst_pref_size 7
		.amdhsa_round_robin_scheduling 0
		.amdhsa_exception_fp_ieee_invalid_op 0
		.amdhsa_exception_fp_denorm_src 0
		.amdhsa_exception_fp_ieee_div_zero 0
		.amdhsa_exception_fp_ieee_overflow 0
		.amdhsa_exception_fp_ieee_underflow 0
		.amdhsa_exception_fp_ieee_inexact 0
		.amdhsa_exception_int_div_zero 0
	.end_amdhsa_kernel
	.section	.text._ZN9rocsparseL21csrmvt_general_kernelILj256ELj32EiiDF16_DF16_ffEEvbbT2_NS_24const_host_device_scalarIT6_EEPKT1_S7_PKS1_PKT3_PKT4_PT5_21rocsparse_index_base_b,"axG",@progbits,_ZN9rocsparseL21csrmvt_general_kernelILj256ELj32EiiDF16_DF16_ffEEvbbT2_NS_24const_host_device_scalarIT6_EEPKT1_S7_PKS1_PKT3_PKT4_PT5_21rocsparse_index_base_b,comdat
.Lfunc_end207:
	.size	_ZN9rocsparseL21csrmvt_general_kernelILj256ELj32EiiDF16_DF16_ffEEvbbT2_NS_24const_host_device_scalarIT6_EEPKT1_S7_PKS1_PKT3_PKT4_PT5_21rocsparse_index_base_b, .Lfunc_end207-_ZN9rocsparseL21csrmvt_general_kernelILj256ELj32EiiDF16_DF16_ffEEvbbT2_NS_24const_host_device_scalarIT6_EEPKT1_S7_PKS1_PKT3_PKT4_PT5_21rocsparse_index_base_b
                                        ; -- End function
	.set _ZN9rocsparseL21csrmvt_general_kernelILj256ELj32EiiDF16_DF16_ffEEvbbT2_NS_24const_host_device_scalarIT6_EEPKT1_S7_PKS1_PKT3_PKT4_PT5_21rocsparse_index_base_b.num_vgpr, 10
	.set _ZN9rocsparseL21csrmvt_general_kernelILj256ELj32EiiDF16_DF16_ffEEvbbT2_NS_24const_host_device_scalarIT6_EEPKT1_S7_PKS1_PKT3_PKT4_PT5_21rocsparse_index_base_b.num_agpr, 0
	.set _ZN9rocsparseL21csrmvt_general_kernelILj256ELj32EiiDF16_DF16_ffEEvbbT2_NS_24const_host_device_scalarIT6_EEPKT1_S7_PKS1_PKT3_PKT4_PT5_21rocsparse_index_base_b.numbered_sgpr, 21
	.set _ZN9rocsparseL21csrmvt_general_kernelILj256ELj32EiiDF16_DF16_ffEEvbbT2_NS_24const_host_device_scalarIT6_EEPKT1_S7_PKS1_PKT3_PKT4_PT5_21rocsparse_index_base_b.num_named_barrier, 0
	.set _ZN9rocsparseL21csrmvt_general_kernelILj256ELj32EiiDF16_DF16_ffEEvbbT2_NS_24const_host_device_scalarIT6_EEPKT1_S7_PKS1_PKT3_PKT4_PT5_21rocsparse_index_base_b.private_seg_size, 0
	.set _ZN9rocsparseL21csrmvt_general_kernelILj256ELj32EiiDF16_DF16_ffEEvbbT2_NS_24const_host_device_scalarIT6_EEPKT1_S7_PKS1_PKT3_PKT4_PT5_21rocsparse_index_base_b.uses_vcc, 1
	.set _ZN9rocsparseL21csrmvt_general_kernelILj256ELj32EiiDF16_DF16_ffEEvbbT2_NS_24const_host_device_scalarIT6_EEPKT1_S7_PKS1_PKT3_PKT4_PT5_21rocsparse_index_base_b.uses_flat_scratch, 0
	.set _ZN9rocsparseL21csrmvt_general_kernelILj256ELj32EiiDF16_DF16_ffEEvbbT2_NS_24const_host_device_scalarIT6_EEPKT1_S7_PKS1_PKT3_PKT4_PT5_21rocsparse_index_base_b.has_dyn_sized_stack, 0
	.set _ZN9rocsparseL21csrmvt_general_kernelILj256ELj32EiiDF16_DF16_ffEEvbbT2_NS_24const_host_device_scalarIT6_EEPKT1_S7_PKS1_PKT3_PKT4_PT5_21rocsparse_index_base_b.has_recursion, 0
	.set _ZN9rocsparseL21csrmvt_general_kernelILj256ELj32EiiDF16_DF16_ffEEvbbT2_NS_24const_host_device_scalarIT6_EEPKT1_S7_PKS1_PKT3_PKT4_PT5_21rocsparse_index_base_b.has_indirect_call, 0
	.section	.AMDGPU.csdata,"",@progbits
; Kernel info:
; codeLenInByte = 784
; TotalNumSgprs: 23
; NumVgprs: 10
; ScratchSize: 0
; MemoryBound: 0
; FloatMode: 240
; IeeeMode: 1
; LDSByteSize: 0 bytes/workgroup (compile time only)
; SGPRBlocks: 0
; VGPRBlocks: 0
; NumSGPRsForWavesPerEU: 23
; NumVGPRsForWavesPerEU: 10
; NamedBarCnt: 0
; Occupancy: 16
; WaveLimiterHint : 1
; COMPUTE_PGM_RSRC2:SCRATCH_EN: 0
; COMPUTE_PGM_RSRC2:USER_SGPR: 2
; COMPUTE_PGM_RSRC2:TRAP_HANDLER: 0
; COMPUTE_PGM_RSRC2:TGID_X_EN: 1
; COMPUTE_PGM_RSRC2:TGID_Y_EN: 0
; COMPUTE_PGM_RSRC2:TGID_Z_EN: 0
; COMPUTE_PGM_RSRC2:TIDIG_COMP_CNT: 0
	.section	.text._ZN9rocsparseL21csrmvt_general_kernelILj256ELj64EiiDF16_DF16_ffEEvbbT2_NS_24const_host_device_scalarIT6_EEPKT1_S7_PKS1_PKT3_PKT4_PT5_21rocsparse_index_base_b,"axG",@progbits,_ZN9rocsparseL21csrmvt_general_kernelILj256ELj64EiiDF16_DF16_ffEEvbbT2_NS_24const_host_device_scalarIT6_EEPKT1_S7_PKS1_PKT3_PKT4_PT5_21rocsparse_index_base_b,comdat
	.globl	_ZN9rocsparseL21csrmvt_general_kernelILj256ELj64EiiDF16_DF16_ffEEvbbT2_NS_24const_host_device_scalarIT6_EEPKT1_S7_PKS1_PKT3_PKT4_PT5_21rocsparse_index_base_b ; -- Begin function _ZN9rocsparseL21csrmvt_general_kernelILj256ELj64EiiDF16_DF16_ffEEvbbT2_NS_24const_host_device_scalarIT6_EEPKT1_S7_PKS1_PKT3_PKT4_PT5_21rocsparse_index_base_b
	.p2align	8
	.type	_ZN9rocsparseL21csrmvt_general_kernelILj256ELj64EiiDF16_DF16_ffEEvbbT2_NS_24const_host_device_scalarIT6_EEPKT1_S7_PKS1_PKT3_PKT4_PT5_21rocsparse_index_base_b,@function
_ZN9rocsparseL21csrmvt_general_kernelILj256ELj64EiiDF16_DF16_ffEEvbbT2_NS_24const_host_device_scalarIT6_EEPKT1_S7_PKS1_PKT3_PKT4_PT5_21rocsparse_index_base_b: ; @_ZN9rocsparseL21csrmvt_general_kernelILj256ELj64EiiDF16_DF16_ffEEvbbT2_NS_24const_host_device_scalarIT6_EEPKT1_S7_PKS1_PKT3_PKT4_PT5_21rocsparse_index_base_b
; %bb.0:
	s_clause 0x1
	s_load_b64 s[2:3], s[0:1], 0x40
	s_load_b128 s[12:15], s[0:1], 0x8
	s_wait_kmcnt 0x0
	s_bitcmp1_b32 s3, 0
	s_cselect_b32 s3, -1, 0
	s_delay_alu instid0(SALU_CYCLE_1)
	s_and_b32 vcc_lo, exec_lo, s3
	s_cbranch_vccnz .LBB208_2
; %bb.1:
	s_load_b32 s12, s[12:13], 0x0
.LBB208_2:
	s_wait_kmcnt 0x0
	s_cmp_eq_f32 s12, 0
	s_cbranch_scc1 .LBB208_20
; %bb.3:
	s_clause 0x3
	s_load_b64 s[16:17], s[0:1], 0x0
	s_load_b32 s3, s[0:1], 0x48
	s_load_b64 s[18:19], s[0:1], 0x38
	s_load_b256 s[4:11], s[0:1], 0x18
	s_wait_xcnt 0x0
	s_bfe_u32 s0, ttmp6, 0x4000c
	s_and_b32 s13, ttmp6, 15
	s_add_co_i32 s0, s0, 1
	s_getreg_b32 s20, hwreg(HW_REG_IB_STS2, 6, 4)
	s_mul_i32 s0, ttmp9, s0
	v_and_b32_e32 v3, 63, v0
	s_add_co_i32 s13, s13, s0
	s_wait_kmcnt 0x0
	s_and_b32 s16, s16, 1
	s_lshl_b32 s1, s3, 2
	s_cmp_eq_u32 s20, 0
	s_mov_b32 s3, -1
	s_cselect_b32 s0, ttmp9, s13
	s_cmp_eq_u32 s16, 0
	v_lshl_or_b32 v1, s0, 8, v0
	s_delay_alu instid0(VALU_DEP_1) | instskip(NEXT) | instid1(VALU_DEP_1)
	v_lshrrev_b32_e32 v2, 6, v1
	v_cmp_gt_i32_e64 s0, s17, v2
	s_cbranch_scc0 .LBB208_11
; %bb.4:
	s_and_saveexec_b32 s3, s0
	s_cbranch_execz .LBB208_10
; %bb.5:
	v_subrev_nc_u32_e32 v4, s2, v3
	v_mov_b32_e32 v0, v2
	s_mov_b32 s13, 0
	s_branch .LBB208_7
.LBB208_6:                              ;   in Loop: Header=BB208_7 Depth=1
	s_or_b32 exec_lo, exec_lo, s16
	v_add_nc_u32_e32 v0, s1, v0
	s_delay_alu instid0(VALU_DEP_1) | instskip(SKIP_1) | instid1(SALU_CYCLE_1)
	v_cmp_le_i32_e32 vcc_lo, s17, v0
	s_or_b32 s13, vcc_lo, s13
	s_and_not1_b32 exec_lo, exec_lo, s13
	s_cbranch_execz .LBB208_10
.LBB208_7:                              ; =>This Loop Header: Depth=1
                                        ;     Child Loop BB208_9 Depth 2
	s_clause 0x1
	global_load_b32 v1, v0, s[4:5] scale_offset
	global_load_b32 v6, v0, s[14:15] scale_offset
	s_mov_b32 s16, exec_lo
	s_wait_loadcnt 0x1
	v_subrev_nc_u32_e32 v5, s2, v1
	s_wait_loadcnt 0x0
	v_add_nc_u32_e32 v6, v6, v4
	s_wait_xcnt 0x0
	s_delay_alu instid0(VALU_DEP_1)
	v_cmpx_lt_i32_e64 v6, v5
	s_cbranch_execz .LBB208_6
; %bb.8:                                ;   in Loop: Header=BB208_7 Depth=1
	v_ashrrev_i32_e32 v1, 31, v0
	s_mov_b32 s20, 0
	s_delay_alu instid0(VALU_DEP_1) | instskip(SKIP_3) | instid1(VALU_DEP_1)
	v_lshl_add_u64 v[8:9], v[0:1], 1, s[10:11]
	global_load_u16 v1, v[8:9], off
	s_wait_loadcnt 0x0
	v_cvt_f32_f16_e32 v1, v1
	v_mul_f32_e32 v1, s12, v1
.LBB208_9:                              ;   Parent Loop BB208_7 Depth=1
                                        ; =>  This Inner Loop Header: Depth=2
	s_clause 0x1
	global_load_u16 v7, v6, s[8:9] scale_offset
	global_load_b32 v8, v6, s[6:7] scale_offset
	s_wait_xcnt 0x0
	v_add_nc_u32_e32 v6, 64, v6
	s_delay_alu instid0(VALU_DEP_1)
	v_cmp_ge_i32_e32 vcc_lo, v6, v5
	s_or_b32 s20, vcc_lo, s20
	s_wait_loadcnt 0x1
	v_cvt_f32_f16_e32 v7, v7
	s_wait_loadcnt 0x0
	v_subrev_nc_u32_e32 v8, s2, v8
	s_delay_alu instid0(VALU_DEP_2)
	v_mul_f32_e32 v7, v1, v7
	global_atomic_add_f32 v8, v7, s[18:19] scale_offset scope:SCOPE_DEV
	s_wait_xcnt 0x0
	s_and_not1_b32 exec_lo, exec_lo, s20
	s_cbranch_execnz .LBB208_9
	s_branch .LBB208_6
.LBB208_10:
	s_or_b32 exec_lo, exec_lo, s3
	s_mov_b32 s3, 0
.LBB208_11:
	s_delay_alu instid0(SALU_CYCLE_1)
	s_and_not1_b32 vcc_lo, exec_lo, s3
	s_cbranch_vccnz .LBB208_20
; %bb.12:
	s_and_saveexec_b32 s3, s0
	s_cbranch_execz .LBB208_20
; %bb.13:
	v_subrev_nc_u32_e32 v4, s2, v3
	s_mov_b32 s0, 0
	s_branch .LBB208_15
.LBB208_14:                             ;   in Loop: Header=BB208_15 Depth=1
	s_or_b32 exec_lo, exec_lo, s3
	v_add_nc_u32_e32 v2, s1, v2
	s_delay_alu instid0(VALU_DEP_1) | instskip(SKIP_1) | instid1(SALU_CYCLE_1)
	v_cmp_le_i32_e32 vcc_lo, s17, v2
	s_or_b32 s0, vcc_lo, s0
	s_and_not1_b32 exec_lo, exec_lo, s0
	s_cbranch_execz .LBB208_20
.LBB208_15:                             ; =>This Loop Header: Depth=1
                                        ;     Child Loop BB208_18 Depth 2
	s_clause 0x1
	global_load_b32 v0, v2, s[4:5] scale_offset
	global_load_b32 v1, v2, s[14:15] scale_offset
	s_mov_b32 s3, exec_lo
	s_wait_loadcnt 0x1
	v_subrev_nc_u32_e32 v5, s2, v0
	s_wait_loadcnt 0x0
	v_add_nc_u32_e32 v0, v1, v4
	s_wait_xcnt 0x0
	s_delay_alu instid0(VALU_DEP_1)
	v_cmpx_lt_i32_e64 v0, v5
	s_cbranch_execz .LBB208_14
; %bb.16:                               ;   in Loop: Header=BB208_15 Depth=1
	v_ashrrev_i32_e32 v3, 31, v2
	s_mov_b32 s13, 0
	s_delay_alu instid0(VALU_DEP_1) | instskip(SKIP_3) | instid1(VALU_DEP_1)
	v_lshl_add_u64 v[6:7], v[2:3], 1, s[10:11]
	global_load_u16 v1, v[6:7], off
	s_wait_loadcnt 0x0
	v_cvt_f32_f16_e32 v1, v1
	v_mul_f32_e32 v3, s12, v1
	s_branch .LBB208_18
.LBB208_17:                             ;   in Loop: Header=BB208_18 Depth=2
	s_wait_xcnt 0x0
	s_or_b32 exec_lo, exec_lo, s16
	v_add_nc_u32_e32 v0, 64, v0
	s_delay_alu instid0(VALU_DEP_1) | instskip(SKIP_1) | instid1(SALU_CYCLE_1)
	v_cmp_ge_i32_e32 vcc_lo, v0, v5
	s_or_b32 s13, vcc_lo, s13
	s_and_not1_b32 exec_lo, exec_lo, s13
	s_cbranch_execz .LBB208_14
.LBB208_18:                             ;   Parent Loop BB208_15 Depth=1
                                        ; =>  This Inner Loop Header: Depth=2
	global_load_b32 v1, v0, s[6:7] scale_offset
	s_mov_b32 s16, exec_lo
	s_wait_loadcnt 0x0
	s_wait_xcnt 0x1
	v_subrev_nc_u32_e32 v6, s2, v1
	v_ashrrev_i32_e32 v1, 31, v0
	s_wait_xcnt 0x0
	s_delay_alu instid0(VALU_DEP_2)
	v_cmpx_ne_u32_e64 v6, v2
	s_cbranch_execz .LBB208_17
; %bb.19:                               ;   in Loop: Header=BB208_18 Depth=2
	s_delay_alu instid0(VALU_DEP_2) | instskip(SKIP_3) | instid1(VALU_DEP_1)
	v_lshl_add_u64 v[8:9], v[0:1], 1, s[8:9]
	global_load_u16 v1, v[8:9], off
	s_wait_loadcnt 0x0
	v_cvt_f32_f16_e32 v1, v1
	v_mul_f32_e32 v1, v3, v1
	s_wait_xcnt 0x0
	global_atomic_add_f32 v6, v1, s[18:19] scale_offset scope:SCOPE_DEV
	s_branch .LBB208_17
.LBB208_20:
	s_endpgm
	.section	.rodata,"a",@progbits
	.p2align	6, 0x0
	.amdhsa_kernel _ZN9rocsparseL21csrmvt_general_kernelILj256ELj64EiiDF16_DF16_ffEEvbbT2_NS_24const_host_device_scalarIT6_EEPKT1_S7_PKS1_PKT3_PKT4_PT5_21rocsparse_index_base_b
		.amdhsa_group_segment_fixed_size 0
		.amdhsa_private_segment_fixed_size 0
		.amdhsa_kernarg_size 328
		.amdhsa_user_sgpr_count 2
		.amdhsa_user_sgpr_dispatch_ptr 0
		.amdhsa_user_sgpr_queue_ptr 0
		.amdhsa_user_sgpr_kernarg_segment_ptr 1
		.amdhsa_user_sgpr_dispatch_id 0
		.amdhsa_user_sgpr_kernarg_preload_length 0
		.amdhsa_user_sgpr_kernarg_preload_offset 0
		.amdhsa_user_sgpr_private_segment_size 0
		.amdhsa_wavefront_size32 1
		.amdhsa_uses_dynamic_stack 0
		.amdhsa_enable_private_segment 0
		.amdhsa_system_sgpr_workgroup_id_x 1
		.amdhsa_system_sgpr_workgroup_id_y 0
		.amdhsa_system_sgpr_workgroup_id_z 0
		.amdhsa_system_sgpr_workgroup_info 0
		.amdhsa_system_vgpr_workitem_id 0
		.amdhsa_next_free_vgpr 10
		.amdhsa_next_free_sgpr 21
		.amdhsa_named_barrier_count 0
		.amdhsa_reserve_vcc 1
		.amdhsa_float_round_mode_32 0
		.amdhsa_float_round_mode_16_64 0
		.amdhsa_float_denorm_mode_32 3
		.amdhsa_float_denorm_mode_16_64 3
		.amdhsa_fp16_overflow 0
		.amdhsa_memory_ordered 1
		.amdhsa_forward_progress 1
		.amdhsa_inst_pref_size 7
		.amdhsa_round_robin_scheduling 0
		.amdhsa_exception_fp_ieee_invalid_op 0
		.amdhsa_exception_fp_denorm_src 0
		.amdhsa_exception_fp_ieee_div_zero 0
		.amdhsa_exception_fp_ieee_overflow 0
		.amdhsa_exception_fp_ieee_underflow 0
		.amdhsa_exception_fp_ieee_inexact 0
		.amdhsa_exception_int_div_zero 0
	.end_amdhsa_kernel
	.section	.text._ZN9rocsparseL21csrmvt_general_kernelILj256ELj64EiiDF16_DF16_ffEEvbbT2_NS_24const_host_device_scalarIT6_EEPKT1_S7_PKS1_PKT3_PKT4_PT5_21rocsparse_index_base_b,"axG",@progbits,_ZN9rocsparseL21csrmvt_general_kernelILj256ELj64EiiDF16_DF16_ffEEvbbT2_NS_24const_host_device_scalarIT6_EEPKT1_S7_PKS1_PKT3_PKT4_PT5_21rocsparse_index_base_b,comdat
.Lfunc_end208:
	.size	_ZN9rocsparseL21csrmvt_general_kernelILj256ELj64EiiDF16_DF16_ffEEvbbT2_NS_24const_host_device_scalarIT6_EEPKT1_S7_PKS1_PKT3_PKT4_PT5_21rocsparse_index_base_b, .Lfunc_end208-_ZN9rocsparseL21csrmvt_general_kernelILj256ELj64EiiDF16_DF16_ffEEvbbT2_NS_24const_host_device_scalarIT6_EEPKT1_S7_PKS1_PKT3_PKT4_PT5_21rocsparse_index_base_b
                                        ; -- End function
	.set _ZN9rocsparseL21csrmvt_general_kernelILj256ELj64EiiDF16_DF16_ffEEvbbT2_NS_24const_host_device_scalarIT6_EEPKT1_S7_PKS1_PKT3_PKT4_PT5_21rocsparse_index_base_b.num_vgpr, 10
	.set _ZN9rocsparseL21csrmvt_general_kernelILj256ELj64EiiDF16_DF16_ffEEvbbT2_NS_24const_host_device_scalarIT6_EEPKT1_S7_PKS1_PKT3_PKT4_PT5_21rocsparse_index_base_b.num_agpr, 0
	.set _ZN9rocsparseL21csrmvt_general_kernelILj256ELj64EiiDF16_DF16_ffEEvbbT2_NS_24const_host_device_scalarIT6_EEPKT1_S7_PKS1_PKT3_PKT4_PT5_21rocsparse_index_base_b.numbered_sgpr, 21
	.set _ZN9rocsparseL21csrmvt_general_kernelILj256ELj64EiiDF16_DF16_ffEEvbbT2_NS_24const_host_device_scalarIT6_EEPKT1_S7_PKS1_PKT3_PKT4_PT5_21rocsparse_index_base_b.num_named_barrier, 0
	.set _ZN9rocsparseL21csrmvt_general_kernelILj256ELj64EiiDF16_DF16_ffEEvbbT2_NS_24const_host_device_scalarIT6_EEPKT1_S7_PKS1_PKT3_PKT4_PT5_21rocsparse_index_base_b.private_seg_size, 0
	.set _ZN9rocsparseL21csrmvt_general_kernelILj256ELj64EiiDF16_DF16_ffEEvbbT2_NS_24const_host_device_scalarIT6_EEPKT1_S7_PKS1_PKT3_PKT4_PT5_21rocsparse_index_base_b.uses_vcc, 1
	.set _ZN9rocsparseL21csrmvt_general_kernelILj256ELj64EiiDF16_DF16_ffEEvbbT2_NS_24const_host_device_scalarIT6_EEPKT1_S7_PKS1_PKT3_PKT4_PT5_21rocsparse_index_base_b.uses_flat_scratch, 0
	.set _ZN9rocsparseL21csrmvt_general_kernelILj256ELj64EiiDF16_DF16_ffEEvbbT2_NS_24const_host_device_scalarIT6_EEPKT1_S7_PKS1_PKT3_PKT4_PT5_21rocsparse_index_base_b.has_dyn_sized_stack, 0
	.set _ZN9rocsparseL21csrmvt_general_kernelILj256ELj64EiiDF16_DF16_ffEEvbbT2_NS_24const_host_device_scalarIT6_EEPKT1_S7_PKS1_PKT3_PKT4_PT5_21rocsparse_index_base_b.has_recursion, 0
	.set _ZN9rocsparseL21csrmvt_general_kernelILj256ELj64EiiDF16_DF16_ffEEvbbT2_NS_24const_host_device_scalarIT6_EEPKT1_S7_PKS1_PKT3_PKT4_PT5_21rocsparse_index_base_b.has_indirect_call, 0
	.section	.AMDGPU.csdata,"",@progbits
; Kernel info:
; codeLenInByte = 784
; TotalNumSgprs: 23
; NumVgprs: 10
; ScratchSize: 0
; MemoryBound: 0
; FloatMode: 240
; IeeeMode: 1
; LDSByteSize: 0 bytes/workgroup (compile time only)
; SGPRBlocks: 0
; VGPRBlocks: 0
; NumSGPRsForWavesPerEU: 23
; NumVGPRsForWavesPerEU: 10
; NamedBarCnt: 0
; Occupancy: 16
; WaveLimiterHint : 1
; COMPUTE_PGM_RSRC2:SCRATCH_EN: 0
; COMPUTE_PGM_RSRC2:USER_SGPR: 2
; COMPUTE_PGM_RSRC2:TRAP_HANDLER: 0
; COMPUTE_PGM_RSRC2:TGID_X_EN: 1
; COMPUTE_PGM_RSRC2:TGID_Y_EN: 0
; COMPUTE_PGM_RSRC2:TGID_Z_EN: 0
; COMPUTE_PGM_RSRC2:TIDIG_COMP_CNT: 0
	.section	.text._ZN9rocsparseL21csrmvn_general_kernelILj256ELj2EliDF16_DF16_ffEEvbT2_NS_24const_host_device_scalarIT6_EEPKT1_S7_PKS1_PKT3_PKT4_S4_PT5_21rocsparse_index_base_b,"axG",@progbits,_ZN9rocsparseL21csrmvn_general_kernelILj256ELj2EliDF16_DF16_ffEEvbT2_NS_24const_host_device_scalarIT6_EEPKT1_S7_PKS1_PKT3_PKT4_S4_PT5_21rocsparse_index_base_b,comdat
	.globl	_ZN9rocsparseL21csrmvn_general_kernelILj256ELj2EliDF16_DF16_ffEEvbT2_NS_24const_host_device_scalarIT6_EEPKT1_S7_PKS1_PKT3_PKT4_S4_PT5_21rocsparse_index_base_b ; -- Begin function _ZN9rocsparseL21csrmvn_general_kernelILj256ELj2EliDF16_DF16_ffEEvbT2_NS_24const_host_device_scalarIT6_EEPKT1_S7_PKS1_PKT3_PKT4_S4_PT5_21rocsparse_index_base_b
	.p2align	8
	.type	_ZN9rocsparseL21csrmvn_general_kernelILj256ELj2EliDF16_DF16_ffEEvbT2_NS_24const_host_device_scalarIT6_EEPKT1_S7_PKS1_PKT3_PKT4_S4_PT5_21rocsparse_index_base_b,@function
_ZN9rocsparseL21csrmvn_general_kernelILj256ELj2EliDF16_DF16_ffEEvbT2_NS_24const_host_device_scalarIT6_EEPKT1_S7_PKS1_PKT3_PKT4_S4_PT5_21rocsparse_index_base_b: ; @_ZN9rocsparseL21csrmvn_general_kernelILj256ELj2EliDF16_DF16_ffEEvbT2_NS_24const_host_device_scalarIT6_EEPKT1_S7_PKS1_PKT3_PKT4_S4_PT5_21rocsparse_index_base_b
; %bb.0:
	s_clause 0x2
	s_load_b64 s[2:3], s[0:1], 0x48
	s_load_b128 s[12:15], s[0:1], 0x8
	s_load_b64 s[16:17], s[0:1], 0x38
	s_wait_kmcnt 0x0
	s_bitcmp1_b32 s3, 0
	s_cselect_b32 s3, -1, 0
	s_delay_alu instid0(SALU_CYCLE_1)
	s_and_b32 vcc_lo, exec_lo, s3
	s_xor_b32 s3, s3, -1
	s_cbranch_vccnz .LBB209_2
; %bb.1:
	s_load_b32 s12, s[12:13], 0x0
.LBB209_2:
	s_and_not1_b32 vcc_lo, exec_lo, s3
	s_cbranch_vccnz .LBB209_4
; %bb.3:
	s_load_b32 s16, s[16:17], 0x0
.LBB209_4:
	s_wait_kmcnt 0x0
	s_cmp_neq_f32 s12, 0
	s_cselect_b32 s3, -1, 0
	s_cmp_neq_f32 s16, 1.0
	s_cselect_b32 s4, -1, 0
	s_delay_alu instid0(SALU_CYCLE_1) | instskip(NEXT) | instid1(SALU_CYCLE_1)
	s_or_b32 s3, s3, s4
	s_and_not1_b32 vcc_lo, exec_lo, s3
	s_cbranch_vccnz .LBB209_16
; %bb.5:
	s_bfe_u32 s3, ttmp6, 0x4000c
	s_load_b32 s13, s[0:1], 0x4
	s_add_co_i32 s3, s3, 1
	s_and_b32 s4, ttmp6, 15
	s_mul_i32 s3, ttmp9, s3
	s_getreg_b32 s5, hwreg(HW_REG_IB_STS2, 6, 4)
	s_add_co_i32 s4, s4, s3
	s_cmp_eq_u32 s5, 0
	s_cselect_b32 s3, ttmp9, s4
	s_delay_alu instid0(SALU_CYCLE_1) | instskip(SKIP_1) | instid1(VALU_DEP_1)
	v_lshl_or_b32 v1, s3, 8, v0
	s_mov_b32 s3, exec_lo
	v_lshrrev_b32_e32 v2, 1, v1
	s_wait_kmcnt 0x0
	s_delay_alu instid0(VALU_DEP_1)
	v_cmpx_gt_i32_e64 s13, v2
	s_cbranch_execz .LBB209_16
; %bb.6:
	s_clause 0x1
	s_load_b32 s17, s[0:1], 0x50
	s_load_b256 s[4:11], s[0:1], 0x18
	v_mbcnt_lo_u32_b32 v1, -1, 0
	s_load_b64 s[18:19], s[0:1], 0x40
	v_dual_mov_b32 v5, 0 :: v_dual_bitop2_b32 v4, 1, v0 bitop3:0x40
	s_mov_b32 s3, 0
	s_delay_alu instid0(VALU_DEP_2) | instskip(SKIP_3) | instid1(SALU_CYCLE_1)
	v_xor_b32_e32 v0, 1, v1
	s_wait_xcnt 0x0
	s_ashr_i32 s1, s2, 31
	s_mov_b32 s0, s2
	s_lshl_b64 s[20:21], s[0:1], 1
	v_cmp_gt_i32_e32 vcc_lo, 32, v0
	v_cmp_eq_u32_e64 s0, 1, v4
	v_cndmask_b32_e32 v3, v1, v0, vcc_lo
	v_sub_nc_u64_e64 v[0:1], v[4:5], s[2:3]
	s_wait_kmcnt 0x0
	s_lshl_b32 s1, s17, 7
	s_cmp_neq_f32 s16, 0
	v_lshlrev_b32_e32 v12, 2, v3
	s_sub_nc_u64 s[10:11], s[10:11], s[20:21]
	s_mov_b32 s20, s3
	s_cselect_b32 s17, -1, 0
	s_branch .LBB209_9
.LBB209_7:                              ;   in Loop: Header=BB209_9 Depth=1
	global_store_b32 v[4:5], v6, off
.LBB209_8:                              ;   in Loop: Header=BB209_9 Depth=1
	s_wait_xcnt 0x0
	s_or_b32 exec_lo, exec_lo, s21
	v_add_nc_u32_e32 v2, s1, v2
	s_delay_alu instid0(VALU_DEP_1) | instskip(SKIP_1) | instid1(SALU_CYCLE_1)
	v_cmp_le_i32_e32 vcc_lo, s13, v2
	s_or_b32 s20, vcc_lo, s20
	s_and_not1_b32 exec_lo, exec_lo, s20
	s_cbranch_execz .LBB209_16
.LBB209_9:                              ; =>This Loop Header: Depth=1
                                        ;     Child Loop BB209_11 Depth 2
	s_wait_dscnt 0x0
	s_clause 0x1
	global_load_b64 v[4:5], v2, s[4:5] scale_offset
	global_load_b64 v[6:7], v2, s[14:15] scale_offset
	v_mov_b32_e32 v13, 0
	s_mov_b32 s21, exec_lo
	s_wait_loadcnt 0x1
	v_sub_nc_u64_e64 v[4:5], v[4:5], s[2:3]
	s_wait_loadcnt 0x0
	v_add_nc_u64_e32 v[6:7], v[6:7], v[0:1]
	s_wait_xcnt 0x0
	s_delay_alu instid0(VALU_DEP_1)
	v_cmpx_lt_i64_e64 v[6:7], v[4:5]
	s_cbranch_execz .LBB209_13
; %bb.10:                               ;   in Loop: Header=BB209_9 Depth=1
	v_lshl_add_u64 v[8:9], v[6:7], 1, s[8:9]
	v_lshl_add_u64 v[10:11], v[6:7], 2, s[6:7]
	v_mov_b32_e32 v13, 0
	s_mov_b32 s22, 0
.LBB209_11:                             ;   Parent Loop BB209_9 Depth=1
                                        ; =>  This Inner Loop Header: Depth=2
	global_load_b32 v3, v[10:11], off
	global_load_u16 v14, v[8:9], off
	v_add_nc_u64_e32 v[6:7], 2, v[6:7]
	s_wait_xcnt 0x0
	v_add_nc_u64_e32 v[8:9], 4, v[8:9]
	v_add_nc_u64_e32 v[10:11], 8, v[10:11]
	s_delay_alu instid0(VALU_DEP_3)
	v_cmp_ge_i64_e32 vcc_lo, v[6:7], v[4:5]
	s_or_b32 s22, vcc_lo, s22
	s_wait_loadcnt 0x1
	global_load_u16 v3, v3, s[10:11] scale_offset
	s_wait_loadcnt 0x1
	v_cvt_f32_f16_e32 v14, v14
	s_delay_alu instid0(VALU_DEP_1) | instskip(SKIP_1) | instid1(VALU_DEP_1)
	v_mul_f32_e32 v14, s12, v14
	s_wait_loadcnt 0x0
	v_fma_mix_f32 v13, v14, v3, v13 op_sel_hi:[0,1,0]
	s_wait_xcnt 0x0
	s_and_not1_b32 exec_lo, exec_lo, s22
	s_cbranch_execnz .LBB209_11
; %bb.12:                               ;   in Loop: Header=BB209_9 Depth=1
	s_or_b32 exec_lo, exec_lo, s22
.LBB209_13:                             ;   in Loop: Header=BB209_9 Depth=1
	s_delay_alu instid0(SALU_CYCLE_1)
	s_or_b32 exec_lo, exec_lo, s21
	ds_bpermute_b32 v4, v12, v13
	v_ashrrev_i32_e32 v3, 31, v2
	s_and_saveexec_b32 s21, s0
	s_cbranch_execz .LBB209_8
; %bb.14:                               ;   in Loop: Header=BB209_9 Depth=1
	s_wait_dscnt 0x0
	v_add_f32_e32 v6, v13, v4
	v_lshl_add_u64 v[4:5], v[2:3], 2, s[18:19]
	s_and_not1_b32 vcc_lo, exec_lo, s17
	s_cbranch_vccnz .LBB209_7
; %bb.15:                               ;   in Loop: Header=BB209_9 Depth=1
	global_load_b32 v3, v[4:5], off
	s_wait_loadcnt 0x0
	v_fmac_f32_e32 v6, s16, v3
	s_branch .LBB209_7
.LBB209_16:
	s_endpgm
	.section	.rodata,"a",@progbits
	.p2align	6, 0x0
	.amdhsa_kernel _ZN9rocsparseL21csrmvn_general_kernelILj256ELj2EliDF16_DF16_ffEEvbT2_NS_24const_host_device_scalarIT6_EEPKT1_S7_PKS1_PKT3_PKT4_S4_PT5_21rocsparse_index_base_b
		.amdhsa_group_segment_fixed_size 0
		.amdhsa_private_segment_fixed_size 0
		.amdhsa_kernarg_size 336
		.amdhsa_user_sgpr_count 2
		.amdhsa_user_sgpr_dispatch_ptr 0
		.amdhsa_user_sgpr_queue_ptr 0
		.amdhsa_user_sgpr_kernarg_segment_ptr 1
		.amdhsa_user_sgpr_dispatch_id 0
		.amdhsa_user_sgpr_kernarg_preload_length 0
		.amdhsa_user_sgpr_kernarg_preload_offset 0
		.amdhsa_user_sgpr_private_segment_size 0
		.amdhsa_wavefront_size32 1
		.amdhsa_uses_dynamic_stack 0
		.amdhsa_enable_private_segment 0
		.amdhsa_system_sgpr_workgroup_id_x 1
		.amdhsa_system_sgpr_workgroup_id_y 0
		.amdhsa_system_sgpr_workgroup_id_z 0
		.amdhsa_system_sgpr_workgroup_info 0
		.amdhsa_system_vgpr_workitem_id 0
		.amdhsa_next_free_vgpr 15
		.amdhsa_next_free_sgpr 23
		.amdhsa_named_barrier_count 0
		.amdhsa_reserve_vcc 1
		.amdhsa_float_round_mode_32 0
		.amdhsa_float_round_mode_16_64 0
		.amdhsa_float_denorm_mode_32 3
		.amdhsa_float_denorm_mode_16_64 3
		.amdhsa_fp16_overflow 0
		.amdhsa_memory_ordered 1
		.amdhsa_forward_progress 1
		.amdhsa_inst_pref_size 6
		.amdhsa_round_robin_scheduling 0
		.amdhsa_exception_fp_ieee_invalid_op 0
		.amdhsa_exception_fp_denorm_src 0
		.amdhsa_exception_fp_ieee_div_zero 0
		.amdhsa_exception_fp_ieee_overflow 0
		.amdhsa_exception_fp_ieee_underflow 0
		.amdhsa_exception_fp_ieee_inexact 0
		.amdhsa_exception_int_div_zero 0
	.end_amdhsa_kernel
	.section	.text._ZN9rocsparseL21csrmvn_general_kernelILj256ELj2EliDF16_DF16_ffEEvbT2_NS_24const_host_device_scalarIT6_EEPKT1_S7_PKS1_PKT3_PKT4_S4_PT5_21rocsparse_index_base_b,"axG",@progbits,_ZN9rocsparseL21csrmvn_general_kernelILj256ELj2EliDF16_DF16_ffEEvbT2_NS_24const_host_device_scalarIT6_EEPKT1_S7_PKS1_PKT3_PKT4_S4_PT5_21rocsparse_index_base_b,comdat
.Lfunc_end209:
	.size	_ZN9rocsparseL21csrmvn_general_kernelILj256ELj2EliDF16_DF16_ffEEvbT2_NS_24const_host_device_scalarIT6_EEPKT1_S7_PKS1_PKT3_PKT4_S4_PT5_21rocsparse_index_base_b, .Lfunc_end209-_ZN9rocsparseL21csrmvn_general_kernelILj256ELj2EliDF16_DF16_ffEEvbT2_NS_24const_host_device_scalarIT6_EEPKT1_S7_PKS1_PKT3_PKT4_S4_PT5_21rocsparse_index_base_b
                                        ; -- End function
	.set _ZN9rocsparseL21csrmvn_general_kernelILj256ELj2EliDF16_DF16_ffEEvbT2_NS_24const_host_device_scalarIT6_EEPKT1_S7_PKS1_PKT3_PKT4_S4_PT5_21rocsparse_index_base_b.num_vgpr, 15
	.set _ZN9rocsparseL21csrmvn_general_kernelILj256ELj2EliDF16_DF16_ffEEvbT2_NS_24const_host_device_scalarIT6_EEPKT1_S7_PKS1_PKT3_PKT4_S4_PT5_21rocsparse_index_base_b.num_agpr, 0
	.set _ZN9rocsparseL21csrmvn_general_kernelILj256ELj2EliDF16_DF16_ffEEvbT2_NS_24const_host_device_scalarIT6_EEPKT1_S7_PKS1_PKT3_PKT4_S4_PT5_21rocsparse_index_base_b.numbered_sgpr, 23
	.set _ZN9rocsparseL21csrmvn_general_kernelILj256ELj2EliDF16_DF16_ffEEvbT2_NS_24const_host_device_scalarIT6_EEPKT1_S7_PKS1_PKT3_PKT4_S4_PT5_21rocsparse_index_base_b.num_named_barrier, 0
	.set _ZN9rocsparseL21csrmvn_general_kernelILj256ELj2EliDF16_DF16_ffEEvbT2_NS_24const_host_device_scalarIT6_EEPKT1_S7_PKS1_PKT3_PKT4_S4_PT5_21rocsparse_index_base_b.private_seg_size, 0
	.set _ZN9rocsparseL21csrmvn_general_kernelILj256ELj2EliDF16_DF16_ffEEvbT2_NS_24const_host_device_scalarIT6_EEPKT1_S7_PKS1_PKT3_PKT4_S4_PT5_21rocsparse_index_base_b.uses_vcc, 1
	.set _ZN9rocsparseL21csrmvn_general_kernelILj256ELj2EliDF16_DF16_ffEEvbT2_NS_24const_host_device_scalarIT6_EEPKT1_S7_PKS1_PKT3_PKT4_S4_PT5_21rocsparse_index_base_b.uses_flat_scratch, 0
	.set _ZN9rocsparseL21csrmvn_general_kernelILj256ELj2EliDF16_DF16_ffEEvbT2_NS_24const_host_device_scalarIT6_EEPKT1_S7_PKS1_PKT3_PKT4_S4_PT5_21rocsparse_index_base_b.has_dyn_sized_stack, 0
	.set _ZN9rocsparseL21csrmvn_general_kernelILj256ELj2EliDF16_DF16_ffEEvbT2_NS_24const_host_device_scalarIT6_EEPKT1_S7_PKS1_PKT3_PKT4_S4_PT5_21rocsparse_index_base_b.has_recursion, 0
	.set _ZN9rocsparseL21csrmvn_general_kernelILj256ELj2EliDF16_DF16_ffEEvbT2_NS_24const_host_device_scalarIT6_EEPKT1_S7_PKS1_PKT3_PKT4_S4_PT5_21rocsparse_index_base_b.has_indirect_call, 0
	.section	.AMDGPU.csdata,"",@progbits
; Kernel info:
; codeLenInByte = 672
; TotalNumSgprs: 25
; NumVgprs: 15
; ScratchSize: 0
; MemoryBound: 0
; FloatMode: 240
; IeeeMode: 1
; LDSByteSize: 0 bytes/workgroup (compile time only)
; SGPRBlocks: 0
; VGPRBlocks: 0
; NumSGPRsForWavesPerEU: 25
; NumVGPRsForWavesPerEU: 15
; NamedBarCnt: 0
; Occupancy: 16
; WaveLimiterHint : 1
; COMPUTE_PGM_RSRC2:SCRATCH_EN: 0
; COMPUTE_PGM_RSRC2:USER_SGPR: 2
; COMPUTE_PGM_RSRC2:TRAP_HANDLER: 0
; COMPUTE_PGM_RSRC2:TGID_X_EN: 1
; COMPUTE_PGM_RSRC2:TGID_Y_EN: 0
; COMPUTE_PGM_RSRC2:TGID_Z_EN: 0
; COMPUTE_PGM_RSRC2:TIDIG_COMP_CNT: 0
	.section	.text._ZN9rocsparseL21csrmvn_general_kernelILj256ELj4EliDF16_DF16_ffEEvbT2_NS_24const_host_device_scalarIT6_EEPKT1_S7_PKS1_PKT3_PKT4_S4_PT5_21rocsparse_index_base_b,"axG",@progbits,_ZN9rocsparseL21csrmvn_general_kernelILj256ELj4EliDF16_DF16_ffEEvbT2_NS_24const_host_device_scalarIT6_EEPKT1_S7_PKS1_PKT3_PKT4_S4_PT5_21rocsparse_index_base_b,comdat
	.globl	_ZN9rocsparseL21csrmvn_general_kernelILj256ELj4EliDF16_DF16_ffEEvbT2_NS_24const_host_device_scalarIT6_EEPKT1_S7_PKS1_PKT3_PKT4_S4_PT5_21rocsparse_index_base_b ; -- Begin function _ZN9rocsparseL21csrmvn_general_kernelILj256ELj4EliDF16_DF16_ffEEvbT2_NS_24const_host_device_scalarIT6_EEPKT1_S7_PKS1_PKT3_PKT4_S4_PT5_21rocsparse_index_base_b
	.p2align	8
	.type	_ZN9rocsparseL21csrmvn_general_kernelILj256ELj4EliDF16_DF16_ffEEvbT2_NS_24const_host_device_scalarIT6_EEPKT1_S7_PKS1_PKT3_PKT4_S4_PT5_21rocsparse_index_base_b,@function
_ZN9rocsparseL21csrmvn_general_kernelILj256ELj4EliDF16_DF16_ffEEvbT2_NS_24const_host_device_scalarIT6_EEPKT1_S7_PKS1_PKT3_PKT4_S4_PT5_21rocsparse_index_base_b: ; @_ZN9rocsparseL21csrmvn_general_kernelILj256ELj4EliDF16_DF16_ffEEvbT2_NS_24const_host_device_scalarIT6_EEPKT1_S7_PKS1_PKT3_PKT4_S4_PT5_21rocsparse_index_base_b
; %bb.0:
	s_clause 0x2
	s_load_b64 s[2:3], s[0:1], 0x48
	s_load_b128 s[12:15], s[0:1], 0x8
	s_load_b64 s[16:17], s[0:1], 0x38
	s_wait_kmcnt 0x0
	s_bitcmp1_b32 s3, 0
	s_cselect_b32 s3, -1, 0
	s_delay_alu instid0(SALU_CYCLE_1)
	s_and_b32 vcc_lo, exec_lo, s3
	s_xor_b32 s3, s3, -1
	s_cbranch_vccnz .LBB210_2
; %bb.1:
	s_load_b32 s12, s[12:13], 0x0
.LBB210_2:
	s_and_not1_b32 vcc_lo, exec_lo, s3
	s_cbranch_vccnz .LBB210_4
; %bb.3:
	s_load_b32 s16, s[16:17], 0x0
.LBB210_4:
	s_wait_kmcnt 0x0
	s_cmp_neq_f32 s12, 0
	s_cselect_b32 s3, -1, 0
	s_cmp_neq_f32 s16, 1.0
	s_cselect_b32 s4, -1, 0
	s_delay_alu instid0(SALU_CYCLE_1) | instskip(NEXT) | instid1(SALU_CYCLE_1)
	s_or_b32 s3, s3, s4
	s_and_not1_b32 vcc_lo, exec_lo, s3
	s_cbranch_vccnz .LBB210_16
; %bb.5:
	s_bfe_u32 s3, ttmp6, 0x4000c
	s_load_b32 s13, s[0:1], 0x4
	s_add_co_i32 s3, s3, 1
	s_and_b32 s4, ttmp6, 15
	s_mul_i32 s3, ttmp9, s3
	s_getreg_b32 s5, hwreg(HW_REG_IB_STS2, 6, 4)
	s_add_co_i32 s4, s4, s3
	s_cmp_eq_u32 s5, 0
	s_cselect_b32 s3, ttmp9, s4
	s_delay_alu instid0(SALU_CYCLE_1) | instskip(SKIP_1) | instid1(VALU_DEP_1)
	v_lshl_or_b32 v1, s3, 8, v0
	s_mov_b32 s3, exec_lo
	v_lshrrev_b32_e32 v2, 2, v1
	s_wait_kmcnt 0x0
	s_delay_alu instid0(VALU_DEP_1)
	v_cmpx_gt_i32_e64 s13, v2
	s_cbranch_execz .LBB210_16
; %bb.6:
	v_mbcnt_lo_u32_b32 v3, -1, 0
	s_clause 0x2
	s_load_b32 s17, s[0:1], 0x50
	s_load_b64 s[18:19], s[0:1], 0x40
	s_load_b256 s[4:11], s[0:1], 0x18
	v_dual_mov_b32 v5, 0 :: v_dual_bitop2_b32 v4, 3, v0 bitop3:0x40
	s_mov_b32 s3, 0
	v_xor_b32_e32 v6, 2, v3
	s_wait_xcnt 0x0
	s_ashr_i32 s1, s2, 31
	s_mov_b32 s0, s2
	v_sub_nc_u64_e64 v[0:1], v[4:5], s[2:3]
	s_lshl_b64 s[20:21], s[0:1], 1
	v_cmp_gt_i32_e32 vcc_lo, 32, v6
	v_xor_b32_e32 v7, 1, v3
	v_cmp_eq_u32_e64 s0, 3, v4
	v_cndmask_b32_e32 v5, v3, v6, vcc_lo
	s_delay_alu instid0(VALU_DEP_3)
	v_cmp_gt_i32_e32 vcc_lo, 32, v7
	s_wait_kmcnt 0x0
	s_lshl_b32 s1, s17, 6
	s_cmp_neq_f32 s16, 0
	v_dual_cndmask_b32 v3, v3, v7 :: v_dual_lshlrev_b32 v12, 2, v5
	s_sub_nc_u64 s[10:11], s[10:11], s[20:21]
	s_cselect_b32 s17, -1, 0
	s_mov_b32 s20, s3
	s_delay_alu instid0(VALU_DEP_1)
	v_lshlrev_b32_e32 v13, 2, v3
	s_branch .LBB210_9
.LBB210_7:                              ;   in Loop: Header=BB210_9 Depth=1
	global_store_b32 v[4:5], v6, off
.LBB210_8:                              ;   in Loop: Header=BB210_9 Depth=1
	s_wait_xcnt 0x0
	s_or_b32 exec_lo, exec_lo, s21
	v_add_nc_u32_e32 v2, s1, v2
	s_delay_alu instid0(VALU_DEP_1) | instskip(SKIP_1) | instid1(SALU_CYCLE_1)
	v_cmp_le_i32_e32 vcc_lo, s13, v2
	s_or_b32 s20, vcc_lo, s20
	s_and_not1_b32 exec_lo, exec_lo, s20
	s_cbranch_execz .LBB210_16
.LBB210_9:                              ; =>This Loop Header: Depth=1
                                        ;     Child Loop BB210_11 Depth 2
	s_wait_dscnt 0x0
	s_clause 0x1
	global_load_b64 v[4:5], v2, s[4:5] scale_offset
	global_load_b64 v[6:7], v2, s[14:15] scale_offset
	v_mov_b32_e32 v14, 0
	s_mov_b32 s21, exec_lo
	s_wait_loadcnt 0x1
	v_sub_nc_u64_e64 v[4:5], v[4:5], s[2:3]
	s_wait_loadcnt 0x0
	v_add_nc_u64_e32 v[6:7], v[6:7], v[0:1]
	s_wait_xcnt 0x0
	s_delay_alu instid0(VALU_DEP_1)
	v_cmpx_lt_i64_e64 v[6:7], v[4:5]
	s_cbranch_execz .LBB210_13
; %bb.10:                               ;   in Loop: Header=BB210_9 Depth=1
	v_lshl_add_u64 v[8:9], v[6:7], 1, s[8:9]
	v_lshl_add_u64 v[10:11], v[6:7], 2, s[6:7]
	v_mov_b32_e32 v14, 0
	s_mov_b32 s22, 0
.LBB210_11:                             ;   Parent Loop BB210_9 Depth=1
                                        ; =>  This Inner Loop Header: Depth=2
	global_load_b32 v3, v[10:11], off
	global_load_u16 v15, v[8:9], off
	v_add_nc_u64_e32 v[6:7], 4, v[6:7]
	s_wait_xcnt 0x0
	v_add_nc_u64_e32 v[8:9], 8, v[8:9]
	v_add_nc_u64_e32 v[10:11], 16, v[10:11]
	s_delay_alu instid0(VALU_DEP_3)
	v_cmp_ge_i64_e32 vcc_lo, v[6:7], v[4:5]
	s_or_b32 s22, vcc_lo, s22
	s_wait_loadcnt 0x1
	global_load_u16 v3, v3, s[10:11] scale_offset
	s_wait_loadcnt 0x1
	v_cvt_f32_f16_e32 v15, v15
	s_delay_alu instid0(VALU_DEP_1) | instskip(SKIP_1) | instid1(VALU_DEP_1)
	v_mul_f32_e32 v15, s12, v15
	s_wait_loadcnt 0x0
	v_fma_mix_f32 v14, v15, v3, v14 op_sel_hi:[0,1,0]
	s_wait_xcnt 0x0
	s_and_not1_b32 exec_lo, exec_lo, s22
	s_cbranch_execnz .LBB210_11
; %bb.12:                               ;   in Loop: Header=BB210_9 Depth=1
	s_or_b32 exec_lo, exec_lo, s22
.LBB210_13:                             ;   in Loop: Header=BB210_9 Depth=1
	s_delay_alu instid0(SALU_CYCLE_1)
	s_or_b32 exec_lo, exec_lo, s21
	ds_bpermute_b32 v4, v12, v14
	s_wait_dscnt 0x0
	v_dual_add_f32 v4, v14, v4 :: v_dual_ashrrev_i32 v3, 31, v2
	ds_bpermute_b32 v5, v13, v4
	s_and_saveexec_b32 s21, s0
	s_cbranch_execz .LBB210_8
; %bb.14:                               ;   in Loop: Header=BB210_9 Depth=1
	s_wait_dscnt 0x0
	v_add_f32_e32 v6, v4, v5
	v_lshl_add_u64 v[4:5], v[2:3], 2, s[18:19]
	s_and_not1_b32 vcc_lo, exec_lo, s17
	s_cbranch_vccnz .LBB210_7
; %bb.15:                               ;   in Loop: Header=BB210_9 Depth=1
	global_load_b32 v3, v[4:5], off
	s_wait_loadcnt 0x0
	v_fmac_f32_e32 v6, s16, v3
	s_branch .LBB210_7
.LBB210_16:
	s_endpgm
	.section	.rodata,"a",@progbits
	.p2align	6, 0x0
	.amdhsa_kernel _ZN9rocsparseL21csrmvn_general_kernelILj256ELj4EliDF16_DF16_ffEEvbT2_NS_24const_host_device_scalarIT6_EEPKT1_S7_PKS1_PKT3_PKT4_S4_PT5_21rocsparse_index_base_b
		.amdhsa_group_segment_fixed_size 0
		.amdhsa_private_segment_fixed_size 0
		.amdhsa_kernarg_size 336
		.amdhsa_user_sgpr_count 2
		.amdhsa_user_sgpr_dispatch_ptr 0
		.amdhsa_user_sgpr_queue_ptr 0
		.amdhsa_user_sgpr_kernarg_segment_ptr 1
		.amdhsa_user_sgpr_dispatch_id 0
		.amdhsa_user_sgpr_kernarg_preload_length 0
		.amdhsa_user_sgpr_kernarg_preload_offset 0
		.amdhsa_user_sgpr_private_segment_size 0
		.amdhsa_wavefront_size32 1
		.amdhsa_uses_dynamic_stack 0
		.amdhsa_enable_private_segment 0
		.amdhsa_system_sgpr_workgroup_id_x 1
		.amdhsa_system_sgpr_workgroup_id_y 0
		.amdhsa_system_sgpr_workgroup_id_z 0
		.amdhsa_system_sgpr_workgroup_info 0
		.amdhsa_system_vgpr_workitem_id 0
		.amdhsa_next_free_vgpr 16
		.amdhsa_next_free_sgpr 23
		.amdhsa_named_barrier_count 0
		.amdhsa_reserve_vcc 1
		.amdhsa_float_round_mode_32 0
		.amdhsa_float_round_mode_16_64 0
		.amdhsa_float_denorm_mode_32 3
		.amdhsa_float_denorm_mode_16_64 3
		.amdhsa_fp16_overflow 0
		.amdhsa_memory_ordered 1
		.amdhsa_forward_progress 1
		.amdhsa_inst_pref_size 6
		.amdhsa_round_robin_scheduling 0
		.amdhsa_exception_fp_ieee_invalid_op 0
		.amdhsa_exception_fp_denorm_src 0
		.amdhsa_exception_fp_ieee_div_zero 0
		.amdhsa_exception_fp_ieee_overflow 0
		.amdhsa_exception_fp_ieee_underflow 0
		.amdhsa_exception_fp_ieee_inexact 0
		.amdhsa_exception_int_div_zero 0
	.end_amdhsa_kernel
	.section	.text._ZN9rocsparseL21csrmvn_general_kernelILj256ELj4EliDF16_DF16_ffEEvbT2_NS_24const_host_device_scalarIT6_EEPKT1_S7_PKS1_PKT3_PKT4_S4_PT5_21rocsparse_index_base_b,"axG",@progbits,_ZN9rocsparseL21csrmvn_general_kernelILj256ELj4EliDF16_DF16_ffEEvbT2_NS_24const_host_device_scalarIT6_EEPKT1_S7_PKS1_PKT3_PKT4_S4_PT5_21rocsparse_index_base_b,comdat
.Lfunc_end210:
	.size	_ZN9rocsparseL21csrmvn_general_kernelILj256ELj4EliDF16_DF16_ffEEvbT2_NS_24const_host_device_scalarIT6_EEPKT1_S7_PKS1_PKT3_PKT4_S4_PT5_21rocsparse_index_base_b, .Lfunc_end210-_ZN9rocsparseL21csrmvn_general_kernelILj256ELj4EliDF16_DF16_ffEEvbT2_NS_24const_host_device_scalarIT6_EEPKT1_S7_PKS1_PKT3_PKT4_S4_PT5_21rocsparse_index_base_b
                                        ; -- End function
	.set _ZN9rocsparseL21csrmvn_general_kernelILj256ELj4EliDF16_DF16_ffEEvbT2_NS_24const_host_device_scalarIT6_EEPKT1_S7_PKS1_PKT3_PKT4_S4_PT5_21rocsparse_index_base_b.num_vgpr, 16
	.set _ZN9rocsparseL21csrmvn_general_kernelILj256ELj4EliDF16_DF16_ffEEvbT2_NS_24const_host_device_scalarIT6_EEPKT1_S7_PKS1_PKT3_PKT4_S4_PT5_21rocsparse_index_base_b.num_agpr, 0
	.set _ZN9rocsparseL21csrmvn_general_kernelILj256ELj4EliDF16_DF16_ffEEvbT2_NS_24const_host_device_scalarIT6_EEPKT1_S7_PKS1_PKT3_PKT4_S4_PT5_21rocsparse_index_base_b.numbered_sgpr, 23
	.set _ZN9rocsparseL21csrmvn_general_kernelILj256ELj4EliDF16_DF16_ffEEvbT2_NS_24const_host_device_scalarIT6_EEPKT1_S7_PKS1_PKT3_PKT4_S4_PT5_21rocsparse_index_base_b.num_named_barrier, 0
	.set _ZN9rocsparseL21csrmvn_general_kernelILj256ELj4EliDF16_DF16_ffEEvbT2_NS_24const_host_device_scalarIT6_EEPKT1_S7_PKS1_PKT3_PKT4_S4_PT5_21rocsparse_index_base_b.private_seg_size, 0
	.set _ZN9rocsparseL21csrmvn_general_kernelILj256ELj4EliDF16_DF16_ffEEvbT2_NS_24const_host_device_scalarIT6_EEPKT1_S7_PKS1_PKT3_PKT4_S4_PT5_21rocsparse_index_base_b.uses_vcc, 1
	.set _ZN9rocsparseL21csrmvn_general_kernelILj256ELj4EliDF16_DF16_ffEEvbT2_NS_24const_host_device_scalarIT6_EEPKT1_S7_PKS1_PKT3_PKT4_S4_PT5_21rocsparse_index_base_b.uses_flat_scratch, 0
	.set _ZN9rocsparseL21csrmvn_general_kernelILj256ELj4EliDF16_DF16_ffEEvbT2_NS_24const_host_device_scalarIT6_EEPKT1_S7_PKS1_PKT3_PKT4_S4_PT5_21rocsparse_index_base_b.has_dyn_sized_stack, 0
	.set _ZN9rocsparseL21csrmvn_general_kernelILj256ELj4EliDF16_DF16_ffEEvbT2_NS_24const_host_device_scalarIT6_EEPKT1_S7_PKS1_PKT3_PKT4_S4_PT5_21rocsparse_index_base_b.has_recursion, 0
	.set _ZN9rocsparseL21csrmvn_general_kernelILj256ELj4EliDF16_DF16_ffEEvbT2_NS_24const_host_device_scalarIT6_EEPKT1_S7_PKS1_PKT3_PKT4_S4_PT5_21rocsparse_index_base_b.has_indirect_call, 0
	.section	.AMDGPU.csdata,"",@progbits
; Kernel info:
; codeLenInByte = 708
; TotalNumSgprs: 25
; NumVgprs: 16
; ScratchSize: 0
; MemoryBound: 0
; FloatMode: 240
; IeeeMode: 1
; LDSByteSize: 0 bytes/workgroup (compile time only)
; SGPRBlocks: 0
; VGPRBlocks: 0
; NumSGPRsForWavesPerEU: 25
; NumVGPRsForWavesPerEU: 16
; NamedBarCnt: 0
; Occupancy: 16
; WaveLimiterHint : 1
; COMPUTE_PGM_RSRC2:SCRATCH_EN: 0
; COMPUTE_PGM_RSRC2:USER_SGPR: 2
; COMPUTE_PGM_RSRC2:TRAP_HANDLER: 0
; COMPUTE_PGM_RSRC2:TGID_X_EN: 1
; COMPUTE_PGM_RSRC2:TGID_Y_EN: 0
; COMPUTE_PGM_RSRC2:TGID_Z_EN: 0
; COMPUTE_PGM_RSRC2:TIDIG_COMP_CNT: 0
	.section	.text._ZN9rocsparseL21csrmvn_general_kernelILj256ELj8EliDF16_DF16_ffEEvbT2_NS_24const_host_device_scalarIT6_EEPKT1_S7_PKS1_PKT3_PKT4_S4_PT5_21rocsparse_index_base_b,"axG",@progbits,_ZN9rocsparseL21csrmvn_general_kernelILj256ELj8EliDF16_DF16_ffEEvbT2_NS_24const_host_device_scalarIT6_EEPKT1_S7_PKS1_PKT3_PKT4_S4_PT5_21rocsparse_index_base_b,comdat
	.globl	_ZN9rocsparseL21csrmvn_general_kernelILj256ELj8EliDF16_DF16_ffEEvbT2_NS_24const_host_device_scalarIT6_EEPKT1_S7_PKS1_PKT3_PKT4_S4_PT5_21rocsparse_index_base_b ; -- Begin function _ZN9rocsparseL21csrmvn_general_kernelILj256ELj8EliDF16_DF16_ffEEvbT2_NS_24const_host_device_scalarIT6_EEPKT1_S7_PKS1_PKT3_PKT4_S4_PT5_21rocsparse_index_base_b
	.p2align	8
	.type	_ZN9rocsparseL21csrmvn_general_kernelILj256ELj8EliDF16_DF16_ffEEvbT2_NS_24const_host_device_scalarIT6_EEPKT1_S7_PKS1_PKT3_PKT4_S4_PT5_21rocsparse_index_base_b,@function
_ZN9rocsparseL21csrmvn_general_kernelILj256ELj8EliDF16_DF16_ffEEvbT2_NS_24const_host_device_scalarIT6_EEPKT1_S7_PKS1_PKT3_PKT4_S4_PT5_21rocsparse_index_base_b: ; @_ZN9rocsparseL21csrmvn_general_kernelILj256ELj8EliDF16_DF16_ffEEvbT2_NS_24const_host_device_scalarIT6_EEPKT1_S7_PKS1_PKT3_PKT4_S4_PT5_21rocsparse_index_base_b
; %bb.0:
	s_clause 0x2
	s_load_b64 s[2:3], s[0:1], 0x48
	s_load_b128 s[12:15], s[0:1], 0x8
	s_load_b64 s[16:17], s[0:1], 0x38
	s_wait_kmcnt 0x0
	s_bitcmp1_b32 s3, 0
	s_cselect_b32 s3, -1, 0
	s_delay_alu instid0(SALU_CYCLE_1)
	s_and_b32 vcc_lo, exec_lo, s3
	s_xor_b32 s3, s3, -1
	s_cbranch_vccnz .LBB211_2
; %bb.1:
	s_load_b32 s12, s[12:13], 0x0
.LBB211_2:
	s_and_not1_b32 vcc_lo, exec_lo, s3
	s_cbranch_vccnz .LBB211_4
; %bb.3:
	s_load_b32 s16, s[16:17], 0x0
.LBB211_4:
	s_wait_kmcnt 0x0
	s_cmp_neq_f32 s12, 0
	s_cselect_b32 s3, -1, 0
	s_cmp_neq_f32 s16, 1.0
	s_cselect_b32 s4, -1, 0
	s_delay_alu instid0(SALU_CYCLE_1) | instskip(NEXT) | instid1(SALU_CYCLE_1)
	s_or_b32 s3, s3, s4
	s_and_not1_b32 vcc_lo, exec_lo, s3
	s_cbranch_vccnz .LBB211_16
; %bb.5:
	s_bfe_u32 s3, ttmp6, 0x4000c
	s_load_b32 s13, s[0:1], 0x4
	s_add_co_i32 s3, s3, 1
	s_and_b32 s4, ttmp6, 15
	s_mul_i32 s3, ttmp9, s3
	s_getreg_b32 s5, hwreg(HW_REG_IB_STS2, 6, 4)
	s_add_co_i32 s4, s4, s3
	s_cmp_eq_u32 s5, 0
	s_cselect_b32 s3, ttmp9, s4
	s_delay_alu instid0(SALU_CYCLE_1) | instskip(SKIP_1) | instid1(VALU_DEP_1)
	v_lshl_or_b32 v1, s3, 8, v0
	s_mov_b32 s3, exec_lo
	v_lshrrev_b32_e32 v2, 3, v1
	s_wait_kmcnt 0x0
	s_delay_alu instid0(VALU_DEP_1)
	v_cmpx_gt_i32_e64 s13, v2
	s_cbranch_execz .LBB211_16
; %bb.6:
	v_dual_mov_b32 v5, 0 :: v_dual_bitop2_b32 v4, 7, v0 bitop3:0x40
	v_mbcnt_lo_u32_b32 v3, -1, 0
	s_mov_b32 s3, 0
	s_clause 0x2
	s_load_b32 s17, s[0:1], 0x50
	s_load_b64 s[18:19], s[0:1], 0x40
	s_load_b256 s[4:11], s[0:1], 0x18
	s_wait_xcnt 0x0
	s_ashr_i32 s1, s2, 31
	v_sub_nc_u64_e64 v[0:1], v[4:5], s[2:3]
	v_xor_b32_e32 v5, 1, v3
	v_xor_b32_e32 v6, 4, v3
	s_mov_b32 s0, s2
	s_delay_alu instid0(SALU_CYCLE_1) | instskip(SKIP_1) | instid1(VALU_DEP_2)
	s_lshl_b64 s[20:21], s[0:1], 1
	v_cmp_eq_u32_e64 s0, 7, v4
	v_cmp_gt_i32_e32 vcc_lo, 32, v6
	v_dual_cndmask_b32 v6, v3, v6, vcc_lo :: v_dual_bitop2_b32 v7, 2, v3 bitop3:0x14
	s_delay_alu instid0(VALU_DEP_1) | instskip(SKIP_2) | instid1(VALU_DEP_2)
	v_cmp_gt_i32_e32 vcc_lo, 32, v7
	s_wait_kmcnt 0x0
	s_lshl_b32 s1, s17, 5
	v_dual_cndmask_b32 v7, v3, v7 :: v_dual_lshlrev_b32 v12, 2, v6
	v_cmp_gt_i32_e32 vcc_lo, 32, v5
	s_cmp_neq_f32 s16, 0
	s_sub_nc_u64 s[10:11], s[10:11], s[20:21]
	s_mov_b32 s20, s3
	v_dual_lshlrev_b32 v13, 2, v7 :: v_dual_cndmask_b32 v3, v3, v5, vcc_lo
	s_cselect_b32 s17, -1, 0
	s_delay_alu instid0(VALU_DEP_1)
	v_lshlrev_b32_e32 v14, 2, v3
	s_branch .LBB211_9
.LBB211_7:                              ;   in Loop: Header=BB211_9 Depth=1
	global_store_b32 v[4:5], v6, off
.LBB211_8:                              ;   in Loop: Header=BB211_9 Depth=1
	s_wait_xcnt 0x0
	s_or_b32 exec_lo, exec_lo, s21
	v_add_nc_u32_e32 v2, s1, v2
	s_delay_alu instid0(VALU_DEP_1) | instskip(SKIP_1) | instid1(SALU_CYCLE_1)
	v_cmp_le_i32_e32 vcc_lo, s13, v2
	s_or_b32 s20, vcc_lo, s20
	s_and_not1_b32 exec_lo, exec_lo, s20
	s_cbranch_execz .LBB211_16
.LBB211_9:                              ; =>This Loop Header: Depth=1
                                        ;     Child Loop BB211_11 Depth 2
	s_wait_dscnt 0x0
	s_clause 0x1
	global_load_b64 v[4:5], v2, s[4:5] scale_offset
	global_load_b64 v[6:7], v2, s[14:15] scale_offset
	v_mov_b32_e32 v15, 0
	s_mov_b32 s21, exec_lo
	s_wait_loadcnt 0x1
	v_sub_nc_u64_e64 v[4:5], v[4:5], s[2:3]
	s_wait_loadcnt 0x0
	v_add_nc_u64_e32 v[6:7], v[6:7], v[0:1]
	s_wait_xcnt 0x0
	s_delay_alu instid0(VALU_DEP_1)
	v_cmpx_lt_i64_e64 v[6:7], v[4:5]
	s_cbranch_execz .LBB211_13
; %bb.10:                               ;   in Loop: Header=BB211_9 Depth=1
	v_lshl_add_u64 v[8:9], v[6:7], 1, s[8:9]
	v_lshl_add_u64 v[10:11], v[6:7], 2, s[6:7]
	v_mov_b32_e32 v15, 0
	s_mov_b32 s22, 0
.LBB211_11:                             ;   Parent Loop BB211_9 Depth=1
                                        ; =>  This Inner Loop Header: Depth=2
	global_load_b32 v3, v[10:11], off
	global_load_u16 v16, v[8:9], off
	v_add_nc_u64_e32 v[6:7], 8, v[6:7]
	s_wait_xcnt 0x0
	v_add_nc_u64_e32 v[8:9], 16, v[8:9]
	v_add_nc_u64_e32 v[10:11], 32, v[10:11]
	s_delay_alu instid0(VALU_DEP_3)
	v_cmp_ge_i64_e32 vcc_lo, v[6:7], v[4:5]
	s_or_b32 s22, vcc_lo, s22
	s_wait_loadcnt 0x1
	global_load_u16 v3, v3, s[10:11] scale_offset
	s_wait_loadcnt 0x1
	v_cvt_f32_f16_e32 v16, v16
	s_delay_alu instid0(VALU_DEP_1) | instskip(SKIP_1) | instid1(VALU_DEP_1)
	v_mul_f32_e32 v16, s12, v16
	s_wait_loadcnt 0x0
	v_fma_mix_f32 v15, v16, v3, v15 op_sel_hi:[0,1,0]
	s_wait_xcnt 0x0
	s_and_not1_b32 exec_lo, exec_lo, s22
	s_cbranch_execnz .LBB211_11
; %bb.12:                               ;   in Loop: Header=BB211_9 Depth=1
	s_or_b32 exec_lo, exec_lo, s22
.LBB211_13:                             ;   in Loop: Header=BB211_9 Depth=1
	s_delay_alu instid0(SALU_CYCLE_1)
	s_or_b32 exec_lo, exec_lo, s21
	ds_bpermute_b32 v4, v12, v15
	s_wait_dscnt 0x0
	v_dual_add_f32 v4, v15, v4 :: v_dual_ashrrev_i32 v3, 31, v2
	ds_bpermute_b32 v5, v13, v4
	s_wait_dscnt 0x0
	v_add_f32_e32 v4, v4, v5
	ds_bpermute_b32 v5, v14, v4
	s_and_saveexec_b32 s21, s0
	s_cbranch_execz .LBB211_8
; %bb.14:                               ;   in Loop: Header=BB211_9 Depth=1
	s_wait_dscnt 0x0
	v_add_f32_e32 v6, v4, v5
	v_lshl_add_u64 v[4:5], v[2:3], 2, s[18:19]
	s_and_not1_b32 vcc_lo, exec_lo, s17
	s_cbranch_vccnz .LBB211_7
; %bb.15:                               ;   in Loop: Header=BB211_9 Depth=1
	global_load_b32 v3, v[4:5], off
	s_wait_loadcnt 0x0
	v_fmac_f32_e32 v6, s16, v3
	s_branch .LBB211_7
.LBB211_16:
	s_endpgm
	.section	.rodata,"a",@progbits
	.p2align	6, 0x0
	.amdhsa_kernel _ZN9rocsparseL21csrmvn_general_kernelILj256ELj8EliDF16_DF16_ffEEvbT2_NS_24const_host_device_scalarIT6_EEPKT1_S7_PKS1_PKT3_PKT4_S4_PT5_21rocsparse_index_base_b
		.amdhsa_group_segment_fixed_size 0
		.amdhsa_private_segment_fixed_size 0
		.amdhsa_kernarg_size 336
		.amdhsa_user_sgpr_count 2
		.amdhsa_user_sgpr_dispatch_ptr 0
		.amdhsa_user_sgpr_queue_ptr 0
		.amdhsa_user_sgpr_kernarg_segment_ptr 1
		.amdhsa_user_sgpr_dispatch_id 0
		.amdhsa_user_sgpr_kernarg_preload_length 0
		.amdhsa_user_sgpr_kernarg_preload_offset 0
		.amdhsa_user_sgpr_private_segment_size 0
		.amdhsa_wavefront_size32 1
		.amdhsa_uses_dynamic_stack 0
		.amdhsa_enable_private_segment 0
		.amdhsa_system_sgpr_workgroup_id_x 1
		.amdhsa_system_sgpr_workgroup_id_y 0
		.amdhsa_system_sgpr_workgroup_id_z 0
		.amdhsa_system_sgpr_workgroup_info 0
		.amdhsa_system_vgpr_workitem_id 0
		.amdhsa_next_free_vgpr 17
		.amdhsa_next_free_sgpr 23
		.amdhsa_named_barrier_count 0
		.amdhsa_reserve_vcc 1
		.amdhsa_float_round_mode_32 0
		.amdhsa_float_round_mode_16_64 0
		.amdhsa_float_denorm_mode_32 3
		.amdhsa_float_denorm_mode_16_64 3
		.amdhsa_fp16_overflow 0
		.amdhsa_memory_ordered 1
		.amdhsa_forward_progress 1
		.amdhsa_inst_pref_size 6
		.amdhsa_round_robin_scheduling 0
		.amdhsa_exception_fp_ieee_invalid_op 0
		.amdhsa_exception_fp_denorm_src 0
		.amdhsa_exception_fp_ieee_div_zero 0
		.amdhsa_exception_fp_ieee_overflow 0
		.amdhsa_exception_fp_ieee_underflow 0
		.amdhsa_exception_fp_ieee_inexact 0
		.amdhsa_exception_int_div_zero 0
	.end_amdhsa_kernel
	.section	.text._ZN9rocsparseL21csrmvn_general_kernelILj256ELj8EliDF16_DF16_ffEEvbT2_NS_24const_host_device_scalarIT6_EEPKT1_S7_PKS1_PKT3_PKT4_S4_PT5_21rocsparse_index_base_b,"axG",@progbits,_ZN9rocsparseL21csrmvn_general_kernelILj256ELj8EliDF16_DF16_ffEEvbT2_NS_24const_host_device_scalarIT6_EEPKT1_S7_PKS1_PKT3_PKT4_S4_PT5_21rocsparse_index_base_b,comdat
.Lfunc_end211:
	.size	_ZN9rocsparseL21csrmvn_general_kernelILj256ELj8EliDF16_DF16_ffEEvbT2_NS_24const_host_device_scalarIT6_EEPKT1_S7_PKS1_PKT3_PKT4_S4_PT5_21rocsparse_index_base_b, .Lfunc_end211-_ZN9rocsparseL21csrmvn_general_kernelILj256ELj8EliDF16_DF16_ffEEvbT2_NS_24const_host_device_scalarIT6_EEPKT1_S7_PKS1_PKT3_PKT4_S4_PT5_21rocsparse_index_base_b
                                        ; -- End function
	.set _ZN9rocsparseL21csrmvn_general_kernelILj256ELj8EliDF16_DF16_ffEEvbT2_NS_24const_host_device_scalarIT6_EEPKT1_S7_PKS1_PKT3_PKT4_S4_PT5_21rocsparse_index_base_b.num_vgpr, 17
	.set _ZN9rocsparseL21csrmvn_general_kernelILj256ELj8EliDF16_DF16_ffEEvbT2_NS_24const_host_device_scalarIT6_EEPKT1_S7_PKS1_PKT3_PKT4_S4_PT5_21rocsparse_index_base_b.num_agpr, 0
	.set _ZN9rocsparseL21csrmvn_general_kernelILj256ELj8EliDF16_DF16_ffEEvbT2_NS_24const_host_device_scalarIT6_EEPKT1_S7_PKS1_PKT3_PKT4_S4_PT5_21rocsparse_index_base_b.numbered_sgpr, 23
	.set _ZN9rocsparseL21csrmvn_general_kernelILj256ELj8EliDF16_DF16_ffEEvbT2_NS_24const_host_device_scalarIT6_EEPKT1_S7_PKS1_PKT3_PKT4_S4_PT5_21rocsparse_index_base_b.num_named_barrier, 0
	.set _ZN9rocsparseL21csrmvn_general_kernelILj256ELj8EliDF16_DF16_ffEEvbT2_NS_24const_host_device_scalarIT6_EEPKT1_S7_PKS1_PKT3_PKT4_S4_PT5_21rocsparse_index_base_b.private_seg_size, 0
	.set _ZN9rocsparseL21csrmvn_general_kernelILj256ELj8EliDF16_DF16_ffEEvbT2_NS_24const_host_device_scalarIT6_EEPKT1_S7_PKS1_PKT3_PKT4_S4_PT5_21rocsparse_index_base_b.uses_vcc, 1
	.set _ZN9rocsparseL21csrmvn_general_kernelILj256ELj8EliDF16_DF16_ffEEvbT2_NS_24const_host_device_scalarIT6_EEPKT1_S7_PKS1_PKT3_PKT4_S4_PT5_21rocsparse_index_base_b.uses_flat_scratch, 0
	.set _ZN9rocsparseL21csrmvn_general_kernelILj256ELj8EliDF16_DF16_ffEEvbT2_NS_24const_host_device_scalarIT6_EEPKT1_S7_PKS1_PKT3_PKT4_S4_PT5_21rocsparse_index_base_b.has_dyn_sized_stack, 0
	.set _ZN9rocsparseL21csrmvn_general_kernelILj256ELj8EliDF16_DF16_ffEEvbT2_NS_24const_host_device_scalarIT6_EEPKT1_S7_PKS1_PKT3_PKT4_S4_PT5_21rocsparse_index_base_b.has_recursion, 0
	.set _ZN9rocsparseL21csrmvn_general_kernelILj256ELj8EliDF16_DF16_ffEEvbT2_NS_24const_host_device_scalarIT6_EEPKT1_S7_PKS1_PKT3_PKT4_S4_PT5_21rocsparse_index_base_b.has_indirect_call, 0
	.section	.AMDGPU.csdata,"",@progbits
; Kernel info:
; codeLenInByte = 752
; TotalNumSgprs: 25
; NumVgprs: 17
; ScratchSize: 0
; MemoryBound: 0
; FloatMode: 240
; IeeeMode: 1
; LDSByteSize: 0 bytes/workgroup (compile time only)
; SGPRBlocks: 0
; VGPRBlocks: 1
; NumSGPRsForWavesPerEU: 25
; NumVGPRsForWavesPerEU: 17
; NamedBarCnt: 0
; Occupancy: 16
; WaveLimiterHint : 1
; COMPUTE_PGM_RSRC2:SCRATCH_EN: 0
; COMPUTE_PGM_RSRC2:USER_SGPR: 2
; COMPUTE_PGM_RSRC2:TRAP_HANDLER: 0
; COMPUTE_PGM_RSRC2:TGID_X_EN: 1
; COMPUTE_PGM_RSRC2:TGID_Y_EN: 0
; COMPUTE_PGM_RSRC2:TGID_Z_EN: 0
; COMPUTE_PGM_RSRC2:TIDIG_COMP_CNT: 0
	.section	.text._ZN9rocsparseL21csrmvn_general_kernelILj256ELj16EliDF16_DF16_ffEEvbT2_NS_24const_host_device_scalarIT6_EEPKT1_S7_PKS1_PKT3_PKT4_S4_PT5_21rocsparse_index_base_b,"axG",@progbits,_ZN9rocsparseL21csrmvn_general_kernelILj256ELj16EliDF16_DF16_ffEEvbT2_NS_24const_host_device_scalarIT6_EEPKT1_S7_PKS1_PKT3_PKT4_S4_PT5_21rocsparse_index_base_b,comdat
	.globl	_ZN9rocsparseL21csrmvn_general_kernelILj256ELj16EliDF16_DF16_ffEEvbT2_NS_24const_host_device_scalarIT6_EEPKT1_S7_PKS1_PKT3_PKT4_S4_PT5_21rocsparse_index_base_b ; -- Begin function _ZN9rocsparseL21csrmvn_general_kernelILj256ELj16EliDF16_DF16_ffEEvbT2_NS_24const_host_device_scalarIT6_EEPKT1_S7_PKS1_PKT3_PKT4_S4_PT5_21rocsparse_index_base_b
	.p2align	8
	.type	_ZN9rocsparseL21csrmvn_general_kernelILj256ELj16EliDF16_DF16_ffEEvbT2_NS_24const_host_device_scalarIT6_EEPKT1_S7_PKS1_PKT3_PKT4_S4_PT5_21rocsparse_index_base_b,@function
_ZN9rocsparseL21csrmvn_general_kernelILj256ELj16EliDF16_DF16_ffEEvbT2_NS_24const_host_device_scalarIT6_EEPKT1_S7_PKS1_PKT3_PKT4_S4_PT5_21rocsparse_index_base_b: ; @_ZN9rocsparseL21csrmvn_general_kernelILj256ELj16EliDF16_DF16_ffEEvbT2_NS_24const_host_device_scalarIT6_EEPKT1_S7_PKS1_PKT3_PKT4_S4_PT5_21rocsparse_index_base_b
; %bb.0:
	s_clause 0x2
	s_load_b64 s[2:3], s[0:1], 0x48
	s_load_b128 s[12:15], s[0:1], 0x8
	s_load_b64 s[16:17], s[0:1], 0x38
	s_wait_kmcnt 0x0
	s_bitcmp1_b32 s3, 0
	s_cselect_b32 s3, -1, 0
	s_delay_alu instid0(SALU_CYCLE_1)
	s_and_b32 vcc_lo, exec_lo, s3
	s_xor_b32 s3, s3, -1
	s_cbranch_vccnz .LBB212_2
; %bb.1:
	s_load_b32 s12, s[12:13], 0x0
.LBB212_2:
	s_and_not1_b32 vcc_lo, exec_lo, s3
	s_cbranch_vccnz .LBB212_4
; %bb.3:
	s_load_b32 s16, s[16:17], 0x0
.LBB212_4:
	s_wait_kmcnt 0x0
	s_cmp_neq_f32 s12, 0
	s_cselect_b32 s3, -1, 0
	s_cmp_neq_f32 s16, 1.0
	s_cselect_b32 s4, -1, 0
	s_delay_alu instid0(SALU_CYCLE_1) | instskip(NEXT) | instid1(SALU_CYCLE_1)
	s_or_b32 s3, s3, s4
	s_and_not1_b32 vcc_lo, exec_lo, s3
	s_cbranch_vccnz .LBB212_16
; %bb.5:
	s_bfe_u32 s3, ttmp6, 0x4000c
	s_load_b32 s13, s[0:1], 0x4
	s_add_co_i32 s3, s3, 1
	s_and_b32 s4, ttmp6, 15
	s_mul_i32 s3, ttmp9, s3
	s_getreg_b32 s5, hwreg(HW_REG_IB_STS2, 6, 4)
	s_add_co_i32 s4, s4, s3
	s_cmp_eq_u32 s5, 0
	s_cselect_b32 s3, ttmp9, s4
	s_delay_alu instid0(SALU_CYCLE_1) | instskip(SKIP_1) | instid1(VALU_DEP_1)
	v_lshl_or_b32 v1, s3, 8, v0
	s_mov_b32 s3, exec_lo
	v_lshrrev_b32_e32 v2, 4, v1
	s_wait_kmcnt 0x0
	s_delay_alu instid0(VALU_DEP_1)
	v_cmpx_gt_i32_e64 s13, v2
	s_cbranch_execz .LBB212_16
; %bb.6:
	v_dual_mov_b32 v5, 0 :: v_dual_bitop2_b32 v4, 15, v0 bitop3:0x40
	v_mbcnt_lo_u32_b32 v3, -1, 0
	s_mov_b32 s3, 0
	s_clause 0x2
	s_load_b32 s17, s[0:1], 0x50
	s_load_b64 s[18:19], s[0:1], 0x40
	s_load_b256 s[4:11], s[0:1], 0x18
	s_wait_xcnt 0x0
	s_ashr_i32 s1, s2, 31
	v_sub_nc_u64_e64 v[0:1], v[4:5], s[2:3]
	v_xor_b32_e32 v5, 4, v3
	v_xor_b32_e32 v6, 8, v3
	s_mov_b32 s0, s2
	s_delay_alu instid0(SALU_CYCLE_1) | instskip(SKIP_1) | instid1(VALU_DEP_2)
	s_lshl_b64 s[20:21], s[0:1], 1
	v_cmp_eq_u32_e64 s0, 15, v4
	v_cmp_gt_i32_e32 vcc_lo, 32, v6
	v_dual_cndmask_b32 v6, v3, v6, vcc_lo :: v_dual_bitop2_b32 v8, 1, v3 bitop3:0x14
	v_cmp_gt_i32_e32 vcc_lo, 32, v5
	s_wait_kmcnt 0x0
	s_lshl_b32 s1, s17, 4
	s_delay_alu instid0(VALU_DEP_2)
	v_dual_lshlrev_b32 v12, 2, v6 :: v_dual_bitop2_b32 v7, 2, v3 bitop3:0x14
	v_cndmask_b32_e32 v5, v3, v5, vcc_lo
	s_cmp_neq_f32 s16, 0
	s_sub_nc_u64 s[10:11], s[10:11], s[20:21]
	s_mov_b32 s20, s3
	v_cmp_gt_i32_e32 vcc_lo, 32, v7
	v_lshlrev_b32_e32 v13, 2, v5
	s_cselect_b32 s17, -1, 0
	v_cndmask_b32_e32 v7, v3, v7, vcc_lo
	v_cmp_gt_i32_e32 vcc_lo, 32, v8
	s_delay_alu instid0(VALU_DEP_2) | instskip(NEXT) | instid1(VALU_DEP_1)
	v_dual_cndmask_b32 v3, v3, v8 :: v_dual_lshlrev_b32 v14, 2, v7
	v_lshlrev_b32_e32 v15, 2, v3
	s_branch .LBB212_9
.LBB212_7:                              ;   in Loop: Header=BB212_9 Depth=1
	global_store_b32 v[4:5], v6, off
.LBB212_8:                              ;   in Loop: Header=BB212_9 Depth=1
	s_wait_xcnt 0x0
	s_or_b32 exec_lo, exec_lo, s21
	v_add_nc_u32_e32 v2, s1, v2
	s_delay_alu instid0(VALU_DEP_1) | instskip(SKIP_1) | instid1(SALU_CYCLE_1)
	v_cmp_le_i32_e32 vcc_lo, s13, v2
	s_or_b32 s20, vcc_lo, s20
	s_and_not1_b32 exec_lo, exec_lo, s20
	s_cbranch_execz .LBB212_16
.LBB212_9:                              ; =>This Loop Header: Depth=1
                                        ;     Child Loop BB212_11 Depth 2
	s_wait_dscnt 0x0
	s_clause 0x1
	global_load_b64 v[4:5], v2, s[4:5] scale_offset
	global_load_b64 v[6:7], v2, s[14:15] scale_offset
	v_mov_b32_e32 v16, 0
	s_mov_b32 s21, exec_lo
	s_wait_loadcnt 0x1
	v_sub_nc_u64_e64 v[4:5], v[4:5], s[2:3]
	s_wait_loadcnt 0x0
	v_add_nc_u64_e32 v[6:7], v[6:7], v[0:1]
	s_wait_xcnt 0x0
	s_delay_alu instid0(VALU_DEP_1)
	v_cmpx_lt_i64_e64 v[6:7], v[4:5]
	s_cbranch_execz .LBB212_13
; %bb.10:                               ;   in Loop: Header=BB212_9 Depth=1
	v_lshl_add_u64 v[8:9], v[6:7], 1, s[8:9]
	v_lshl_add_u64 v[10:11], v[6:7], 2, s[6:7]
	v_mov_b32_e32 v16, 0
	s_mov_b32 s22, 0
.LBB212_11:                             ;   Parent Loop BB212_9 Depth=1
                                        ; =>  This Inner Loop Header: Depth=2
	global_load_b32 v3, v[10:11], off
	global_load_u16 v17, v[8:9], off
	v_add_nc_u64_e32 v[6:7], 16, v[6:7]
	s_wait_xcnt 0x0
	v_add_nc_u64_e32 v[8:9], 32, v[8:9]
	v_add_nc_u64_e32 v[10:11], 64, v[10:11]
	s_delay_alu instid0(VALU_DEP_3)
	v_cmp_ge_i64_e32 vcc_lo, v[6:7], v[4:5]
	s_or_b32 s22, vcc_lo, s22
	s_wait_loadcnt 0x1
	global_load_u16 v3, v3, s[10:11] scale_offset
	s_wait_loadcnt 0x1
	v_cvt_f32_f16_e32 v17, v17
	s_delay_alu instid0(VALU_DEP_1) | instskip(SKIP_1) | instid1(VALU_DEP_1)
	v_mul_f32_e32 v17, s12, v17
	s_wait_loadcnt 0x0
	v_fma_mix_f32 v16, v17, v3, v16 op_sel_hi:[0,1,0]
	s_wait_xcnt 0x0
	s_and_not1_b32 exec_lo, exec_lo, s22
	s_cbranch_execnz .LBB212_11
; %bb.12:                               ;   in Loop: Header=BB212_9 Depth=1
	s_or_b32 exec_lo, exec_lo, s22
.LBB212_13:                             ;   in Loop: Header=BB212_9 Depth=1
	s_delay_alu instid0(SALU_CYCLE_1)
	s_or_b32 exec_lo, exec_lo, s21
	ds_bpermute_b32 v4, v12, v16
	s_wait_dscnt 0x0
	v_dual_add_f32 v4, v16, v4 :: v_dual_ashrrev_i32 v3, 31, v2
	ds_bpermute_b32 v5, v13, v4
	s_wait_dscnt 0x0
	v_add_f32_e32 v4, v4, v5
	ds_bpermute_b32 v5, v14, v4
	s_wait_dscnt 0x0
	v_add_f32_e32 v4, v4, v5
	ds_bpermute_b32 v5, v15, v4
	s_and_saveexec_b32 s21, s0
	s_cbranch_execz .LBB212_8
; %bb.14:                               ;   in Loop: Header=BB212_9 Depth=1
	s_wait_dscnt 0x0
	v_add_f32_e32 v6, v4, v5
	v_lshl_add_u64 v[4:5], v[2:3], 2, s[18:19]
	s_and_not1_b32 vcc_lo, exec_lo, s17
	s_cbranch_vccnz .LBB212_7
; %bb.15:                               ;   in Loop: Header=BB212_9 Depth=1
	global_load_b32 v3, v[4:5], off
	s_wait_loadcnt 0x0
	v_fmac_f32_e32 v6, s16, v3
	s_branch .LBB212_7
.LBB212_16:
	s_endpgm
	.section	.rodata,"a",@progbits
	.p2align	6, 0x0
	.amdhsa_kernel _ZN9rocsparseL21csrmvn_general_kernelILj256ELj16EliDF16_DF16_ffEEvbT2_NS_24const_host_device_scalarIT6_EEPKT1_S7_PKS1_PKT3_PKT4_S4_PT5_21rocsparse_index_base_b
		.amdhsa_group_segment_fixed_size 0
		.amdhsa_private_segment_fixed_size 0
		.amdhsa_kernarg_size 336
		.amdhsa_user_sgpr_count 2
		.amdhsa_user_sgpr_dispatch_ptr 0
		.amdhsa_user_sgpr_queue_ptr 0
		.amdhsa_user_sgpr_kernarg_segment_ptr 1
		.amdhsa_user_sgpr_dispatch_id 0
		.amdhsa_user_sgpr_kernarg_preload_length 0
		.amdhsa_user_sgpr_kernarg_preload_offset 0
		.amdhsa_user_sgpr_private_segment_size 0
		.amdhsa_wavefront_size32 1
		.amdhsa_uses_dynamic_stack 0
		.amdhsa_enable_private_segment 0
		.amdhsa_system_sgpr_workgroup_id_x 1
		.amdhsa_system_sgpr_workgroup_id_y 0
		.amdhsa_system_sgpr_workgroup_id_z 0
		.amdhsa_system_sgpr_workgroup_info 0
		.amdhsa_system_vgpr_workitem_id 0
		.amdhsa_next_free_vgpr 18
		.amdhsa_next_free_sgpr 23
		.amdhsa_named_barrier_count 0
		.amdhsa_reserve_vcc 1
		.amdhsa_float_round_mode_32 0
		.amdhsa_float_round_mode_16_64 0
		.amdhsa_float_denorm_mode_32 3
		.amdhsa_float_denorm_mode_16_64 3
		.amdhsa_fp16_overflow 0
		.amdhsa_memory_ordered 1
		.amdhsa_forward_progress 1
		.amdhsa_inst_pref_size 7
		.amdhsa_round_robin_scheduling 0
		.amdhsa_exception_fp_ieee_invalid_op 0
		.amdhsa_exception_fp_denorm_src 0
		.amdhsa_exception_fp_ieee_div_zero 0
		.amdhsa_exception_fp_ieee_overflow 0
		.amdhsa_exception_fp_ieee_underflow 0
		.amdhsa_exception_fp_ieee_inexact 0
		.amdhsa_exception_int_div_zero 0
	.end_amdhsa_kernel
	.section	.text._ZN9rocsparseL21csrmvn_general_kernelILj256ELj16EliDF16_DF16_ffEEvbT2_NS_24const_host_device_scalarIT6_EEPKT1_S7_PKS1_PKT3_PKT4_S4_PT5_21rocsparse_index_base_b,"axG",@progbits,_ZN9rocsparseL21csrmvn_general_kernelILj256ELj16EliDF16_DF16_ffEEvbT2_NS_24const_host_device_scalarIT6_EEPKT1_S7_PKS1_PKT3_PKT4_S4_PT5_21rocsparse_index_base_b,comdat
.Lfunc_end212:
	.size	_ZN9rocsparseL21csrmvn_general_kernelILj256ELj16EliDF16_DF16_ffEEvbT2_NS_24const_host_device_scalarIT6_EEPKT1_S7_PKS1_PKT3_PKT4_S4_PT5_21rocsparse_index_base_b, .Lfunc_end212-_ZN9rocsparseL21csrmvn_general_kernelILj256ELj16EliDF16_DF16_ffEEvbT2_NS_24const_host_device_scalarIT6_EEPKT1_S7_PKS1_PKT3_PKT4_S4_PT5_21rocsparse_index_base_b
                                        ; -- End function
	.set _ZN9rocsparseL21csrmvn_general_kernelILj256ELj16EliDF16_DF16_ffEEvbT2_NS_24const_host_device_scalarIT6_EEPKT1_S7_PKS1_PKT3_PKT4_S4_PT5_21rocsparse_index_base_b.num_vgpr, 18
	.set _ZN9rocsparseL21csrmvn_general_kernelILj256ELj16EliDF16_DF16_ffEEvbT2_NS_24const_host_device_scalarIT6_EEPKT1_S7_PKS1_PKT3_PKT4_S4_PT5_21rocsparse_index_base_b.num_agpr, 0
	.set _ZN9rocsparseL21csrmvn_general_kernelILj256ELj16EliDF16_DF16_ffEEvbT2_NS_24const_host_device_scalarIT6_EEPKT1_S7_PKS1_PKT3_PKT4_S4_PT5_21rocsparse_index_base_b.numbered_sgpr, 23
	.set _ZN9rocsparseL21csrmvn_general_kernelILj256ELj16EliDF16_DF16_ffEEvbT2_NS_24const_host_device_scalarIT6_EEPKT1_S7_PKS1_PKT3_PKT4_S4_PT5_21rocsparse_index_base_b.num_named_barrier, 0
	.set _ZN9rocsparseL21csrmvn_general_kernelILj256ELj16EliDF16_DF16_ffEEvbT2_NS_24const_host_device_scalarIT6_EEPKT1_S7_PKS1_PKT3_PKT4_S4_PT5_21rocsparse_index_base_b.private_seg_size, 0
	.set _ZN9rocsparseL21csrmvn_general_kernelILj256ELj16EliDF16_DF16_ffEEvbT2_NS_24const_host_device_scalarIT6_EEPKT1_S7_PKS1_PKT3_PKT4_S4_PT5_21rocsparse_index_base_b.uses_vcc, 1
	.set _ZN9rocsparseL21csrmvn_general_kernelILj256ELj16EliDF16_DF16_ffEEvbT2_NS_24const_host_device_scalarIT6_EEPKT1_S7_PKS1_PKT3_PKT4_S4_PT5_21rocsparse_index_base_b.uses_flat_scratch, 0
	.set _ZN9rocsparseL21csrmvn_general_kernelILj256ELj16EliDF16_DF16_ffEEvbT2_NS_24const_host_device_scalarIT6_EEPKT1_S7_PKS1_PKT3_PKT4_S4_PT5_21rocsparse_index_base_b.has_dyn_sized_stack, 0
	.set _ZN9rocsparseL21csrmvn_general_kernelILj256ELj16EliDF16_DF16_ffEEvbT2_NS_24const_host_device_scalarIT6_EEPKT1_S7_PKS1_PKT3_PKT4_S4_PT5_21rocsparse_index_base_b.has_recursion, 0
	.set _ZN9rocsparseL21csrmvn_general_kernelILj256ELj16EliDF16_DF16_ffEEvbT2_NS_24const_host_device_scalarIT6_EEPKT1_S7_PKS1_PKT3_PKT4_S4_PT5_21rocsparse_index_base_b.has_indirect_call, 0
	.section	.AMDGPU.csdata,"",@progbits
; Kernel info:
; codeLenInByte = 784
; TotalNumSgprs: 25
; NumVgprs: 18
; ScratchSize: 0
; MemoryBound: 0
; FloatMode: 240
; IeeeMode: 1
; LDSByteSize: 0 bytes/workgroup (compile time only)
; SGPRBlocks: 0
; VGPRBlocks: 1
; NumSGPRsForWavesPerEU: 25
; NumVGPRsForWavesPerEU: 18
; NamedBarCnt: 0
; Occupancy: 16
; WaveLimiterHint : 1
; COMPUTE_PGM_RSRC2:SCRATCH_EN: 0
; COMPUTE_PGM_RSRC2:USER_SGPR: 2
; COMPUTE_PGM_RSRC2:TRAP_HANDLER: 0
; COMPUTE_PGM_RSRC2:TGID_X_EN: 1
; COMPUTE_PGM_RSRC2:TGID_Y_EN: 0
; COMPUTE_PGM_RSRC2:TGID_Z_EN: 0
; COMPUTE_PGM_RSRC2:TIDIG_COMP_CNT: 0
	.section	.text._ZN9rocsparseL21csrmvn_general_kernelILj256ELj32EliDF16_DF16_ffEEvbT2_NS_24const_host_device_scalarIT6_EEPKT1_S7_PKS1_PKT3_PKT4_S4_PT5_21rocsparse_index_base_b,"axG",@progbits,_ZN9rocsparseL21csrmvn_general_kernelILj256ELj32EliDF16_DF16_ffEEvbT2_NS_24const_host_device_scalarIT6_EEPKT1_S7_PKS1_PKT3_PKT4_S4_PT5_21rocsparse_index_base_b,comdat
	.globl	_ZN9rocsparseL21csrmvn_general_kernelILj256ELj32EliDF16_DF16_ffEEvbT2_NS_24const_host_device_scalarIT6_EEPKT1_S7_PKS1_PKT3_PKT4_S4_PT5_21rocsparse_index_base_b ; -- Begin function _ZN9rocsparseL21csrmvn_general_kernelILj256ELj32EliDF16_DF16_ffEEvbT2_NS_24const_host_device_scalarIT6_EEPKT1_S7_PKS1_PKT3_PKT4_S4_PT5_21rocsparse_index_base_b
	.p2align	8
	.type	_ZN9rocsparseL21csrmvn_general_kernelILj256ELj32EliDF16_DF16_ffEEvbT2_NS_24const_host_device_scalarIT6_EEPKT1_S7_PKS1_PKT3_PKT4_S4_PT5_21rocsparse_index_base_b,@function
_ZN9rocsparseL21csrmvn_general_kernelILj256ELj32EliDF16_DF16_ffEEvbT2_NS_24const_host_device_scalarIT6_EEPKT1_S7_PKS1_PKT3_PKT4_S4_PT5_21rocsparse_index_base_b: ; @_ZN9rocsparseL21csrmvn_general_kernelILj256ELj32EliDF16_DF16_ffEEvbT2_NS_24const_host_device_scalarIT6_EEPKT1_S7_PKS1_PKT3_PKT4_S4_PT5_21rocsparse_index_base_b
; %bb.0:
	s_clause 0x2
	s_load_b64 s[2:3], s[0:1], 0x48
	s_load_b128 s[12:15], s[0:1], 0x8
	s_load_b64 s[16:17], s[0:1], 0x38
	s_wait_kmcnt 0x0
	s_bitcmp1_b32 s3, 0
	s_cselect_b32 s3, -1, 0
	s_delay_alu instid0(SALU_CYCLE_1)
	s_and_b32 vcc_lo, exec_lo, s3
	s_xor_b32 s3, s3, -1
	s_cbranch_vccnz .LBB213_2
; %bb.1:
	s_load_b32 s12, s[12:13], 0x0
.LBB213_2:
	s_and_not1_b32 vcc_lo, exec_lo, s3
	s_cbranch_vccnz .LBB213_4
; %bb.3:
	s_load_b32 s16, s[16:17], 0x0
.LBB213_4:
	s_wait_kmcnt 0x0
	s_cmp_neq_f32 s12, 0
	s_cselect_b32 s3, -1, 0
	s_cmp_neq_f32 s16, 1.0
	s_cselect_b32 s4, -1, 0
	s_delay_alu instid0(SALU_CYCLE_1) | instskip(NEXT) | instid1(SALU_CYCLE_1)
	s_or_b32 s3, s3, s4
	s_and_not1_b32 vcc_lo, exec_lo, s3
	s_cbranch_vccnz .LBB213_16
; %bb.5:
	s_bfe_u32 s3, ttmp6, 0x4000c
	s_load_b32 s13, s[0:1], 0x4
	s_add_co_i32 s3, s3, 1
	s_and_b32 s4, ttmp6, 15
	s_mul_i32 s3, ttmp9, s3
	s_getreg_b32 s5, hwreg(HW_REG_IB_STS2, 6, 4)
	s_add_co_i32 s4, s4, s3
	s_cmp_eq_u32 s5, 0
	s_cselect_b32 s3, ttmp9, s4
	s_delay_alu instid0(SALU_CYCLE_1) | instskip(SKIP_1) | instid1(VALU_DEP_1)
	v_lshl_or_b32 v1, s3, 8, v0
	s_mov_b32 s3, exec_lo
	v_lshrrev_b32_e32 v2, 5, v1
	s_wait_kmcnt 0x0
	s_delay_alu instid0(VALU_DEP_1)
	v_cmpx_gt_i32_e64 s13, v2
	s_cbranch_execz .LBB213_16
; %bb.6:
	v_mbcnt_lo_u32_b32 v3, -1, 0
	v_dual_mov_b32 v5, 0 :: v_dual_bitop2_b32 v4, 31, v0 bitop3:0x40
	s_mov_b32 s3, 0
	s_clause 0x2
	s_load_b32 s17, s[0:1], 0x50
	s_load_b64 s[18:19], s[0:1], 0x40
	s_load_b256 s[4:11], s[0:1], 0x18
	s_wait_xcnt 0x0
	s_ashr_i32 s1, s2, 31
	s_mov_b32 s0, s2
	v_sub_nc_u64_e64 v[0:1], v[4:5], s[2:3]
	v_xor_b32_e32 v5, 8, v3
	v_xor_b32_e32 v6, 16, v3
	s_lshl_b64 s[20:21], s[0:1], 1
	v_cmp_eq_u32_e64 s0, 31, v4
	s_delay_alu instid0(VALU_DEP_2)
	v_cmp_gt_i32_e32 vcc_lo, 32, v6
	v_dual_cndmask_b32 v6, v3, v6, vcc_lo :: v_dual_bitop2_b32 v7, 4, v3 bitop3:0x14
	v_cmp_gt_i32_e32 vcc_lo, 32, v5
	s_wait_kmcnt 0x0
	s_lshl_b32 s1, s17, 3
	s_cmp_neq_f32 s16, 0
	v_dual_lshlrev_b32 v12, 2, v6 :: v_dual_bitop2_b32 v6, 1, v3 bitop3:0x14
	v_dual_cndmask_b32 v5, v3, v5, vcc_lo :: v_dual_bitop2_b32 v8, 2, v3 bitop3:0x14
	v_cmp_gt_i32_e32 vcc_lo, 32, v7
	s_cselect_b32 s17, -1, 0
	s_sub_nc_u64 s[10:11], s[10:11], s[20:21]
	s_mov_b32 s20, s3
	v_dual_lshlrev_b32 v13, 2, v5 :: v_dual_cndmask_b32 v7, v3, v7, vcc_lo
	v_cmp_gt_i32_e32 vcc_lo, 32, v8
	v_cndmask_b32_e32 v8, v3, v8, vcc_lo
	v_cmp_gt_i32_e32 vcc_lo, 32, v6
	s_delay_alu instid0(VALU_DEP_2) | instskip(SKIP_1) | instid1(VALU_DEP_1)
	v_dual_lshlrev_b32 v14, 2, v7 :: v_dual_lshlrev_b32 v15, 2, v8
	v_cndmask_b32_e32 v3, v3, v6, vcc_lo
	v_lshlrev_b32_e32 v16, 2, v3
	s_branch .LBB213_9
.LBB213_7:                              ;   in Loop: Header=BB213_9 Depth=1
	global_store_b32 v[4:5], v6, off
.LBB213_8:                              ;   in Loop: Header=BB213_9 Depth=1
	s_wait_xcnt 0x0
	s_or_b32 exec_lo, exec_lo, s21
	v_add_nc_u32_e32 v2, s1, v2
	s_delay_alu instid0(VALU_DEP_1) | instskip(SKIP_1) | instid1(SALU_CYCLE_1)
	v_cmp_le_i32_e32 vcc_lo, s13, v2
	s_or_b32 s20, vcc_lo, s20
	s_and_not1_b32 exec_lo, exec_lo, s20
	s_cbranch_execz .LBB213_16
.LBB213_9:                              ; =>This Loop Header: Depth=1
                                        ;     Child Loop BB213_11 Depth 2
	s_wait_dscnt 0x0
	s_clause 0x1
	global_load_b64 v[4:5], v2, s[4:5] scale_offset
	global_load_b64 v[6:7], v2, s[14:15] scale_offset
	v_mov_b32_e32 v17, 0
	s_mov_b32 s21, exec_lo
	s_wait_loadcnt 0x1
	v_sub_nc_u64_e64 v[4:5], v[4:5], s[2:3]
	s_wait_loadcnt 0x0
	v_add_nc_u64_e32 v[6:7], v[6:7], v[0:1]
	s_wait_xcnt 0x0
	s_delay_alu instid0(VALU_DEP_1)
	v_cmpx_lt_i64_e64 v[6:7], v[4:5]
	s_cbranch_execz .LBB213_13
; %bb.10:                               ;   in Loop: Header=BB213_9 Depth=1
	v_lshl_add_u64 v[8:9], v[6:7], 1, s[8:9]
	v_lshl_add_u64 v[10:11], v[6:7], 2, s[6:7]
	v_mov_b32_e32 v17, 0
	s_mov_b32 s22, 0
.LBB213_11:                             ;   Parent Loop BB213_9 Depth=1
                                        ; =>  This Inner Loop Header: Depth=2
	global_load_b32 v3, v[10:11], off
	global_load_u16 v18, v[8:9], off
	v_add_nc_u64_e32 v[6:7], 32, v[6:7]
	s_wait_xcnt 0x0
	v_add_nc_u64_e32 v[8:9], 64, v[8:9]
	v_add_nc_u64_e32 v[10:11], 0x80, v[10:11]
	s_delay_alu instid0(VALU_DEP_3)
	v_cmp_ge_i64_e32 vcc_lo, v[6:7], v[4:5]
	s_or_b32 s22, vcc_lo, s22
	s_wait_loadcnt 0x1
	global_load_u16 v3, v3, s[10:11] scale_offset
	s_wait_loadcnt 0x1
	v_cvt_f32_f16_e32 v18, v18
	s_delay_alu instid0(VALU_DEP_1) | instskip(SKIP_1) | instid1(VALU_DEP_1)
	v_mul_f32_e32 v18, s12, v18
	s_wait_loadcnt 0x0
	v_fma_mix_f32 v17, v18, v3, v17 op_sel_hi:[0,1,0]
	s_wait_xcnt 0x0
	s_and_not1_b32 exec_lo, exec_lo, s22
	s_cbranch_execnz .LBB213_11
; %bb.12:                               ;   in Loop: Header=BB213_9 Depth=1
	s_or_b32 exec_lo, exec_lo, s22
.LBB213_13:                             ;   in Loop: Header=BB213_9 Depth=1
	s_delay_alu instid0(SALU_CYCLE_1)
	s_or_b32 exec_lo, exec_lo, s21
	ds_bpermute_b32 v4, v12, v17
	s_wait_dscnt 0x0
	v_dual_add_f32 v4, v17, v4 :: v_dual_ashrrev_i32 v3, 31, v2
	ds_bpermute_b32 v5, v13, v4
	s_wait_dscnt 0x0
	v_add_f32_e32 v4, v4, v5
	ds_bpermute_b32 v5, v14, v4
	s_wait_dscnt 0x0
	v_add_f32_e32 v4, v4, v5
	;; [unrolled: 3-line block ×3, first 2 shown]
	ds_bpermute_b32 v5, v16, v4
	s_and_saveexec_b32 s21, s0
	s_cbranch_execz .LBB213_8
; %bb.14:                               ;   in Loop: Header=BB213_9 Depth=1
	s_wait_dscnt 0x0
	v_add_f32_e32 v6, v4, v5
	v_lshl_add_u64 v[4:5], v[2:3], 2, s[18:19]
	s_and_not1_b32 vcc_lo, exec_lo, s17
	s_cbranch_vccnz .LBB213_7
; %bb.15:                               ;   in Loop: Header=BB213_9 Depth=1
	global_load_b32 v3, v[4:5], off
	s_wait_loadcnt 0x0
	v_fmac_f32_e32 v6, s16, v3
	s_branch .LBB213_7
.LBB213_16:
	s_endpgm
	.section	.rodata,"a",@progbits
	.p2align	6, 0x0
	.amdhsa_kernel _ZN9rocsparseL21csrmvn_general_kernelILj256ELj32EliDF16_DF16_ffEEvbT2_NS_24const_host_device_scalarIT6_EEPKT1_S7_PKS1_PKT3_PKT4_S4_PT5_21rocsparse_index_base_b
		.amdhsa_group_segment_fixed_size 0
		.amdhsa_private_segment_fixed_size 0
		.amdhsa_kernarg_size 336
		.amdhsa_user_sgpr_count 2
		.amdhsa_user_sgpr_dispatch_ptr 0
		.amdhsa_user_sgpr_queue_ptr 0
		.amdhsa_user_sgpr_kernarg_segment_ptr 1
		.amdhsa_user_sgpr_dispatch_id 0
		.amdhsa_user_sgpr_kernarg_preload_length 0
		.amdhsa_user_sgpr_kernarg_preload_offset 0
		.amdhsa_user_sgpr_private_segment_size 0
		.amdhsa_wavefront_size32 1
		.amdhsa_uses_dynamic_stack 0
		.amdhsa_enable_private_segment 0
		.amdhsa_system_sgpr_workgroup_id_x 1
		.amdhsa_system_sgpr_workgroup_id_y 0
		.amdhsa_system_sgpr_workgroup_id_z 0
		.amdhsa_system_sgpr_workgroup_info 0
		.amdhsa_system_vgpr_workitem_id 0
		.amdhsa_next_free_vgpr 19
		.amdhsa_next_free_sgpr 23
		.amdhsa_named_barrier_count 0
		.amdhsa_reserve_vcc 1
		.amdhsa_float_round_mode_32 0
		.amdhsa_float_round_mode_16_64 0
		.amdhsa_float_denorm_mode_32 3
		.amdhsa_float_denorm_mode_16_64 3
		.amdhsa_fp16_overflow 0
		.amdhsa_memory_ordered 1
		.amdhsa_forward_progress 1
		.amdhsa_inst_pref_size 7
		.amdhsa_round_robin_scheduling 0
		.amdhsa_exception_fp_ieee_invalid_op 0
		.amdhsa_exception_fp_denorm_src 0
		.amdhsa_exception_fp_ieee_div_zero 0
		.amdhsa_exception_fp_ieee_overflow 0
		.amdhsa_exception_fp_ieee_underflow 0
		.amdhsa_exception_fp_ieee_inexact 0
		.amdhsa_exception_int_div_zero 0
	.end_amdhsa_kernel
	.section	.text._ZN9rocsparseL21csrmvn_general_kernelILj256ELj32EliDF16_DF16_ffEEvbT2_NS_24const_host_device_scalarIT6_EEPKT1_S7_PKS1_PKT3_PKT4_S4_PT5_21rocsparse_index_base_b,"axG",@progbits,_ZN9rocsparseL21csrmvn_general_kernelILj256ELj32EliDF16_DF16_ffEEvbT2_NS_24const_host_device_scalarIT6_EEPKT1_S7_PKS1_PKT3_PKT4_S4_PT5_21rocsparse_index_base_b,comdat
.Lfunc_end213:
	.size	_ZN9rocsparseL21csrmvn_general_kernelILj256ELj32EliDF16_DF16_ffEEvbT2_NS_24const_host_device_scalarIT6_EEPKT1_S7_PKS1_PKT3_PKT4_S4_PT5_21rocsparse_index_base_b, .Lfunc_end213-_ZN9rocsparseL21csrmvn_general_kernelILj256ELj32EliDF16_DF16_ffEEvbT2_NS_24const_host_device_scalarIT6_EEPKT1_S7_PKS1_PKT3_PKT4_S4_PT5_21rocsparse_index_base_b
                                        ; -- End function
	.set _ZN9rocsparseL21csrmvn_general_kernelILj256ELj32EliDF16_DF16_ffEEvbT2_NS_24const_host_device_scalarIT6_EEPKT1_S7_PKS1_PKT3_PKT4_S4_PT5_21rocsparse_index_base_b.num_vgpr, 19
	.set _ZN9rocsparseL21csrmvn_general_kernelILj256ELj32EliDF16_DF16_ffEEvbT2_NS_24const_host_device_scalarIT6_EEPKT1_S7_PKS1_PKT3_PKT4_S4_PT5_21rocsparse_index_base_b.num_agpr, 0
	.set _ZN9rocsparseL21csrmvn_general_kernelILj256ELj32EliDF16_DF16_ffEEvbT2_NS_24const_host_device_scalarIT6_EEPKT1_S7_PKS1_PKT3_PKT4_S4_PT5_21rocsparse_index_base_b.numbered_sgpr, 23
	.set _ZN9rocsparseL21csrmvn_general_kernelILj256ELj32EliDF16_DF16_ffEEvbT2_NS_24const_host_device_scalarIT6_EEPKT1_S7_PKS1_PKT3_PKT4_S4_PT5_21rocsparse_index_base_b.num_named_barrier, 0
	.set _ZN9rocsparseL21csrmvn_general_kernelILj256ELj32EliDF16_DF16_ffEEvbT2_NS_24const_host_device_scalarIT6_EEPKT1_S7_PKS1_PKT3_PKT4_S4_PT5_21rocsparse_index_base_b.private_seg_size, 0
	.set _ZN9rocsparseL21csrmvn_general_kernelILj256ELj32EliDF16_DF16_ffEEvbT2_NS_24const_host_device_scalarIT6_EEPKT1_S7_PKS1_PKT3_PKT4_S4_PT5_21rocsparse_index_base_b.uses_vcc, 1
	.set _ZN9rocsparseL21csrmvn_general_kernelILj256ELj32EliDF16_DF16_ffEEvbT2_NS_24const_host_device_scalarIT6_EEPKT1_S7_PKS1_PKT3_PKT4_S4_PT5_21rocsparse_index_base_b.uses_flat_scratch, 0
	.set _ZN9rocsparseL21csrmvn_general_kernelILj256ELj32EliDF16_DF16_ffEEvbT2_NS_24const_host_device_scalarIT6_EEPKT1_S7_PKS1_PKT3_PKT4_S4_PT5_21rocsparse_index_base_b.has_dyn_sized_stack, 0
	.set _ZN9rocsparseL21csrmvn_general_kernelILj256ELj32EliDF16_DF16_ffEEvbT2_NS_24const_host_device_scalarIT6_EEPKT1_S7_PKS1_PKT3_PKT4_S4_PT5_21rocsparse_index_base_b.has_recursion, 0
	.set _ZN9rocsparseL21csrmvn_general_kernelILj256ELj32EliDF16_DF16_ffEEvbT2_NS_24const_host_device_scalarIT6_EEPKT1_S7_PKS1_PKT3_PKT4_S4_PT5_21rocsparse_index_base_b.has_indirect_call, 0
	.section	.AMDGPU.csdata,"",@progbits
; Kernel info:
; codeLenInByte = 828
; TotalNumSgprs: 25
; NumVgprs: 19
; ScratchSize: 0
; MemoryBound: 0
; FloatMode: 240
; IeeeMode: 1
; LDSByteSize: 0 bytes/workgroup (compile time only)
; SGPRBlocks: 0
; VGPRBlocks: 1
; NumSGPRsForWavesPerEU: 25
; NumVGPRsForWavesPerEU: 19
; NamedBarCnt: 0
; Occupancy: 16
; WaveLimiterHint : 1
; COMPUTE_PGM_RSRC2:SCRATCH_EN: 0
; COMPUTE_PGM_RSRC2:USER_SGPR: 2
; COMPUTE_PGM_RSRC2:TRAP_HANDLER: 0
; COMPUTE_PGM_RSRC2:TGID_X_EN: 1
; COMPUTE_PGM_RSRC2:TGID_Y_EN: 0
; COMPUTE_PGM_RSRC2:TGID_Z_EN: 0
; COMPUTE_PGM_RSRC2:TIDIG_COMP_CNT: 0
	.section	.text._ZN9rocsparseL21csrmvn_general_kernelILj256ELj64EliDF16_DF16_ffEEvbT2_NS_24const_host_device_scalarIT6_EEPKT1_S7_PKS1_PKT3_PKT4_S4_PT5_21rocsparse_index_base_b,"axG",@progbits,_ZN9rocsparseL21csrmvn_general_kernelILj256ELj64EliDF16_DF16_ffEEvbT2_NS_24const_host_device_scalarIT6_EEPKT1_S7_PKS1_PKT3_PKT4_S4_PT5_21rocsparse_index_base_b,comdat
	.globl	_ZN9rocsparseL21csrmvn_general_kernelILj256ELj64EliDF16_DF16_ffEEvbT2_NS_24const_host_device_scalarIT6_EEPKT1_S7_PKS1_PKT3_PKT4_S4_PT5_21rocsparse_index_base_b ; -- Begin function _ZN9rocsparseL21csrmvn_general_kernelILj256ELj64EliDF16_DF16_ffEEvbT2_NS_24const_host_device_scalarIT6_EEPKT1_S7_PKS1_PKT3_PKT4_S4_PT5_21rocsparse_index_base_b
	.p2align	8
	.type	_ZN9rocsparseL21csrmvn_general_kernelILj256ELj64EliDF16_DF16_ffEEvbT2_NS_24const_host_device_scalarIT6_EEPKT1_S7_PKS1_PKT3_PKT4_S4_PT5_21rocsparse_index_base_b,@function
_ZN9rocsparseL21csrmvn_general_kernelILj256ELj64EliDF16_DF16_ffEEvbT2_NS_24const_host_device_scalarIT6_EEPKT1_S7_PKS1_PKT3_PKT4_S4_PT5_21rocsparse_index_base_b: ; @_ZN9rocsparseL21csrmvn_general_kernelILj256ELj64EliDF16_DF16_ffEEvbT2_NS_24const_host_device_scalarIT6_EEPKT1_S7_PKS1_PKT3_PKT4_S4_PT5_21rocsparse_index_base_b
; %bb.0:
	s_clause 0x2
	s_load_b64 s[2:3], s[0:1], 0x48
	s_load_b128 s[12:15], s[0:1], 0x8
	s_load_b64 s[16:17], s[0:1], 0x38
	s_wait_kmcnt 0x0
	s_bitcmp1_b32 s3, 0
	s_cselect_b32 s3, -1, 0
	s_delay_alu instid0(SALU_CYCLE_1)
	s_and_b32 vcc_lo, exec_lo, s3
	s_xor_b32 s3, s3, -1
	s_cbranch_vccnz .LBB214_2
; %bb.1:
	s_load_b32 s12, s[12:13], 0x0
.LBB214_2:
	s_and_not1_b32 vcc_lo, exec_lo, s3
	s_cbranch_vccnz .LBB214_4
; %bb.3:
	s_load_b32 s16, s[16:17], 0x0
.LBB214_4:
	s_wait_kmcnt 0x0
	s_cmp_neq_f32 s12, 0
	s_cselect_b32 s3, -1, 0
	s_cmp_neq_f32 s16, 1.0
	s_cselect_b32 s4, -1, 0
	s_delay_alu instid0(SALU_CYCLE_1) | instskip(NEXT) | instid1(SALU_CYCLE_1)
	s_or_b32 s3, s3, s4
	s_and_not1_b32 vcc_lo, exec_lo, s3
	s_cbranch_vccnz .LBB214_16
; %bb.5:
	s_bfe_u32 s3, ttmp6, 0x4000c
	s_load_b32 s13, s[0:1], 0x4
	s_add_co_i32 s3, s3, 1
	s_and_b32 s4, ttmp6, 15
	s_mul_i32 s3, ttmp9, s3
	s_getreg_b32 s5, hwreg(HW_REG_IB_STS2, 6, 4)
	s_add_co_i32 s4, s4, s3
	s_cmp_eq_u32 s5, 0
	s_cselect_b32 s3, ttmp9, s4
	s_delay_alu instid0(SALU_CYCLE_1) | instskip(SKIP_1) | instid1(VALU_DEP_1)
	v_lshl_or_b32 v1, s3, 8, v0
	s_mov_b32 s3, exec_lo
	v_lshrrev_b32_e32 v2, 6, v1
	s_wait_kmcnt 0x0
	s_delay_alu instid0(VALU_DEP_1)
	v_cmpx_gt_i32_e64 s13, v2
	s_cbranch_execz .LBB214_16
; %bb.6:
	v_mbcnt_lo_u32_b32 v3, -1, 0
	v_dual_mov_b32 v5, 0 :: v_dual_bitop2_b32 v4, 63, v0 bitop3:0x40
	s_mov_b32 s3, 0
	s_load_b32 s17, s[0:1], 0x50
	s_delay_alu instid0(VALU_DEP_2)
	v_xor_b32_e32 v1, 16, v3
	v_or_b32_e32 v0, 32, v3
	s_clause 0x1
	s_load_b64 s[18:19], s[0:1], 0x40
	s_load_b256 s[4:11], s[0:1], 0x18
	s_wait_xcnt 0x0
	s_ashr_i32 s1, s2, 31
	s_mov_b32 s0, s2
	v_cmp_gt_i32_e32 vcc_lo, 32, v0
	s_lshl_b64 s[20:21], s[0:1], 1
	v_cmp_eq_u32_e64 s0, 63, v4
	v_cndmask_b32_e32 v6, v3, v0, vcc_lo
	v_cmp_gt_i32_e32 vcc_lo, 32, v1
	s_delay_alu instid0(VALU_DEP_2)
	v_dual_cndmask_b32 v7, v3, v1 :: v_dual_lshlrev_b32 v12, 2, v6
	v_sub_nc_u64_e64 v[0:1], v[4:5], s[2:3]
	v_xor_b32_e32 v5, 8, v3
	s_wait_kmcnt 0x0
	s_lshl_b32 s1, s17, 2
	s_cmp_neq_f32 s16, 0
	s_sub_nc_u64 s[10:11], s[10:11], s[20:21]
	s_mov_b32 s20, s3
	v_cmp_gt_i32_e32 vcc_lo, 32, v5
	v_lshlrev_b32_e32 v13, 2, v7
	s_cselect_b32 s17, -1, 0
	v_dual_cndmask_b32 v5, v3, v5, vcc_lo :: v_dual_bitop2_b32 v8, 1, v3 bitop3:0x14
	s_delay_alu instid0(VALU_DEP_1) | instskip(NEXT) | instid1(VALU_DEP_1)
	v_dual_lshlrev_b32 v14, 2, v5 :: v_dual_bitop2_b32 v6, 4, v3 bitop3:0x14
	v_cmp_gt_i32_e32 vcc_lo, 32, v6
	v_dual_cndmask_b32 v6, v3, v6, vcc_lo :: v_dual_bitop2_b32 v7, 2, v3 bitop3:0x14
	s_delay_alu instid0(VALU_DEP_1) | instskip(NEXT) | instid1(VALU_DEP_2)
	v_cmp_gt_i32_e32 vcc_lo, 32, v7
	v_dual_lshlrev_b32 v15, 2, v6 :: v_dual_cndmask_b32 v7, v3, v7, vcc_lo
	v_cmp_gt_i32_e32 vcc_lo, 32, v8
	s_delay_alu instid0(VALU_DEP_2) | instskip(NEXT) | instid1(VALU_DEP_1)
	v_dual_cndmask_b32 v3, v3, v8 :: v_dual_lshlrev_b32 v16, 2, v7
	v_lshlrev_b32_e32 v17, 2, v3
	s_branch .LBB214_9
.LBB214_7:                              ;   in Loop: Header=BB214_9 Depth=1
	global_store_b32 v[4:5], v6, off
.LBB214_8:                              ;   in Loop: Header=BB214_9 Depth=1
	s_wait_xcnt 0x0
	s_or_b32 exec_lo, exec_lo, s21
	v_add_nc_u32_e32 v2, s1, v2
	s_delay_alu instid0(VALU_DEP_1) | instskip(SKIP_1) | instid1(SALU_CYCLE_1)
	v_cmp_le_i32_e32 vcc_lo, s13, v2
	s_or_b32 s20, vcc_lo, s20
	s_and_not1_b32 exec_lo, exec_lo, s20
	s_cbranch_execz .LBB214_16
.LBB214_9:                              ; =>This Loop Header: Depth=1
                                        ;     Child Loop BB214_11 Depth 2
	s_wait_dscnt 0x0
	s_clause 0x1
	global_load_b64 v[4:5], v2, s[4:5] scale_offset
	global_load_b64 v[6:7], v2, s[14:15] scale_offset
	v_mov_b32_e32 v18, 0
	s_mov_b32 s21, exec_lo
	s_wait_loadcnt 0x1
	v_sub_nc_u64_e64 v[4:5], v[4:5], s[2:3]
	s_wait_loadcnt 0x0
	v_add_nc_u64_e32 v[6:7], v[6:7], v[0:1]
	s_wait_xcnt 0x0
	s_delay_alu instid0(VALU_DEP_1)
	v_cmpx_lt_i64_e64 v[6:7], v[4:5]
	s_cbranch_execz .LBB214_13
; %bb.10:                               ;   in Loop: Header=BB214_9 Depth=1
	v_lshl_add_u64 v[8:9], v[6:7], 1, s[8:9]
	v_lshl_add_u64 v[10:11], v[6:7], 2, s[6:7]
	v_mov_b32_e32 v18, 0
	s_mov_b32 s22, 0
.LBB214_11:                             ;   Parent Loop BB214_9 Depth=1
                                        ; =>  This Inner Loop Header: Depth=2
	global_load_b32 v3, v[10:11], off
	global_load_u16 v19, v[8:9], off
	v_add_nc_u64_e32 v[6:7], 64, v[6:7]
	s_wait_xcnt 0x0
	v_add_nc_u64_e32 v[8:9], 0x80, v[8:9]
	v_add_nc_u64_e32 v[10:11], 0x100, v[10:11]
	s_delay_alu instid0(VALU_DEP_3)
	v_cmp_ge_i64_e32 vcc_lo, v[6:7], v[4:5]
	s_or_b32 s22, vcc_lo, s22
	s_wait_loadcnt 0x1
	global_load_u16 v3, v3, s[10:11] scale_offset
	s_wait_loadcnt 0x1
	v_cvt_f32_f16_e32 v19, v19
	s_delay_alu instid0(VALU_DEP_1) | instskip(SKIP_1) | instid1(VALU_DEP_1)
	v_mul_f32_e32 v19, s12, v19
	s_wait_loadcnt 0x0
	v_fma_mix_f32 v18, v19, v3, v18 op_sel_hi:[0,1,0]
	s_wait_xcnt 0x0
	s_and_not1_b32 exec_lo, exec_lo, s22
	s_cbranch_execnz .LBB214_11
; %bb.12:                               ;   in Loop: Header=BB214_9 Depth=1
	s_or_b32 exec_lo, exec_lo, s22
.LBB214_13:                             ;   in Loop: Header=BB214_9 Depth=1
	s_delay_alu instid0(SALU_CYCLE_1)
	s_or_b32 exec_lo, exec_lo, s21
	ds_bpermute_b32 v4, v12, v18
	s_wait_dscnt 0x0
	v_dual_add_f32 v4, v18, v4 :: v_dual_ashrrev_i32 v3, 31, v2
	ds_bpermute_b32 v5, v13, v4
	s_wait_dscnt 0x0
	v_add_f32_e32 v4, v4, v5
	ds_bpermute_b32 v5, v14, v4
	s_wait_dscnt 0x0
	v_add_f32_e32 v4, v4, v5
	;; [unrolled: 3-line block ×4, first 2 shown]
	ds_bpermute_b32 v5, v17, v4
	s_and_saveexec_b32 s21, s0
	s_cbranch_execz .LBB214_8
; %bb.14:                               ;   in Loop: Header=BB214_9 Depth=1
	s_wait_dscnt 0x0
	v_add_f32_e32 v6, v4, v5
	v_lshl_add_u64 v[4:5], v[2:3], 2, s[18:19]
	s_and_not1_b32 vcc_lo, exec_lo, s17
	s_cbranch_vccnz .LBB214_7
; %bb.15:                               ;   in Loop: Header=BB214_9 Depth=1
	global_load_b32 v3, v[4:5], off
	s_wait_loadcnt 0x0
	v_fmac_f32_e32 v6, s16, v3
	s_branch .LBB214_7
.LBB214_16:
	s_endpgm
	.section	.rodata,"a",@progbits
	.p2align	6, 0x0
	.amdhsa_kernel _ZN9rocsparseL21csrmvn_general_kernelILj256ELj64EliDF16_DF16_ffEEvbT2_NS_24const_host_device_scalarIT6_EEPKT1_S7_PKS1_PKT3_PKT4_S4_PT5_21rocsparse_index_base_b
		.amdhsa_group_segment_fixed_size 0
		.amdhsa_private_segment_fixed_size 0
		.amdhsa_kernarg_size 336
		.amdhsa_user_sgpr_count 2
		.amdhsa_user_sgpr_dispatch_ptr 0
		.amdhsa_user_sgpr_queue_ptr 0
		.amdhsa_user_sgpr_kernarg_segment_ptr 1
		.amdhsa_user_sgpr_dispatch_id 0
		.amdhsa_user_sgpr_kernarg_preload_length 0
		.amdhsa_user_sgpr_kernarg_preload_offset 0
		.amdhsa_user_sgpr_private_segment_size 0
		.amdhsa_wavefront_size32 1
		.amdhsa_uses_dynamic_stack 0
		.amdhsa_enable_private_segment 0
		.amdhsa_system_sgpr_workgroup_id_x 1
		.amdhsa_system_sgpr_workgroup_id_y 0
		.amdhsa_system_sgpr_workgroup_id_z 0
		.amdhsa_system_sgpr_workgroup_info 0
		.amdhsa_system_vgpr_workitem_id 0
		.amdhsa_next_free_vgpr 20
		.amdhsa_next_free_sgpr 23
		.amdhsa_named_barrier_count 0
		.amdhsa_reserve_vcc 1
		.amdhsa_float_round_mode_32 0
		.amdhsa_float_round_mode_16_64 0
		.amdhsa_float_denorm_mode_32 3
		.amdhsa_float_denorm_mode_16_64 3
		.amdhsa_fp16_overflow 0
		.amdhsa_memory_ordered 1
		.amdhsa_forward_progress 1
		.amdhsa_inst_pref_size 7
		.amdhsa_round_robin_scheduling 0
		.amdhsa_exception_fp_ieee_invalid_op 0
		.amdhsa_exception_fp_denorm_src 0
		.amdhsa_exception_fp_ieee_div_zero 0
		.amdhsa_exception_fp_ieee_overflow 0
		.amdhsa_exception_fp_ieee_underflow 0
		.amdhsa_exception_fp_ieee_inexact 0
		.amdhsa_exception_int_div_zero 0
	.end_amdhsa_kernel
	.section	.text._ZN9rocsparseL21csrmvn_general_kernelILj256ELj64EliDF16_DF16_ffEEvbT2_NS_24const_host_device_scalarIT6_EEPKT1_S7_PKS1_PKT3_PKT4_S4_PT5_21rocsparse_index_base_b,"axG",@progbits,_ZN9rocsparseL21csrmvn_general_kernelILj256ELj64EliDF16_DF16_ffEEvbT2_NS_24const_host_device_scalarIT6_EEPKT1_S7_PKS1_PKT3_PKT4_S4_PT5_21rocsparse_index_base_b,comdat
.Lfunc_end214:
	.size	_ZN9rocsparseL21csrmvn_general_kernelILj256ELj64EliDF16_DF16_ffEEvbT2_NS_24const_host_device_scalarIT6_EEPKT1_S7_PKS1_PKT3_PKT4_S4_PT5_21rocsparse_index_base_b, .Lfunc_end214-_ZN9rocsparseL21csrmvn_general_kernelILj256ELj64EliDF16_DF16_ffEEvbT2_NS_24const_host_device_scalarIT6_EEPKT1_S7_PKS1_PKT3_PKT4_S4_PT5_21rocsparse_index_base_b
                                        ; -- End function
	.set _ZN9rocsparseL21csrmvn_general_kernelILj256ELj64EliDF16_DF16_ffEEvbT2_NS_24const_host_device_scalarIT6_EEPKT1_S7_PKS1_PKT3_PKT4_S4_PT5_21rocsparse_index_base_b.num_vgpr, 20
	.set _ZN9rocsparseL21csrmvn_general_kernelILj256ELj64EliDF16_DF16_ffEEvbT2_NS_24const_host_device_scalarIT6_EEPKT1_S7_PKS1_PKT3_PKT4_S4_PT5_21rocsparse_index_base_b.num_agpr, 0
	.set _ZN9rocsparseL21csrmvn_general_kernelILj256ELj64EliDF16_DF16_ffEEvbT2_NS_24const_host_device_scalarIT6_EEPKT1_S7_PKS1_PKT3_PKT4_S4_PT5_21rocsparse_index_base_b.numbered_sgpr, 23
	.set _ZN9rocsparseL21csrmvn_general_kernelILj256ELj64EliDF16_DF16_ffEEvbT2_NS_24const_host_device_scalarIT6_EEPKT1_S7_PKS1_PKT3_PKT4_S4_PT5_21rocsparse_index_base_b.num_named_barrier, 0
	.set _ZN9rocsparseL21csrmvn_general_kernelILj256ELj64EliDF16_DF16_ffEEvbT2_NS_24const_host_device_scalarIT6_EEPKT1_S7_PKS1_PKT3_PKT4_S4_PT5_21rocsparse_index_base_b.private_seg_size, 0
	.set _ZN9rocsparseL21csrmvn_general_kernelILj256ELj64EliDF16_DF16_ffEEvbT2_NS_24const_host_device_scalarIT6_EEPKT1_S7_PKS1_PKT3_PKT4_S4_PT5_21rocsparse_index_base_b.uses_vcc, 1
	.set _ZN9rocsparseL21csrmvn_general_kernelILj256ELj64EliDF16_DF16_ffEEvbT2_NS_24const_host_device_scalarIT6_EEPKT1_S7_PKS1_PKT3_PKT4_S4_PT5_21rocsparse_index_base_b.uses_flat_scratch, 0
	.set _ZN9rocsparseL21csrmvn_general_kernelILj256ELj64EliDF16_DF16_ffEEvbT2_NS_24const_host_device_scalarIT6_EEPKT1_S7_PKS1_PKT3_PKT4_S4_PT5_21rocsparse_index_base_b.has_dyn_sized_stack, 0
	.set _ZN9rocsparseL21csrmvn_general_kernelILj256ELj64EliDF16_DF16_ffEEvbT2_NS_24const_host_device_scalarIT6_EEPKT1_S7_PKS1_PKT3_PKT4_S4_PT5_21rocsparse_index_base_b.has_recursion, 0
	.set _ZN9rocsparseL21csrmvn_general_kernelILj256ELj64EliDF16_DF16_ffEEvbT2_NS_24const_host_device_scalarIT6_EEPKT1_S7_PKS1_PKT3_PKT4_S4_PT5_21rocsparse_index_base_b.has_indirect_call, 0
	.section	.AMDGPU.csdata,"",@progbits
; Kernel info:
; codeLenInByte = 872
; TotalNumSgprs: 25
; NumVgprs: 20
; ScratchSize: 0
; MemoryBound: 0
; FloatMode: 240
; IeeeMode: 1
; LDSByteSize: 0 bytes/workgroup (compile time only)
; SGPRBlocks: 0
; VGPRBlocks: 1
; NumSGPRsForWavesPerEU: 25
; NumVGPRsForWavesPerEU: 20
; NamedBarCnt: 0
; Occupancy: 16
; WaveLimiterHint : 1
; COMPUTE_PGM_RSRC2:SCRATCH_EN: 0
; COMPUTE_PGM_RSRC2:USER_SGPR: 2
; COMPUTE_PGM_RSRC2:TRAP_HANDLER: 0
; COMPUTE_PGM_RSRC2:TGID_X_EN: 1
; COMPUTE_PGM_RSRC2:TGID_Y_EN: 0
; COMPUTE_PGM_RSRC2:TGID_Z_EN: 0
; COMPUTE_PGM_RSRC2:TIDIG_COMP_CNT: 0
	.section	.text._ZN9rocsparseL21csrmvt_general_kernelILj256ELj4EliDF16_DF16_ffEEvbbT2_NS_24const_host_device_scalarIT6_EEPKT1_S7_PKS1_PKT3_PKT4_PT5_21rocsparse_index_base_b,"axG",@progbits,_ZN9rocsparseL21csrmvt_general_kernelILj256ELj4EliDF16_DF16_ffEEvbbT2_NS_24const_host_device_scalarIT6_EEPKT1_S7_PKS1_PKT3_PKT4_PT5_21rocsparse_index_base_b,comdat
	.globl	_ZN9rocsparseL21csrmvt_general_kernelILj256ELj4EliDF16_DF16_ffEEvbbT2_NS_24const_host_device_scalarIT6_EEPKT1_S7_PKS1_PKT3_PKT4_PT5_21rocsparse_index_base_b ; -- Begin function _ZN9rocsparseL21csrmvt_general_kernelILj256ELj4EliDF16_DF16_ffEEvbbT2_NS_24const_host_device_scalarIT6_EEPKT1_S7_PKS1_PKT3_PKT4_PT5_21rocsparse_index_base_b
	.p2align	8
	.type	_ZN9rocsparseL21csrmvt_general_kernelILj256ELj4EliDF16_DF16_ffEEvbbT2_NS_24const_host_device_scalarIT6_EEPKT1_S7_PKS1_PKT3_PKT4_PT5_21rocsparse_index_base_b,@function
_ZN9rocsparseL21csrmvt_general_kernelILj256ELj4EliDF16_DF16_ffEEvbbT2_NS_24const_host_device_scalarIT6_EEPKT1_S7_PKS1_PKT3_PKT4_PT5_21rocsparse_index_base_b: ; @_ZN9rocsparseL21csrmvt_general_kernelILj256ELj4EliDF16_DF16_ffEEvbbT2_NS_24const_host_device_scalarIT6_EEPKT1_S7_PKS1_PKT3_PKT4_PT5_21rocsparse_index_base_b
; %bb.0:
	s_clause 0x1
	s_load_b64 s[2:3], s[0:1], 0x40
	s_load_b128 s[12:15], s[0:1], 0x8
	s_wait_kmcnt 0x0
	s_bitcmp1_b32 s3, 0
	s_cselect_b32 s3, -1, 0
	s_delay_alu instid0(SALU_CYCLE_1)
	s_and_b32 vcc_lo, exec_lo, s3
	s_cbranch_vccnz .LBB215_2
; %bb.1:
	s_load_b32 s12, s[12:13], 0x0
.LBB215_2:
	s_wait_kmcnt 0x0
	s_cmp_eq_f32 s12, 0
	s_cbranch_scc1 .LBB215_20
; %bb.3:
	s_clause 0x3
	s_load_b64 s[16:17], s[0:1], 0x0
	s_load_b32 s3, s[0:1], 0x48
	s_load_b64 s[18:19], s[0:1], 0x38
	s_load_b256 s[4:11], s[0:1], 0x18
	s_wait_xcnt 0x0
	s_bfe_u32 s0, ttmp6, 0x4000c
	s_and_b32 s13, ttmp6, 15
	s_add_co_i32 s0, s0, 1
	s_getreg_b32 s20, hwreg(HW_REG_IB_STS2, 6, 4)
	s_mul_i32 s0, ttmp9, s0
	s_delay_alu instid0(SALU_CYCLE_1)
	s_add_co_i32 s13, s13, s0
	s_wait_kmcnt 0x0
	s_and_b32 s16, s16, 1
	s_lshl_b32 s1, s3, 6
	s_cmp_eq_u32 s20, 0
	s_mov_b32 s3, -1
	s_cselect_b32 s0, ttmp9, s13
	s_cmp_eq_u32 s16, 0
	v_lshl_or_b32 v1, s0, 8, v0
	s_delay_alu instid0(VALU_DEP_1) | instskip(NEXT) | instid1(VALU_DEP_1)
	v_dual_lshrrev_b32 v2, 2, v1 :: v_dual_bitop2_b32 v0, 3, v0 bitop3:0x40
	v_cmp_gt_i32_e64 s0, s17, v2
	s_cbranch_scc0 .LBB215_11
; %bb.4:
	s_and_saveexec_b32 s13, s0
	s_cbranch_execz .LBB215_10
; %bb.5:
	v_dual_mov_b32 v1, 0 :: v_dual_mov_b32 v6, v2
	s_mov_b32 s3, 0
	s_delay_alu instid0(SALU_CYCLE_1) | instskip(NEXT) | instid1(VALU_DEP_1)
	s_mov_b32 s16, s3
	v_sub_nc_u64_e64 v[4:5], v[0:1], s[2:3]
	s_branch .LBB215_7
.LBB215_6:                              ;   in Loop: Header=BB215_7 Depth=1
	s_or_b32 exec_lo, exec_lo, s20
	v_add_nc_u32_e32 v6, s1, v6
	s_delay_alu instid0(VALU_DEP_1) | instskip(SKIP_1) | instid1(SALU_CYCLE_1)
	v_cmp_le_i32_e32 vcc_lo, s17, v6
	s_or_b32 s16, vcc_lo, s16
	s_and_not1_b32 exec_lo, exec_lo, s16
	s_cbranch_execz .LBB215_10
.LBB215_7:                              ; =>This Loop Header: Depth=1
                                        ;     Child Loop BB215_9 Depth 2
	s_clause 0x1
	global_load_b64 v[8:9], v6, s[4:5] scale_offset
	global_load_b64 v[10:11], v6, s[14:15] scale_offset
	s_mov_b32 s20, exec_lo
	s_wait_loadcnt 0x1
	v_sub_nc_u64_e64 v[8:9], v[8:9], s[2:3]
	s_wait_loadcnt 0x0
	v_add_nc_u64_e32 v[10:11], v[10:11], v[4:5]
	s_wait_xcnt 0x0
	s_delay_alu instid0(VALU_DEP_1)
	v_cmpx_lt_i64_e64 v[10:11], v[8:9]
	s_cbranch_execz .LBB215_6
; %bb.8:                                ;   in Loop: Header=BB215_7 Depth=1
	v_ashrrev_i32_e32 v7, 31, v6
	v_lshl_add_u64 v[14:15], v[10:11], 1, s[8:9]
	s_mov_b32 s21, 0
	s_delay_alu instid0(VALU_DEP_2)
	v_lshl_add_u64 v[12:13], v[6:7], 1, s[10:11]
	global_load_u16 v1, v[12:13], off
	s_wait_xcnt 0x0
	v_lshl_add_u64 v[12:13], v[10:11], 2, s[6:7]
	s_wait_loadcnt 0x0
	v_cvt_f32_f16_e32 v1, v1
	s_delay_alu instid0(VALU_DEP_1)
	v_mul_f32_e32 v1, s12, v1
.LBB215_9:                              ;   Parent Loop BB215_7 Depth=1
                                        ; =>  This Inner Loop Header: Depth=2
	global_load_u16 v3, v[14:15], off
	global_load_b32 v7, v[12:13], off
	v_add_nc_u64_e32 v[10:11], 4, v[10:11]
	s_wait_xcnt 0x0
	v_add_nc_u64_e32 v[12:13], 16, v[12:13]
	v_add_nc_u64_e32 v[14:15], 8, v[14:15]
	s_delay_alu instid0(VALU_DEP_3)
	v_cmp_ge_i64_e32 vcc_lo, v[10:11], v[8:9]
	s_or_b32 s21, vcc_lo, s21
	s_wait_loadcnt 0x1
	v_cvt_f32_f16_e32 v3, v3
	s_wait_loadcnt 0x0
	v_subrev_nc_u32_e32 v7, s2, v7
	s_delay_alu instid0(VALU_DEP_2)
	v_mul_f32_e32 v3, v1, v3
	global_atomic_add_f32 v7, v3, s[18:19] scale_offset scope:SCOPE_DEV
	s_wait_xcnt 0x0
	s_and_not1_b32 exec_lo, exec_lo, s21
	s_cbranch_execnz .LBB215_9
	s_branch .LBB215_6
.LBB215_10:
	s_or_b32 exec_lo, exec_lo, s13
	s_mov_b32 s3, 0
.LBB215_11:
	s_delay_alu instid0(SALU_CYCLE_1)
	s_and_not1_b32 vcc_lo, exec_lo, s3
	s_cbranch_vccnz .LBB215_20
; %bb.12:
	s_and_saveexec_b32 s3, s0
	s_cbranch_execz .LBB215_20
; %bb.13:
	v_mov_b32_e32 v1, 0
	s_mov_b32 s3, 0
	s_delay_alu instid0(SALU_CYCLE_1) | instskip(NEXT) | instid1(VALU_DEP_1)
	s_mov_b32 s0, s3
	v_sub_nc_u64_e64 v[0:1], v[0:1], s[2:3]
	s_branch .LBB215_15
.LBB215_14:                             ;   in Loop: Header=BB215_15 Depth=1
	s_or_b32 exec_lo, exec_lo, s13
	v_add_nc_u32_e32 v2, s1, v2
	s_delay_alu instid0(VALU_DEP_1) | instskip(SKIP_1) | instid1(SALU_CYCLE_1)
	v_cmp_le_i32_e32 vcc_lo, s17, v2
	s_or_b32 s0, vcc_lo, s0
	s_and_not1_b32 exec_lo, exec_lo, s0
	s_cbranch_execz .LBB215_20
.LBB215_15:                             ; =>This Loop Header: Depth=1
                                        ;     Child Loop BB215_18 Depth 2
	s_clause 0x1
	global_load_b64 v[4:5], v2, s[4:5] scale_offset
	global_load_b64 v[6:7], v2, s[14:15] scale_offset
	s_mov_b32 s13, exec_lo
	s_wait_loadcnt 0x1
	v_sub_nc_u64_e64 v[4:5], v[4:5], s[2:3]
	s_wait_loadcnt 0x0
	v_add_nc_u64_e32 v[6:7], v[6:7], v[0:1]
	s_wait_xcnt 0x0
	s_delay_alu instid0(VALU_DEP_1)
	v_cmpx_lt_i64_e64 v[6:7], v[4:5]
	s_cbranch_execz .LBB215_14
; %bb.16:                               ;   in Loop: Header=BB215_15 Depth=1
	v_ashrrev_i32_e32 v3, 31, v2
	v_lshl_add_u64 v[10:11], v[6:7], 1, s[8:9]
	s_mov_b32 s16, 0
	s_delay_alu instid0(VALU_DEP_2)
	v_lshl_add_u64 v[8:9], v[2:3], 1, s[10:11]
	global_load_u16 v3, v[8:9], off
	s_wait_xcnt 0x0
	v_lshl_add_u64 v[8:9], v[6:7], 2, s[6:7]
	s_wait_loadcnt 0x0
	v_cvt_f32_f16_e32 v3, v3
	s_delay_alu instid0(VALU_DEP_1)
	v_mul_f32_e32 v3, s12, v3
	s_branch .LBB215_18
.LBB215_17:                             ;   in Loop: Header=BB215_18 Depth=2
	s_wait_xcnt 0x0
	s_or_b32 exec_lo, exec_lo, s20
	v_add_nc_u64_e32 v[6:7], 4, v[6:7]
	v_add_nc_u64_e32 v[8:9], 16, v[8:9]
	;; [unrolled: 1-line block ×3, first 2 shown]
	s_delay_alu instid0(VALU_DEP_3) | instskip(SKIP_1) | instid1(SALU_CYCLE_1)
	v_cmp_ge_i64_e32 vcc_lo, v[6:7], v[4:5]
	s_or_b32 s16, vcc_lo, s16
	s_and_not1_b32 exec_lo, exec_lo, s16
	s_cbranch_execz .LBB215_14
.LBB215_18:                             ;   Parent Loop BB215_15 Depth=1
                                        ; =>  This Inner Loop Header: Depth=2
	global_load_b32 v12, v[8:9], off
	s_mov_b32 s20, exec_lo
	s_wait_loadcnt 0x0
	v_subrev_nc_u32_e32 v12, s2, v12
	s_wait_xcnt 0x0
	s_delay_alu instid0(VALU_DEP_1)
	v_cmpx_ne_u32_e64 v12, v2
	s_cbranch_execz .LBB215_17
; %bb.19:                               ;   in Loop: Header=BB215_18 Depth=2
	global_load_u16 v13, v[10:11], off
	s_wait_loadcnt 0x0
	v_cvt_f32_f16_e32 v13, v13
	s_delay_alu instid0(VALU_DEP_1)
	v_mul_f32_e32 v13, v3, v13
	s_wait_xcnt 0x0
	global_atomic_add_f32 v12, v13, s[18:19] scale_offset scope:SCOPE_DEV
	s_branch .LBB215_17
.LBB215_20:
	s_endpgm
	.section	.rodata,"a",@progbits
	.p2align	6, 0x0
	.amdhsa_kernel _ZN9rocsparseL21csrmvt_general_kernelILj256ELj4EliDF16_DF16_ffEEvbbT2_NS_24const_host_device_scalarIT6_EEPKT1_S7_PKS1_PKT3_PKT4_PT5_21rocsparse_index_base_b
		.amdhsa_group_segment_fixed_size 0
		.amdhsa_private_segment_fixed_size 0
		.amdhsa_kernarg_size 328
		.amdhsa_user_sgpr_count 2
		.amdhsa_user_sgpr_dispatch_ptr 0
		.amdhsa_user_sgpr_queue_ptr 0
		.amdhsa_user_sgpr_kernarg_segment_ptr 1
		.amdhsa_user_sgpr_dispatch_id 0
		.amdhsa_user_sgpr_kernarg_preload_length 0
		.amdhsa_user_sgpr_kernarg_preload_offset 0
		.amdhsa_user_sgpr_private_segment_size 0
		.amdhsa_wavefront_size32 1
		.amdhsa_uses_dynamic_stack 0
		.amdhsa_enable_private_segment 0
		.amdhsa_system_sgpr_workgroup_id_x 1
		.amdhsa_system_sgpr_workgroup_id_y 0
		.amdhsa_system_sgpr_workgroup_id_z 0
		.amdhsa_system_sgpr_workgroup_info 0
		.amdhsa_system_vgpr_workitem_id 0
		.amdhsa_next_free_vgpr 16
		.amdhsa_next_free_sgpr 22
		.amdhsa_named_barrier_count 0
		.amdhsa_reserve_vcc 1
		.amdhsa_float_round_mode_32 0
		.amdhsa_float_round_mode_16_64 0
		.amdhsa_float_denorm_mode_32 3
		.amdhsa_float_denorm_mode_16_64 3
		.amdhsa_fp16_overflow 0
		.amdhsa_memory_ordered 1
		.amdhsa_forward_progress 1
		.amdhsa_inst_pref_size 7
		.amdhsa_round_robin_scheduling 0
		.amdhsa_exception_fp_ieee_invalid_op 0
		.amdhsa_exception_fp_denorm_src 0
		.amdhsa_exception_fp_ieee_div_zero 0
		.amdhsa_exception_fp_ieee_overflow 0
		.amdhsa_exception_fp_ieee_underflow 0
		.amdhsa_exception_fp_ieee_inexact 0
		.amdhsa_exception_int_div_zero 0
	.end_amdhsa_kernel
	.section	.text._ZN9rocsparseL21csrmvt_general_kernelILj256ELj4EliDF16_DF16_ffEEvbbT2_NS_24const_host_device_scalarIT6_EEPKT1_S7_PKS1_PKT3_PKT4_PT5_21rocsparse_index_base_b,"axG",@progbits,_ZN9rocsparseL21csrmvt_general_kernelILj256ELj4EliDF16_DF16_ffEEvbbT2_NS_24const_host_device_scalarIT6_EEPKT1_S7_PKS1_PKT3_PKT4_PT5_21rocsparse_index_base_b,comdat
.Lfunc_end215:
	.size	_ZN9rocsparseL21csrmvt_general_kernelILj256ELj4EliDF16_DF16_ffEEvbbT2_NS_24const_host_device_scalarIT6_EEPKT1_S7_PKS1_PKT3_PKT4_PT5_21rocsparse_index_base_b, .Lfunc_end215-_ZN9rocsparseL21csrmvt_general_kernelILj256ELj4EliDF16_DF16_ffEEvbbT2_NS_24const_host_device_scalarIT6_EEPKT1_S7_PKS1_PKT3_PKT4_PT5_21rocsparse_index_base_b
                                        ; -- End function
	.set _ZN9rocsparseL21csrmvt_general_kernelILj256ELj4EliDF16_DF16_ffEEvbbT2_NS_24const_host_device_scalarIT6_EEPKT1_S7_PKS1_PKT3_PKT4_PT5_21rocsparse_index_base_b.num_vgpr, 16
	.set _ZN9rocsparseL21csrmvt_general_kernelILj256ELj4EliDF16_DF16_ffEEvbbT2_NS_24const_host_device_scalarIT6_EEPKT1_S7_PKS1_PKT3_PKT4_PT5_21rocsparse_index_base_b.num_agpr, 0
	.set _ZN9rocsparseL21csrmvt_general_kernelILj256ELj4EliDF16_DF16_ffEEvbbT2_NS_24const_host_device_scalarIT6_EEPKT1_S7_PKS1_PKT3_PKT4_PT5_21rocsparse_index_base_b.numbered_sgpr, 22
	.set _ZN9rocsparseL21csrmvt_general_kernelILj256ELj4EliDF16_DF16_ffEEvbbT2_NS_24const_host_device_scalarIT6_EEPKT1_S7_PKS1_PKT3_PKT4_PT5_21rocsparse_index_base_b.num_named_barrier, 0
	.set _ZN9rocsparseL21csrmvt_general_kernelILj256ELj4EliDF16_DF16_ffEEvbbT2_NS_24const_host_device_scalarIT6_EEPKT1_S7_PKS1_PKT3_PKT4_PT5_21rocsparse_index_base_b.private_seg_size, 0
	.set _ZN9rocsparseL21csrmvt_general_kernelILj256ELj4EliDF16_DF16_ffEEvbbT2_NS_24const_host_device_scalarIT6_EEPKT1_S7_PKS1_PKT3_PKT4_PT5_21rocsparse_index_base_b.uses_vcc, 1
	.set _ZN9rocsparseL21csrmvt_general_kernelILj256ELj4EliDF16_DF16_ffEEvbbT2_NS_24const_host_device_scalarIT6_EEPKT1_S7_PKS1_PKT3_PKT4_PT5_21rocsparse_index_base_b.uses_flat_scratch, 0
	.set _ZN9rocsparseL21csrmvt_general_kernelILj256ELj4EliDF16_DF16_ffEEvbbT2_NS_24const_host_device_scalarIT6_EEPKT1_S7_PKS1_PKT3_PKT4_PT5_21rocsparse_index_base_b.has_dyn_sized_stack, 0
	.set _ZN9rocsparseL21csrmvt_general_kernelILj256ELj4EliDF16_DF16_ffEEvbbT2_NS_24const_host_device_scalarIT6_EEPKT1_S7_PKS1_PKT3_PKT4_PT5_21rocsparse_index_base_b.has_recursion, 0
	.set _ZN9rocsparseL21csrmvt_general_kernelILj256ELj4EliDF16_DF16_ffEEvbbT2_NS_24const_host_device_scalarIT6_EEPKT1_S7_PKS1_PKT3_PKT4_PT5_21rocsparse_index_base_b.has_indirect_call, 0
	.section	.AMDGPU.csdata,"",@progbits
; Kernel info:
; codeLenInByte = 876
; TotalNumSgprs: 24
; NumVgprs: 16
; ScratchSize: 0
; MemoryBound: 0
; FloatMode: 240
; IeeeMode: 1
; LDSByteSize: 0 bytes/workgroup (compile time only)
; SGPRBlocks: 0
; VGPRBlocks: 0
; NumSGPRsForWavesPerEU: 24
; NumVGPRsForWavesPerEU: 16
; NamedBarCnt: 0
; Occupancy: 16
; WaveLimiterHint : 1
; COMPUTE_PGM_RSRC2:SCRATCH_EN: 0
; COMPUTE_PGM_RSRC2:USER_SGPR: 2
; COMPUTE_PGM_RSRC2:TRAP_HANDLER: 0
; COMPUTE_PGM_RSRC2:TGID_X_EN: 1
; COMPUTE_PGM_RSRC2:TGID_Y_EN: 0
; COMPUTE_PGM_RSRC2:TGID_Z_EN: 0
; COMPUTE_PGM_RSRC2:TIDIG_COMP_CNT: 0
	.section	.text._ZN9rocsparseL21csrmvt_general_kernelILj256ELj8EliDF16_DF16_ffEEvbbT2_NS_24const_host_device_scalarIT6_EEPKT1_S7_PKS1_PKT3_PKT4_PT5_21rocsparse_index_base_b,"axG",@progbits,_ZN9rocsparseL21csrmvt_general_kernelILj256ELj8EliDF16_DF16_ffEEvbbT2_NS_24const_host_device_scalarIT6_EEPKT1_S7_PKS1_PKT3_PKT4_PT5_21rocsparse_index_base_b,comdat
	.globl	_ZN9rocsparseL21csrmvt_general_kernelILj256ELj8EliDF16_DF16_ffEEvbbT2_NS_24const_host_device_scalarIT6_EEPKT1_S7_PKS1_PKT3_PKT4_PT5_21rocsparse_index_base_b ; -- Begin function _ZN9rocsparseL21csrmvt_general_kernelILj256ELj8EliDF16_DF16_ffEEvbbT2_NS_24const_host_device_scalarIT6_EEPKT1_S7_PKS1_PKT3_PKT4_PT5_21rocsparse_index_base_b
	.p2align	8
	.type	_ZN9rocsparseL21csrmvt_general_kernelILj256ELj8EliDF16_DF16_ffEEvbbT2_NS_24const_host_device_scalarIT6_EEPKT1_S7_PKS1_PKT3_PKT4_PT5_21rocsparse_index_base_b,@function
_ZN9rocsparseL21csrmvt_general_kernelILj256ELj8EliDF16_DF16_ffEEvbbT2_NS_24const_host_device_scalarIT6_EEPKT1_S7_PKS1_PKT3_PKT4_PT5_21rocsparse_index_base_b: ; @_ZN9rocsparseL21csrmvt_general_kernelILj256ELj8EliDF16_DF16_ffEEvbbT2_NS_24const_host_device_scalarIT6_EEPKT1_S7_PKS1_PKT3_PKT4_PT5_21rocsparse_index_base_b
; %bb.0:
	s_clause 0x1
	s_load_b64 s[2:3], s[0:1], 0x40
	s_load_b128 s[12:15], s[0:1], 0x8
	s_wait_kmcnt 0x0
	s_bitcmp1_b32 s3, 0
	s_cselect_b32 s3, -1, 0
	s_delay_alu instid0(SALU_CYCLE_1)
	s_and_b32 vcc_lo, exec_lo, s3
	s_cbranch_vccnz .LBB216_2
; %bb.1:
	s_load_b32 s12, s[12:13], 0x0
.LBB216_2:
	s_wait_kmcnt 0x0
	s_cmp_eq_f32 s12, 0
	s_cbranch_scc1 .LBB216_20
; %bb.3:
	s_clause 0x3
	s_load_b64 s[16:17], s[0:1], 0x0
	s_load_b32 s3, s[0:1], 0x48
	s_load_b64 s[18:19], s[0:1], 0x38
	s_load_b256 s[4:11], s[0:1], 0x18
	s_wait_xcnt 0x0
	s_bfe_u32 s0, ttmp6, 0x4000c
	s_and_b32 s13, ttmp6, 15
	s_add_co_i32 s0, s0, 1
	s_getreg_b32 s20, hwreg(HW_REG_IB_STS2, 6, 4)
	s_mul_i32 s0, ttmp9, s0
	s_delay_alu instid0(SALU_CYCLE_1)
	s_add_co_i32 s13, s13, s0
	s_wait_kmcnt 0x0
	s_and_b32 s16, s16, 1
	s_lshl_b32 s1, s3, 5
	s_cmp_eq_u32 s20, 0
	s_mov_b32 s3, -1
	s_cselect_b32 s0, ttmp9, s13
	s_cmp_eq_u32 s16, 0
	v_lshl_or_b32 v1, s0, 8, v0
	s_delay_alu instid0(VALU_DEP_1) | instskip(NEXT) | instid1(VALU_DEP_1)
	v_dual_lshrrev_b32 v2, 3, v1 :: v_dual_bitop2_b32 v0, 7, v0 bitop3:0x40
	v_cmp_gt_i32_e64 s0, s17, v2
	s_cbranch_scc0 .LBB216_11
; %bb.4:
	s_and_saveexec_b32 s13, s0
	s_cbranch_execz .LBB216_10
; %bb.5:
	v_dual_mov_b32 v1, 0 :: v_dual_mov_b32 v6, v2
	s_mov_b32 s3, 0
	s_delay_alu instid0(SALU_CYCLE_1) | instskip(NEXT) | instid1(VALU_DEP_1)
	s_mov_b32 s16, s3
	v_sub_nc_u64_e64 v[4:5], v[0:1], s[2:3]
	s_branch .LBB216_7
.LBB216_6:                              ;   in Loop: Header=BB216_7 Depth=1
	s_or_b32 exec_lo, exec_lo, s20
	v_add_nc_u32_e32 v6, s1, v6
	s_delay_alu instid0(VALU_DEP_1) | instskip(SKIP_1) | instid1(SALU_CYCLE_1)
	v_cmp_le_i32_e32 vcc_lo, s17, v6
	s_or_b32 s16, vcc_lo, s16
	s_and_not1_b32 exec_lo, exec_lo, s16
	s_cbranch_execz .LBB216_10
.LBB216_7:                              ; =>This Loop Header: Depth=1
                                        ;     Child Loop BB216_9 Depth 2
	s_clause 0x1
	global_load_b64 v[8:9], v6, s[4:5] scale_offset
	global_load_b64 v[10:11], v6, s[14:15] scale_offset
	s_mov_b32 s20, exec_lo
	s_wait_loadcnt 0x1
	v_sub_nc_u64_e64 v[8:9], v[8:9], s[2:3]
	s_wait_loadcnt 0x0
	v_add_nc_u64_e32 v[10:11], v[10:11], v[4:5]
	s_wait_xcnt 0x0
	s_delay_alu instid0(VALU_DEP_1)
	v_cmpx_lt_i64_e64 v[10:11], v[8:9]
	s_cbranch_execz .LBB216_6
; %bb.8:                                ;   in Loop: Header=BB216_7 Depth=1
	v_ashrrev_i32_e32 v7, 31, v6
	v_lshl_add_u64 v[14:15], v[10:11], 1, s[8:9]
	s_mov_b32 s21, 0
	s_delay_alu instid0(VALU_DEP_2)
	v_lshl_add_u64 v[12:13], v[6:7], 1, s[10:11]
	global_load_u16 v1, v[12:13], off
	s_wait_xcnt 0x0
	v_lshl_add_u64 v[12:13], v[10:11], 2, s[6:7]
	s_wait_loadcnt 0x0
	v_cvt_f32_f16_e32 v1, v1
	s_delay_alu instid0(VALU_DEP_1)
	v_mul_f32_e32 v1, s12, v1
.LBB216_9:                              ;   Parent Loop BB216_7 Depth=1
                                        ; =>  This Inner Loop Header: Depth=2
	global_load_u16 v3, v[14:15], off
	global_load_b32 v7, v[12:13], off
	v_add_nc_u64_e32 v[10:11], 8, v[10:11]
	s_wait_xcnt 0x0
	v_add_nc_u64_e32 v[12:13], 32, v[12:13]
	v_add_nc_u64_e32 v[14:15], 16, v[14:15]
	s_delay_alu instid0(VALU_DEP_3)
	v_cmp_ge_i64_e32 vcc_lo, v[10:11], v[8:9]
	s_or_b32 s21, vcc_lo, s21
	s_wait_loadcnt 0x1
	v_cvt_f32_f16_e32 v3, v3
	s_wait_loadcnt 0x0
	v_subrev_nc_u32_e32 v7, s2, v7
	s_delay_alu instid0(VALU_DEP_2)
	v_mul_f32_e32 v3, v1, v3
	global_atomic_add_f32 v7, v3, s[18:19] scale_offset scope:SCOPE_DEV
	s_wait_xcnt 0x0
	s_and_not1_b32 exec_lo, exec_lo, s21
	s_cbranch_execnz .LBB216_9
	s_branch .LBB216_6
.LBB216_10:
	s_or_b32 exec_lo, exec_lo, s13
	s_mov_b32 s3, 0
.LBB216_11:
	s_delay_alu instid0(SALU_CYCLE_1)
	s_and_not1_b32 vcc_lo, exec_lo, s3
	s_cbranch_vccnz .LBB216_20
; %bb.12:
	s_and_saveexec_b32 s3, s0
	s_cbranch_execz .LBB216_20
; %bb.13:
	v_mov_b32_e32 v1, 0
	s_mov_b32 s3, 0
	s_delay_alu instid0(SALU_CYCLE_1) | instskip(NEXT) | instid1(VALU_DEP_1)
	s_mov_b32 s0, s3
	v_sub_nc_u64_e64 v[0:1], v[0:1], s[2:3]
	s_branch .LBB216_15
.LBB216_14:                             ;   in Loop: Header=BB216_15 Depth=1
	s_or_b32 exec_lo, exec_lo, s13
	v_add_nc_u32_e32 v2, s1, v2
	s_delay_alu instid0(VALU_DEP_1) | instskip(SKIP_1) | instid1(SALU_CYCLE_1)
	v_cmp_le_i32_e32 vcc_lo, s17, v2
	s_or_b32 s0, vcc_lo, s0
	s_and_not1_b32 exec_lo, exec_lo, s0
	s_cbranch_execz .LBB216_20
.LBB216_15:                             ; =>This Loop Header: Depth=1
                                        ;     Child Loop BB216_18 Depth 2
	s_clause 0x1
	global_load_b64 v[4:5], v2, s[4:5] scale_offset
	global_load_b64 v[6:7], v2, s[14:15] scale_offset
	s_mov_b32 s13, exec_lo
	s_wait_loadcnt 0x1
	v_sub_nc_u64_e64 v[4:5], v[4:5], s[2:3]
	s_wait_loadcnt 0x0
	v_add_nc_u64_e32 v[6:7], v[6:7], v[0:1]
	s_wait_xcnt 0x0
	s_delay_alu instid0(VALU_DEP_1)
	v_cmpx_lt_i64_e64 v[6:7], v[4:5]
	s_cbranch_execz .LBB216_14
; %bb.16:                               ;   in Loop: Header=BB216_15 Depth=1
	v_ashrrev_i32_e32 v3, 31, v2
	v_lshl_add_u64 v[10:11], v[6:7], 1, s[8:9]
	s_mov_b32 s16, 0
	s_delay_alu instid0(VALU_DEP_2)
	v_lshl_add_u64 v[8:9], v[2:3], 1, s[10:11]
	global_load_u16 v3, v[8:9], off
	s_wait_xcnt 0x0
	v_lshl_add_u64 v[8:9], v[6:7], 2, s[6:7]
	s_wait_loadcnt 0x0
	v_cvt_f32_f16_e32 v3, v3
	s_delay_alu instid0(VALU_DEP_1)
	v_mul_f32_e32 v3, s12, v3
	s_branch .LBB216_18
.LBB216_17:                             ;   in Loop: Header=BB216_18 Depth=2
	s_wait_xcnt 0x0
	s_or_b32 exec_lo, exec_lo, s20
	v_add_nc_u64_e32 v[6:7], 8, v[6:7]
	v_add_nc_u64_e32 v[8:9], 32, v[8:9]
	;; [unrolled: 1-line block ×3, first 2 shown]
	s_delay_alu instid0(VALU_DEP_3) | instskip(SKIP_1) | instid1(SALU_CYCLE_1)
	v_cmp_ge_i64_e32 vcc_lo, v[6:7], v[4:5]
	s_or_b32 s16, vcc_lo, s16
	s_and_not1_b32 exec_lo, exec_lo, s16
	s_cbranch_execz .LBB216_14
.LBB216_18:                             ;   Parent Loop BB216_15 Depth=1
                                        ; =>  This Inner Loop Header: Depth=2
	global_load_b32 v12, v[8:9], off
	s_mov_b32 s20, exec_lo
	s_wait_loadcnt 0x0
	v_subrev_nc_u32_e32 v12, s2, v12
	s_wait_xcnt 0x0
	s_delay_alu instid0(VALU_DEP_1)
	v_cmpx_ne_u32_e64 v12, v2
	s_cbranch_execz .LBB216_17
; %bb.19:                               ;   in Loop: Header=BB216_18 Depth=2
	global_load_u16 v13, v[10:11], off
	s_wait_loadcnt 0x0
	v_cvt_f32_f16_e32 v13, v13
	s_delay_alu instid0(VALU_DEP_1)
	v_mul_f32_e32 v13, v3, v13
	s_wait_xcnt 0x0
	global_atomic_add_f32 v12, v13, s[18:19] scale_offset scope:SCOPE_DEV
	s_branch .LBB216_17
.LBB216_20:
	s_endpgm
	.section	.rodata,"a",@progbits
	.p2align	6, 0x0
	.amdhsa_kernel _ZN9rocsparseL21csrmvt_general_kernelILj256ELj8EliDF16_DF16_ffEEvbbT2_NS_24const_host_device_scalarIT6_EEPKT1_S7_PKS1_PKT3_PKT4_PT5_21rocsparse_index_base_b
		.amdhsa_group_segment_fixed_size 0
		.amdhsa_private_segment_fixed_size 0
		.amdhsa_kernarg_size 328
		.amdhsa_user_sgpr_count 2
		.amdhsa_user_sgpr_dispatch_ptr 0
		.amdhsa_user_sgpr_queue_ptr 0
		.amdhsa_user_sgpr_kernarg_segment_ptr 1
		.amdhsa_user_sgpr_dispatch_id 0
		.amdhsa_user_sgpr_kernarg_preload_length 0
		.amdhsa_user_sgpr_kernarg_preload_offset 0
		.amdhsa_user_sgpr_private_segment_size 0
		.amdhsa_wavefront_size32 1
		.amdhsa_uses_dynamic_stack 0
		.amdhsa_enable_private_segment 0
		.amdhsa_system_sgpr_workgroup_id_x 1
		.amdhsa_system_sgpr_workgroup_id_y 0
		.amdhsa_system_sgpr_workgroup_id_z 0
		.amdhsa_system_sgpr_workgroup_info 0
		.amdhsa_system_vgpr_workitem_id 0
		.amdhsa_next_free_vgpr 16
		.amdhsa_next_free_sgpr 22
		.amdhsa_named_barrier_count 0
		.amdhsa_reserve_vcc 1
		.amdhsa_float_round_mode_32 0
		.amdhsa_float_round_mode_16_64 0
		.amdhsa_float_denorm_mode_32 3
		.amdhsa_float_denorm_mode_16_64 3
		.amdhsa_fp16_overflow 0
		.amdhsa_memory_ordered 1
		.amdhsa_forward_progress 1
		.amdhsa_inst_pref_size 7
		.amdhsa_round_robin_scheduling 0
		.amdhsa_exception_fp_ieee_invalid_op 0
		.amdhsa_exception_fp_denorm_src 0
		.amdhsa_exception_fp_ieee_div_zero 0
		.amdhsa_exception_fp_ieee_overflow 0
		.amdhsa_exception_fp_ieee_underflow 0
		.amdhsa_exception_fp_ieee_inexact 0
		.amdhsa_exception_int_div_zero 0
	.end_amdhsa_kernel
	.section	.text._ZN9rocsparseL21csrmvt_general_kernelILj256ELj8EliDF16_DF16_ffEEvbbT2_NS_24const_host_device_scalarIT6_EEPKT1_S7_PKS1_PKT3_PKT4_PT5_21rocsparse_index_base_b,"axG",@progbits,_ZN9rocsparseL21csrmvt_general_kernelILj256ELj8EliDF16_DF16_ffEEvbbT2_NS_24const_host_device_scalarIT6_EEPKT1_S7_PKS1_PKT3_PKT4_PT5_21rocsparse_index_base_b,comdat
.Lfunc_end216:
	.size	_ZN9rocsparseL21csrmvt_general_kernelILj256ELj8EliDF16_DF16_ffEEvbbT2_NS_24const_host_device_scalarIT6_EEPKT1_S7_PKS1_PKT3_PKT4_PT5_21rocsparse_index_base_b, .Lfunc_end216-_ZN9rocsparseL21csrmvt_general_kernelILj256ELj8EliDF16_DF16_ffEEvbbT2_NS_24const_host_device_scalarIT6_EEPKT1_S7_PKS1_PKT3_PKT4_PT5_21rocsparse_index_base_b
                                        ; -- End function
	.set _ZN9rocsparseL21csrmvt_general_kernelILj256ELj8EliDF16_DF16_ffEEvbbT2_NS_24const_host_device_scalarIT6_EEPKT1_S7_PKS1_PKT3_PKT4_PT5_21rocsparse_index_base_b.num_vgpr, 16
	.set _ZN9rocsparseL21csrmvt_general_kernelILj256ELj8EliDF16_DF16_ffEEvbbT2_NS_24const_host_device_scalarIT6_EEPKT1_S7_PKS1_PKT3_PKT4_PT5_21rocsparse_index_base_b.num_agpr, 0
	.set _ZN9rocsparseL21csrmvt_general_kernelILj256ELj8EliDF16_DF16_ffEEvbbT2_NS_24const_host_device_scalarIT6_EEPKT1_S7_PKS1_PKT3_PKT4_PT5_21rocsparse_index_base_b.numbered_sgpr, 22
	.set _ZN9rocsparseL21csrmvt_general_kernelILj256ELj8EliDF16_DF16_ffEEvbbT2_NS_24const_host_device_scalarIT6_EEPKT1_S7_PKS1_PKT3_PKT4_PT5_21rocsparse_index_base_b.num_named_barrier, 0
	.set _ZN9rocsparseL21csrmvt_general_kernelILj256ELj8EliDF16_DF16_ffEEvbbT2_NS_24const_host_device_scalarIT6_EEPKT1_S7_PKS1_PKT3_PKT4_PT5_21rocsparse_index_base_b.private_seg_size, 0
	.set _ZN9rocsparseL21csrmvt_general_kernelILj256ELj8EliDF16_DF16_ffEEvbbT2_NS_24const_host_device_scalarIT6_EEPKT1_S7_PKS1_PKT3_PKT4_PT5_21rocsparse_index_base_b.uses_vcc, 1
	.set _ZN9rocsparseL21csrmvt_general_kernelILj256ELj8EliDF16_DF16_ffEEvbbT2_NS_24const_host_device_scalarIT6_EEPKT1_S7_PKS1_PKT3_PKT4_PT5_21rocsparse_index_base_b.uses_flat_scratch, 0
	.set _ZN9rocsparseL21csrmvt_general_kernelILj256ELj8EliDF16_DF16_ffEEvbbT2_NS_24const_host_device_scalarIT6_EEPKT1_S7_PKS1_PKT3_PKT4_PT5_21rocsparse_index_base_b.has_dyn_sized_stack, 0
	.set _ZN9rocsparseL21csrmvt_general_kernelILj256ELj8EliDF16_DF16_ffEEvbbT2_NS_24const_host_device_scalarIT6_EEPKT1_S7_PKS1_PKT3_PKT4_PT5_21rocsparse_index_base_b.has_recursion, 0
	.set _ZN9rocsparseL21csrmvt_general_kernelILj256ELj8EliDF16_DF16_ffEEvbbT2_NS_24const_host_device_scalarIT6_EEPKT1_S7_PKS1_PKT3_PKT4_PT5_21rocsparse_index_base_b.has_indirect_call, 0
	.section	.AMDGPU.csdata,"",@progbits
; Kernel info:
; codeLenInByte = 876
; TotalNumSgprs: 24
; NumVgprs: 16
; ScratchSize: 0
; MemoryBound: 0
; FloatMode: 240
; IeeeMode: 1
; LDSByteSize: 0 bytes/workgroup (compile time only)
; SGPRBlocks: 0
; VGPRBlocks: 0
; NumSGPRsForWavesPerEU: 24
; NumVGPRsForWavesPerEU: 16
; NamedBarCnt: 0
; Occupancy: 16
; WaveLimiterHint : 1
; COMPUTE_PGM_RSRC2:SCRATCH_EN: 0
; COMPUTE_PGM_RSRC2:USER_SGPR: 2
; COMPUTE_PGM_RSRC2:TRAP_HANDLER: 0
; COMPUTE_PGM_RSRC2:TGID_X_EN: 1
; COMPUTE_PGM_RSRC2:TGID_Y_EN: 0
; COMPUTE_PGM_RSRC2:TGID_Z_EN: 0
; COMPUTE_PGM_RSRC2:TIDIG_COMP_CNT: 0
	.section	.text._ZN9rocsparseL21csrmvt_general_kernelILj256ELj16EliDF16_DF16_ffEEvbbT2_NS_24const_host_device_scalarIT6_EEPKT1_S7_PKS1_PKT3_PKT4_PT5_21rocsparse_index_base_b,"axG",@progbits,_ZN9rocsparseL21csrmvt_general_kernelILj256ELj16EliDF16_DF16_ffEEvbbT2_NS_24const_host_device_scalarIT6_EEPKT1_S7_PKS1_PKT3_PKT4_PT5_21rocsparse_index_base_b,comdat
	.globl	_ZN9rocsparseL21csrmvt_general_kernelILj256ELj16EliDF16_DF16_ffEEvbbT2_NS_24const_host_device_scalarIT6_EEPKT1_S7_PKS1_PKT3_PKT4_PT5_21rocsparse_index_base_b ; -- Begin function _ZN9rocsparseL21csrmvt_general_kernelILj256ELj16EliDF16_DF16_ffEEvbbT2_NS_24const_host_device_scalarIT6_EEPKT1_S7_PKS1_PKT3_PKT4_PT5_21rocsparse_index_base_b
	.p2align	8
	.type	_ZN9rocsparseL21csrmvt_general_kernelILj256ELj16EliDF16_DF16_ffEEvbbT2_NS_24const_host_device_scalarIT6_EEPKT1_S7_PKS1_PKT3_PKT4_PT5_21rocsparse_index_base_b,@function
_ZN9rocsparseL21csrmvt_general_kernelILj256ELj16EliDF16_DF16_ffEEvbbT2_NS_24const_host_device_scalarIT6_EEPKT1_S7_PKS1_PKT3_PKT4_PT5_21rocsparse_index_base_b: ; @_ZN9rocsparseL21csrmvt_general_kernelILj256ELj16EliDF16_DF16_ffEEvbbT2_NS_24const_host_device_scalarIT6_EEPKT1_S7_PKS1_PKT3_PKT4_PT5_21rocsparse_index_base_b
; %bb.0:
	s_clause 0x1
	s_load_b64 s[2:3], s[0:1], 0x40
	s_load_b128 s[12:15], s[0:1], 0x8
	s_wait_kmcnt 0x0
	s_bitcmp1_b32 s3, 0
	s_cselect_b32 s3, -1, 0
	s_delay_alu instid0(SALU_CYCLE_1)
	s_and_b32 vcc_lo, exec_lo, s3
	s_cbranch_vccnz .LBB217_2
; %bb.1:
	s_load_b32 s12, s[12:13], 0x0
.LBB217_2:
	s_wait_kmcnt 0x0
	s_cmp_eq_f32 s12, 0
	s_cbranch_scc1 .LBB217_20
; %bb.3:
	s_clause 0x3
	s_load_b64 s[16:17], s[0:1], 0x0
	s_load_b32 s3, s[0:1], 0x48
	s_load_b64 s[18:19], s[0:1], 0x38
	s_load_b256 s[4:11], s[0:1], 0x18
	s_wait_xcnt 0x0
	s_bfe_u32 s0, ttmp6, 0x4000c
	s_and_b32 s13, ttmp6, 15
	s_add_co_i32 s0, s0, 1
	s_getreg_b32 s20, hwreg(HW_REG_IB_STS2, 6, 4)
	s_mul_i32 s0, ttmp9, s0
	s_delay_alu instid0(SALU_CYCLE_1)
	s_add_co_i32 s13, s13, s0
	s_wait_kmcnt 0x0
	s_and_b32 s16, s16, 1
	s_lshl_b32 s1, s3, 4
	s_cmp_eq_u32 s20, 0
	s_mov_b32 s3, -1
	s_cselect_b32 s0, ttmp9, s13
	s_cmp_eq_u32 s16, 0
	v_lshl_or_b32 v1, s0, 8, v0
	s_delay_alu instid0(VALU_DEP_1) | instskip(NEXT) | instid1(VALU_DEP_1)
	v_dual_lshrrev_b32 v2, 4, v1 :: v_dual_bitop2_b32 v0, 15, v0 bitop3:0x40
	v_cmp_gt_i32_e64 s0, s17, v2
	s_cbranch_scc0 .LBB217_11
; %bb.4:
	s_and_saveexec_b32 s13, s0
	s_cbranch_execz .LBB217_10
; %bb.5:
	v_dual_mov_b32 v1, 0 :: v_dual_mov_b32 v6, v2
	s_mov_b32 s3, 0
	s_delay_alu instid0(SALU_CYCLE_1) | instskip(NEXT) | instid1(VALU_DEP_1)
	s_mov_b32 s16, s3
	v_sub_nc_u64_e64 v[4:5], v[0:1], s[2:3]
	s_branch .LBB217_7
.LBB217_6:                              ;   in Loop: Header=BB217_7 Depth=1
	s_or_b32 exec_lo, exec_lo, s20
	v_add_nc_u32_e32 v6, s1, v6
	s_delay_alu instid0(VALU_DEP_1) | instskip(SKIP_1) | instid1(SALU_CYCLE_1)
	v_cmp_le_i32_e32 vcc_lo, s17, v6
	s_or_b32 s16, vcc_lo, s16
	s_and_not1_b32 exec_lo, exec_lo, s16
	s_cbranch_execz .LBB217_10
.LBB217_7:                              ; =>This Loop Header: Depth=1
                                        ;     Child Loop BB217_9 Depth 2
	s_clause 0x1
	global_load_b64 v[8:9], v6, s[4:5] scale_offset
	global_load_b64 v[10:11], v6, s[14:15] scale_offset
	s_mov_b32 s20, exec_lo
	s_wait_loadcnt 0x1
	v_sub_nc_u64_e64 v[8:9], v[8:9], s[2:3]
	s_wait_loadcnt 0x0
	v_add_nc_u64_e32 v[10:11], v[10:11], v[4:5]
	s_wait_xcnt 0x0
	s_delay_alu instid0(VALU_DEP_1)
	v_cmpx_lt_i64_e64 v[10:11], v[8:9]
	s_cbranch_execz .LBB217_6
; %bb.8:                                ;   in Loop: Header=BB217_7 Depth=1
	v_ashrrev_i32_e32 v7, 31, v6
	v_lshl_add_u64 v[14:15], v[10:11], 1, s[8:9]
	s_mov_b32 s21, 0
	s_delay_alu instid0(VALU_DEP_2)
	v_lshl_add_u64 v[12:13], v[6:7], 1, s[10:11]
	global_load_u16 v1, v[12:13], off
	s_wait_xcnt 0x0
	v_lshl_add_u64 v[12:13], v[10:11], 2, s[6:7]
	s_wait_loadcnt 0x0
	v_cvt_f32_f16_e32 v1, v1
	s_delay_alu instid0(VALU_DEP_1)
	v_mul_f32_e32 v1, s12, v1
.LBB217_9:                              ;   Parent Loop BB217_7 Depth=1
                                        ; =>  This Inner Loop Header: Depth=2
	global_load_u16 v3, v[14:15], off
	global_load_b32 v7, v[12:13], off
	v_add_nc_u64_e32 v[10:11], 16, v[10:11]
	s_wait_xcnt 0x0
	v_add_nc_u64_e32 v[12:13], 64, v[12:13]
	v_add_nc_u64_e32 v[14:15], 32, v[14:15]
	s_delay_alu instid0(VALU_DEP_3)
	v_cmp_ge_i64_e32 vcc_lo, v[10:11], v[8:9]
	s_or_b32 s21, vcc_lo, s21
	s_wait_loadcnt 0x1
	v_cvt_f32_f16_e32 v3, v3
	s_wait_loadcnt 0x0
	v_subrev_nc_u32_e32 v7, s2, v7
	s_delay_alu instid0(VALU_DEP_2)
	v_mul_f32_e32 v3, v1, v3
	global_atomic_add_f32 v7, v3, s[18:19] scale_offset scope:SCOPE_DEV
	s_wait_xcnt 0x0
	s_and_not1_b32 exec_lo, exec_lo, s21
	s_cbranch_execnz .LBB217_9
	s_branch .LBB217_6
.LBB217_10:
	s_or_b32 exec_lo, exec_lo, s13
	s_mov_b32 s3, 0
.LBB217_11:
	s_delay_alu instid0(SALU_CYCLE_1)
	s_and_not1_b32 vcc_lo, exec_lo, s3
	s_cbranch_vccnz .LBB217_20
; %bb.12:
	s_and_saveexec_b32 s3, s0
	s_cbranch_execz .LBB217_20
; %bb.13:
	v_mov_b32_e32 v1, 0
	s_mov_b32 s3, 0
	s_delay_alu instid0(SALU_CYCLE_1) | instskip(NEXT) | instid1(VALU_DEP_1)
	s_mov_b32 s0, s3
	v_sub_nc_u64_e64 v[0:1], v[0:1], s[2:3]
	s_branch .LBB217_15
.LBB217_14:                             ;   in Loop: Header=BB217_15 Depth=1
	s_or_b32 exec_lo, exec_lo, s13
	v_add_nc_u32_e32 v2, s1, v2
	s_delay_alu instid0(VALU_DEP_1) | instskip(SKIP_1) | instid1(SALU_CYCLE_1)
	v_cmp_le_i32_e32 vcc_lo, s17, v2
	s_or_b32 s0, vcc_lo, s0
	s_and_not1_b32 exec_lo, exec_lo, s0
	s_cbranch_execz .LBB217_20
.LBB217_15:                             ; =>This Loop Header: Depth=1
                                        ;     Child Loop BB217_18 Depth 2
	s_clause 0x1
	global_load_b64 v[4:5], v2, s[4:5] scale_offset
	global_load_b64 v[6:7], v2, s[14:15] scale_offset
	s_mov_b32 s13, exec_lo
	s_wait_loadcnt 0x1
	v_sub_nc_u64_e64 v[4:5], v[4:5], s[2:3]
	s_wait_loadcnt 0x0
	v_add_nc_u64_e32 v[6:7], v[6:7], v[0:1]
	s_wait_xcnt 0x0
	s_delay_alu instid0(VALU_DEP_1)
	v_cmpx_lt_i64_e64 v[6:7], v[4:5]
	s_cbranch_execz .LBB217_14
; %bb.16:                               ;   in Loop: Header=BB217_15 Depth=1
	v_ashrrev_i32_e32 v3, 31, v2
	v_lshl_add_u64 v[10:11], v[6:7], 1, s[8:9]
	s_mov_b32 s16, 0
	s_delay_alu instid0(VALU_DEP_2)
	v_lshl_add_u64 v[8:9], v[2:3], 1, s[10:11]
	global_load_u16 v3, v[8:9], off
	s_wait_xcnt 0x0
	v_lshl_add_u64 v[8:9], v[6:7], 2, s[6:7]
	s_wait_loadcnt 0x0
	v_cvt_f32_f16_e32 v3, v3
	s_delay_alu instid0(VALU_DEP_1)
	v_mul_f32_e32 v3, s12, v3
	s_branch .LBB217_18
.LBB217_17:                             ;   in Loop: Header=BB217_18 Depth=2
	s_wait_xcnt 0x0
	s_or_b32 exec_lo, exec_lo, s20
	v_add_nc_u64_e32 v[6:7], 16, v[6:7]
	v_add_nc_u64_e32 v[8:9], 64, v[8:9]
	;; [unrolled: 1-line block ×3, first 2 shown]
	s_delay_alu instid0(VALU_DEP_3) | instskip(SKIP_1) | instid1(SALU_CYCLE_1)
	v_cmp_ge_i64_e32 vcc_lo, v[6:7], v[4:5]
	s_or_b32 s16, vcc_lo, s16
	s_and_not1_b32 exec_lo, exec_lo, s16
	s_cbranch_execz .LBB217_14
.LBB217_18:                             ;   Parent Loop BB217_15 Depth=1
                                        ; =>  This Inner Loop Header: Depth=2
	global_load_b32 v12, v[8:9], off
	s_mov_b32 s20, exec_lo
	s_wait_loadcnt 0x0
	v_subrev_nc_u32_e32 v12, s2, v12
	s_wait_xcnt 0x0
	s_delay_alu instid0(VALU_DEP_1)
	v_cmpx_ne_u32_e64 v12, v2
	s_cbranch_execz .LBB217_17
; %bb.19:                               ;   in Loop: Header=BB217_18 Depth=2
	global_load_u16 v13, v[10:11], off
	s_wait_loadcnt 0x0
	v_cvt_f32_f16_e32 v13, v13
	s_delay_alu instid0(VALU_DEP_1)
	v_mul_f32_e32 v13, v3, v13
	s_wait_xcnt 0x0
	global_atomic_add_f32 v12, v13, s[18:19] scale_offset scope:SCOPE_DEV
	s_branch .LBB217_17
.LBB217_20:
	s_endpgm
	.section	.rodata,"a",@progbits
	.p2align	6, 0x0
	.amdhsa_kernel _ZN9rocsparseL21csrmvt_general_kernelILj256ELj16EliDF16_DF16_ffEEvbbT2_NS_24const_host_device_scalarIT6_EEPKT1_S7_PKS1_PKT3_PKT4_PT5_21rocsparse_index_base_b
		.amdhsa_group_segment_fixed_size 0
		.amdhsa_private_segment_fixed_size 0
		.amdhsa_kernarg_size 328
		.amdhsa_user_sgpr_count 2
		.amdhsa_user_sgpr_dispatch_ptr 0
		.amdhsa_user_sgpr_queue_ptr 0
		.amdhsa_user_sgpr_kernarg_segment_ptr 1
		.amdhsa_user_sgpr_dispatch_id 0
		.amdhsa_user_sgpr_kernarg_preload_length 0
		.amdhsa_user_sgpr_kernarg_preload_offset 0
		.amdhsa_user_sgpr_private_segment_size 0
		.amdhsa_wavefront_size32 1
		.amdhsa_uses_dynamic_stack 0
		.amdhsa_enable_private_segment 0
		.amdhsa_system_sgpr_workgroup_id_x 1
		.amdhsa_system_sgpr_workgroup_id_y 0
		.amdhsa_system_sgpr_workgroup_id_z 0
		.amdhsa_system_sgpr_workgroup_info 0
		.amdhsa_system_vgpr_workitem_id 0
		.amdhsa_next_free_vgpr 16
		.amdhsa_next_free_sgpr 22
		.amdhsa_named_barrier_count 0
		.amdhsa_reserve_vcc 1
		.amdhsa_float_round_mode_32 0
		.amdhsa_float_round_mode_16_64 0
		.amdhsa_float_denorm_mode_32 3
		.amdhsa_float_denorm_mode_16_64 3
		.amdhsa_fp16_overflow 0
		.amdhsa_memory_ordered 1
		.amdhsa_forward_progress 1
		.amdhsa_inst_pref_size 7
		.amdhsa_round_robin_scheduling 0
		.amdhsa_exception_fp_ieee_invalid_op 0
		.amdhsa_exception_fp_denorm_src 0
		.amdhsa_exception_fp_ieee_div_zero 0
		.amdhsa_exception_fp_ieee_overflow 0
		.amdhsa_exception_fp_ieee_underflow 0
		.amdhsa_exception_fp_ieee_inexact 0
		.amdhsa_exception_int_div_zero 0
	.end_amdhsa_kernel
	.section	.text._ZN9rocsparseL21csrmvt_general_kernelILj256ELj16EliDF16_DF16_ffEEvbbT2_NS_24const_host_device_scalarIT6_EEPKT1_S7_PKS1_PKT3_PKT4_PT5_21rocsparse_index_base_b,"axG",@progbits,_ZN9rocsparseL21csrmvt_general_kernelILj256ELj16EliDF16_DF16_ffEEvbbT2_NS_24const_host_device_scalarIT6_EEPKT1_S7_PKS1_PKT3_PKT4_PT5_21rocsparse_index_base_b,comdat
.Lfunc_end217:
	.size	_ZN9rocsparseL21csrmvt_general_kernelILj256ELj16EliDF16_DF16_ffEEvbbT2_NS_24const_host_device_scalarIT6_EEPKT1_S7_PKS1_PKT3_PKT4_PT5_21rocsparse_index_base_b, .Lfunc_end217-_ZN9rocsparseL21csrmvt_general_kernelILj256ELj16EliDF16_DF16_ffEEvbbT2_NS_24const_host_device_scalarIT6_EEPKT1_S7_PKS1_PKT3_PKT4_PT5_21rocsparse_index_base_b
                                        ; -- End function
	.set _ZN9rocsparseL21csrmvt_general_kernelILj256ELj16EliDF16_DF16_ffEEvbbT2_NS_24const_host_device_scalarIT6_EEPKT1_S7_PKS1_PKT3_PKT4_PT5_21rocsparse_index_base_b.num_vgpr, 16
	.set _ZN9rocsparseL21csrmvt_general_kernelILj256ELj16EliDF16_DF16_ffEEvbbT2_NS_24const_host_device_scalarIT6_EEPKT1_S7_PKS1_PKT3_PKT4_PT5_21rocsparse_index_base_b.num_agpr, 0
	.set _ZN9rocsparseL21csrmvt_general_kernelILj256ELj16EliDF16_DF16_ffEEvbbT2_NS_24const_host_device_scalarIT6_EEPKT1_S7_PKS1_PKT3_PKT4_PT5_21rocsparse_index_base_b.numbered_sgpr, 22
	.set _ZN9rocsparseL21csrmvt_general_kernelILj256ELj16EliDF16_DF16_ffEEvbbT2_NS_24const_host_device_scalarIT6_EEPKT1_S7_PKS1_PKT3_PKT4_PT5_21rocsparse_index_base_b.num_named_barrier, 0
	.set _ZN9rocsparseL21csrmvt_general_kernelILj256ELj16EliDF16_DF16_ffEEvbbT2_NS_24const_host_device_scalarIT6_EEPKT1_S7_PKS1_PKT3_PKT4_PT5_21rocsparse_index_base_b.private_seg_size, 0
	.set _ZN9rocsparseL21csrmvt_general_kernelILj256ELj16EliDF16_DF16_ffEEvbbT2_NS_24const_host_device_scalarIT6_EEPKT1_S7_PKS1_PKT3_PKT4_PT5_21rocsparse_index_base_b.uses_vcc, 1
	.set _ZN9rocsparseL21csrmvt_general_kernelILj256ELj16EliDF16_DF16_ffEEvbbT2_NS_24const_host_device_scalarIT6_EEPKT1_S7_PKS1_PKT3_PKT4_PT5_21rocsparse_index_base_b.uses_flat_scratch, 0
	.set _ZN9rocsparseL21csrmvt_general_kernelILj256ELj16EliDF16_DF16_ffEEvbbT2_NS_24const_host_device_scalarIT6_EEPKT1_S7_PKS1_PKT3_PKT4_PT5_21rocsparse_index_base_b.has_dyn_sized_stack, 0
	.set _ZN9rocsparseL21csrmvt_general_kernelILj256ELj16EliDF16_DF16_ffEEvbbT2_NS_24const_host_device_scalarIT6_EEPKT1_S7_PKS1_PKT3_PKT4_PT5_21rocsparse_index_base_b.has_recursion, 0
	.set _ZN9rocsparseL21csrmvt_general_kernelILj256ELj16EliDF16_DF16_ffEEvbbT2_NS_24const_host_device_scalarIT6_EEPKT1_S7_PKS1_PKT3_PKT4_PT5_21rocsparse_index_base_b.has_indirect_call, 0
	.section	.AMDGPU.csdata,"",@progbits
; Kernel info:
; codeLenInByte = 876
; TotalNumSgprs: 24
; NumVgprs: 16
; ScratchSize: 0
; MemoryBound: 0
; FloatMode: 240
; IeeeMode: 1
; LDSByteSize: 0 bytes/workgroup (compile time only)
; SGPRBlocks: 0
; VGPRBlocks: 0
; NumSGPRsForWavesPerEU: 24
; NumVGPRsForWavesPerEU: 16
; NamedBarCnt: 0
; Occupancy: 16
; WaveLimiterHint : 1
; COMPUTE_PGM_RSRC2:SCRATCH_EN: 0
; COMPUTE_PGM_RSRC2:USER_SGPR: 2
; COMPUTE_PGM_RSRC2:TRAP_HANDLER: 0
; COMPUTE_PGM_RSRC2:TGID_X_EN: 1
; COMPUTE_PGM_RSRC2:TGID_Y_EN: 0
; COMPUTE_PGM_RSRC2:TGID_Z_EN: 0
; COMPUTE_PGM_RSRC2:TIDIG_COMP_CNT: 0
	.section	.text._ZN9rocsparseL21csrmvt_general_kernelILj256ELj32EliDF16_DF16_ffEEvbbT2_NS_24const_host_device_scalarIT6_EEPKT1_S7_PKS1_PKT3_PKT4_PT5_21rocsparse_index_base_b,"axG",@progbits,_ZN9rocsparseL21csrmvt_general_kernelILj256ELj32EliDF16_DF16_ffEEvbbT2_NS_24const_host_device_scalarIT6_EEPKT1_S7_PKS1_PKT3_PKT4_PT5_21rocsparse_index_base_b,comdat
	.globl	_ZN9rocsparseL21csrmvt_general_kernelILj256ELj32EliDF16_DF16_ffEEvbbT2_NS_24const_host_device_scalarIT6_EEPKT1_S7_PKS1_PKT3_PKT4_PT5_21rocsparse_index_base_b ; -- Begin function _ZN9rocsparseL21csrmvt_general_kernelILj256ELj32EliDF16_DF16_ffEEvbbT2_NS_24const_host_device_scalarIT6_EEPKT1_S7_PKS1_PKT3_PKT4_PT5_21rocsparse_index_base_b
	.p2align	8
	.type	_ZN9rocsparseL21csrmvt_general_kernelILj256ELj32EliDF16_DF16_ffEEvbbT2_NS_24const_host_device_scalarIT6_EEPKT1_S7_PKS1_PKT3_PKT4_PT5_21rocsparse_index_base_b,@function
_ZN9rocsparseL21csrmvt_general_kernelILj256ELj32EliDF16_DF16_ffEEvbbT2_NS_24const_host_device_scalarIT6_EEPKT1_S7_PKS1_PKT3_PKT4_PT5_21rocsparse_index_base_b: ; @_ZN9rocsparseL21csrmvt_general_kernelILj256ELj32EliDF16_DF16_ffEEvbbT2_NS_24const_host_device_scalarIT6_EEPKT1_S7_PKS1_PKT3_PKT4_PT5_21rocsparse_index_base_b
; %bb.0:
	s_clause 0x1
	s_load_b64 s[2:3], s[0:1], 0x40
	s_load_b128 s[12:15], s[0:1], 0x8
	s_wait_kmcnt 0x0
	s_bitcmp1_b32 s3, 0
	s_cselect_b32 s3, -1, 0
	s_delay_alu instid0(SALU_CYCLE_1)
	s_and_b32 vcc_lo, exec_lo, s3
	s_cbranch_vccnz .LBB218_2
; %bb.1:
	s_load_b32 s12, s[12:13], 0x0
.LBB218_2:
	s_wait_kmcnt 0x0
	s_cmp_eq_f32 s12, 0
	s_cbranch_scc1 .LBB218_20
; %bb.3:
	s_clause 0x3
	s_load_b64 s[16:17], s[0:1], 0x0
	s_load_b32 s3, s[0:1], 0x48
	s_load_b64 s[18:19], s[0:1], 0x38
	s_load_b256 s[4:11], s[0:1], 0x18
	s_wait_xcnt 0x0
	s_bfe_u32 s0, ttmp6, 0x4000c
	s_and_b32 s13, ttmp6, 15
	s_add_co_i32 s0, s0, 1
	s_getreg_b32 s20, hwreg(HW_REG_IB_STS2, 6, 4)
	s_mul_i32 s0, ttmp9, s0
	s_delay_alu instid0(SALU_CYCLE_1)
	s_add_co_i32 s13, s13, s0
	s_wait_kmcnt 0x0
	s_and_b32 s16, s16, 1
	s_lshl_b32 s1, s3, 3
	s_cmp_eq_u32 s20, 0
	s_mov_b32 s3, -1
	s_cselect_b32 s0, ttmp9, s13
	s_cmp_eq_u32 s16, 0
	v_lshl_or_b32 v1, s0, 8, v0
	s_delay_alu instid0(VALU_DEP_1) | instskip(NEXT) | instid1(VALU_DEP_1)
	v_dual_lshrrev_b32 v2, 5, v1 :: v_dual_bitop2_b32 v0, 31, v0 bitop3:0x40
	v_cmp_gt_i32_e64 s0, s17, v2
	s_cbranch_scc0 .LBB218_11
; %bb.4:
	s_and_saveexec_b32 s13, s0
	s_cbranch_execz .LBB218_10
; %bb.5:
	v_dual_mov_b32 v1, 0 :: v_dual_mov_b32 v6, v2
	s_mov_b32 s3, 0
	s_delay_alu instid0(SALU_CYCLE_1) | instskip(NEXT) | instid1(VALU_DEP_1)
	s_mov_b32 s16, s3
	v_sub_nc_u64_e64 v[4:5], v[0:1], s[2:3]
	s_branch .LBB218_7
.LBB218_6:                              ;   in Loop: Header=BB218_7 Depth=1
	s_or_b32 exec_lo, exec_lo, s20
	v_add_nc_u32_e32 v6, s1, v6
	s_delay_alu instid0(VALU_DEP_1) | instskip(SKIP_1) | instid1(SALU_CYCLE_1)
	v_cmp_le_i32_e32 vcc_lo, s17, v6
	s_or_b32 s16, vcc_lo, s16
	s_and_not1_b32 exec_lo, exec_lo, s16
	s_cbranch_execz .LBB218_10
.LBB218_7:                              ; =>This Loop Header: Depth=1
                                        ;     Child Loop BB218_9 Depth 2
	s_clause 0x1
	global_load_b64 v[8:9], v6, s[4:5] scale_offset
	global_load_b64 v[10:11], v6, s[14:15] scale_offset
	s_mov_b32 s20, exec_lo
	s_wait_loadcnt 0x1
	v_sub_nc_u64_e64 v[8:9], v[8:9], s[2:3]
	s_wait_loadcnt 0x0
	v_add_nc_u64_e32 v[10:11], v[10:11], v[4:5]
	s_wait_xcnt 0x0
	s_delay_alu instid0(VALU_DEP_1)
	v_cmpx_lt_i64_e64 v[10:11], v[8:9]
	s_cbranch_execz .LBB218_6
; %bb.8:                                ;   in Loop: Header=BB218_7 Depth=1
	v_ashrrev_i32_e32 v7, 31, v6
	v_lshl_add_u64 v[14:15], v[10:11], 1, s[8:9]
	s_mov_b32 s21, 0
	s_delay_alu instid0(VALU_DEP_2)
	v_lshl_add_u64 v[12:13], v[6:7], 1, s[10:11]
	global_load_u16 v1, v[12:13], off
	s_wait_xcnt 0x0
	v_lshl_add_u64 v[12:13], v[10:11], 2, s[6:7]
	s_wait_loadcnt 0x0
	v_cvt_f32_f16_e32 v1, v1
	s_delay_alu instid0(VALU_DEP_1)
	v_mul_f32_e32 v1, s12, v1
.LBB218_9:                              ;   Parent Loop BB218_7 Depth=1
                                        ; =>  This Inner Loop Header: Depth=2
	global_load_u16 v3, v[14:15], off
	global_load_b32 v7, v[12:13], off
	v_add_nc_u64_e32 v[10:11], 32, v[10:11]
	s_wait_xcnt 0x0
	v_add_nc_u64_e32 v[12:13], 0x80, v[12:13]
	v_add_nc_u64_e32 v[14:15], 64, v[14:15]
	s_delay_alu instid0(VALU_DEP_3)
	v_cmp_ge_i64_e32 vcc_lo, v[10:11], v[8:9]
	s_or_b32 s21, vcc_lo, s21
	s_wait_loadcnt 0x1
	v_cvt_f32_f16_e32 v3, v3
	s_wait_loadcnt 0x0
	v_subrev_nc_u32_e32 v7, s2, v7
	s_delay_alu instid0(VALU_DEP_2)
	v_mul_f32_e32 v3, v1, v3
	global_atomic_add_f32 v7, v3, s[18:19] scale_offset scope:SCOPE_DEV
	s_wait_xcnt 0x0
	s_and_not1_b32 exec_lo, exec_lo, s21
	s_cbranch_execnz .LBB218_9
	s_branch .LBB218_6
.LBB218_10:
	s_or_b32 exec_lo, exec_lo, s13
	s_mov_b32 s3, 0
.LBB218_11:
	s_delay_alu instid0(SALU_CYCLE_1)
	s_and_not1_b32 vcc_lo, exec_lo, s3
	s_cbranch_vccnz .LBB218_20
; %bb.12:
	s_and_saveexec_b32 s3, s0
	s_cbranch_execz .LBB218_20
; %bb.13:
	v_mov_b32_e32 v1, 0
	s_mov_b32 s3, 0
	s_delay_alu instid0(SALU_CYCLE_1) | instskip(NEXT) | instid1(VALU_DEP_1)
	s_mov_b32 s0, s3
	v_sub_nc_u64_e64 v[0:1], v[0:1], s[2:3]
	s_branch .LBB218_15
.LBB218_14:                             ;   in Loop: Header=BB218_15 Depth=1
	s_or_b32 exec_lo, exec_lo, s13
	v_add_nc_u32_e32 v2, s1, v2
	s_delay_alu instid0(VALU_DEP_1) | instskip(SKIP_1) | instid1(SALU_CYCLE_1)
	v_cmp_le_i32_e32 vcc_lo, s17, v2
	s_or_b32 s0, vcc_lo, s0
	s_and_not1_b32 exec_lo, exec_lo, s0
	s_cbranch_execz .LBB218_20
.LBB218_15:                             ; =>This Loop Header: Depth=1
                                        ;     Child Loop BB218_18 Depth 2
	s_clause 0x1
	global_load_b64 v[4:5], v2, s[4:5] scale_offset
	global_load_b64 v[6:7], v2, s[14:15] scale_offset
	s_mov_b32 s13, exec_lo
	s_wait_loadcnt 0x1
	v_sub_nc_u64_e64 v[4:5], v[4:5], s[2:3]
	s_wait_loadcnt 0x0
	v_add_nc_u64_e32 v[6:7], v[6:7], v[0:1]
	s_wait_xcnt 0x0
	s_delay_alu instid0(VALU_DEP_1)
	v_cmpx_lt_i64_e64 v[6:7], v[4:5]
	s_cbranch_execz .LBB218_14
; %bb.16:                               ;   in Loop: Header=BB218_15 Depth=1
	v_ashrrev_i32_e32 v3, 31, v2
	v_lshl_add_u64 v[10:11], v[6:7], 1, s[8:9]
	s_mov_b32 s16, 0
	s_delay_alu instid0(VALU_DEP_2)
	v_lshl_add_u64 v[8:9], v[2:3], 1, s[10:11]
	global_load_u16 v3, v[8:9], off
	s_wait_xcnt 0x0
	v_lshl_add_u64 v[8:9], v[6:7], 2, s[6:7]
	s_wait_loadcnt 0x0
	v_cvt_f32_f16_e32 v3, v3
	s_delay_alu instid0(VALU_DEP_1)
	v_mul_f32_e32 v3, s12, v3
	s_branch .LBB218_18
.LBB218_17:                             ;   in Loop: Header=BB218_18 Depth=2
	s_wait_xcnt 0x0
	s_or_b32 exec_lo, exec_lo, s20
	v_add_nc_u64_e32 v[6:7], 32, v[6:7]
	v_add_nc_u64_e32 v[8:9], 0x80, v[8:9]
	;; [unrolled: 1-line block ×3, first 2 shown]
	s_delay_alu instid0(VALU_DEP_3) | instskip(SKIP_1) | instid1(SALU_CYCLE_1)
	v_cmp_ge_i64_e32 vcc_lo, v[6:7], v[4:5]
	s_or_b32 s16, vcc_lo, s16
	s_and_not1_b32 exec_lo, exec_lo, s16
	s_cbranch_execz .LBB218_14
.LBB218_18:                             ;   Parent Loop BB218_15 Depth=1
                                        ; =>  This Inner Loop Header: Depth=2
	global_load_b32 v12, v[8:9], off
	s_mov_b32 s20, exec_lo
	s_wait_loadcnt 0x0
	v_subrev_nc_u32_e32 v12, s2, v12
	s_wait_xcnt 0x0
	s_delay_alu instid0(VALU_DEP_1)
	v_cmpx_ne_u32_e64 v12, v2
	s_cbranch_execz .LBB218_17
; %bb.19:                               ;   in Loop: Header=BB218_18 Depth=2
	global_load_u16 v13, v[10:11], off
	s_wait_loadcnt 0x0
	v_cvt_f32_f16_e32 v13, v13
	s_delay_alu instid0(VALU_DEP_1)
	v_mul_f32_e32 v13, v3, v13
	s_wait_xcnt 0x0
	global_atomic_add_f32 v12, v13, s[18:19] scale_offset scope:SCOPE_DEV
	s_branch .LBB218_17
.LBB218_20:
	s_endpgm
	.section	.rodata,"a",@progbits
	.p2align	6, 0x0
	.amdhsa_kernel _ZN9rocsparseL21csrmvt_general_kernelILj256ELj32EliDF16_DF16_ffEEvbbT2_NS_24const_host_device_scalarIT6_EEPKT1_S7_PKS1_PKT3_PKT4_PT5_21rocsparse_index_base_b
		.amdhsa_group_segment_fixed_size 0
		.amdhsa_private_segment_fixed_size 0
		.amdhsa_kernarg_size 328
		.amdhsa_user_sgpr_count 2
		.amdhsa_user_sgpr_dispatch_ptr 0
		.amdhsa_user_sgpr_queue_ptr 0
		.amdhsa_user_sgpr_kernarg_segment_ptr 1
		.amdhsa_user_sgpr_dispatch_id 0
		.amdhsa_user_sgpr_kernarg_preload_length 0
		.amdhsa_user_sgpr_kernarg_preload_offset 0
		.amdhsa_user_sgpr_private_segment_size 0
		.amdhsa_wavefront_size32 1
		.amdhsa_uses_dynamic_stack 0
		.amdhsa_enable_private_segment 0
		.amdhsa_system_sgpr_workgroup_id_x 1
		.amdhsa_system_sgpr_workgroup_id_y 0
		.amdhsa_system_sgpr_workgroup_id_z 0
		.amdhsa_system_sgpr_workgroup_info 0
		.amdhsa_system_vgpr_workitem_id 0
		.amdhsa_next_free_vgpr 16
		.amdhsa_next_free_sgpr 22
		.amdhsa_named_barrier_count 0
		.amdhsa_reserve_vcc 1
		.amdhsa_float_round_mode_32 0
		.amdhsa_float_round_mode_16_64 0
		.amdhsa_float_denorm_mode_32 3
		.amdhsa_float_denorm_mode_16_64 3
		.amdhsa_fp16_overflow 0
		.amdhsa_memory_ordered 1
		.amdhsa_forward_progress 1
		.amdhsa_inst_pref_size 7
		.amdhsa_round_robin_scheduling 0
		.amdhsa_exception_fp_ieee_invalid_op 0
		.amdhsa_exception_fp_denorm_src 0
		.amdhsa_exception_fp_ieee_div_zero 0
		.amdhsa_exception_fp_ieee_overflow 0
		.amdhsa_exception_fp_ieee_underflow 0
		.amdhsa_exception_fp_ieee_inexact 0
		.amdhsa_exception_int_div_zero 0
	.end_amdhsa_kernel
	.section	.text._ZN9rocsparseL21csrmvt_general_kernelILj256ELj32EliDF16_DF16_ffEEvbbT2_NS_24const_host_device_scalarIT6_EEPKT1_S7_PKS1_PKT3_PKT4_PT5_21rocsparse_index_base_b,"axG",@progbits,_ZN9rocsparseL21csrmvt_general_kernelILj256ELj32EliDF16_DF16_ffEEvbbT2_NS_24const_host_device_scalarIT6_EEPKT1_S7_PKS1_PKT3_PKT4_PT5_21rocsparse_index_base_b,comdat
.Lfunc_end218:
	.size	_ZN9rocsparseL21csrmvt_general_kernelILj256ELj32EliDF16_DF16_ffEEvbbT2_NS_24const_host_device_scalarIT6_EEPKT1_S7_PKS1_PKT3_PKT4_PT5_21rocsparse_index_base_b, .Lfunc_end218-_ZN9rocsparseL21csrmvt_general_kernelILj256ELj32EliDF16_DF16_ffEEvbbT2_NS_24const_host_device_scalarIT6_EEPKT1_S7_PKS1_PKT3_PKT4_PT5_21rocsparse_index_base_b
                                        ; -- End function
	.set _ZN9rocsparseL21csrmvt_general_kernelILj256ELj32EliDF16_DF16_ffEEvbbT2_NS_24const_host_device_scalarIT6_EEPKT1_S7_PKS1_PKT3_PKT4_PT5_21rocsparse_index_base_b.num_vgpr, 16
	.set _ZN9rocsparseL21csrmvt_general_kernelILj256ELj32EliDF16_DF16_ffEEvbbT2_NS_24const_host_device_scalarIT6_EEPKT1_S7_PKS1_PKT3_PKT4_PT5_21rocsparse_index_base_b.num_agpr, 0
	.set _ZN9rocsparseL21csrmvt_general_kernelILj256ELj32EliDF16_DF16_ffEEvbbT2_NS_24const_host_device_scalarIT6_EEPKT1_S7_PKS1_PKT3_PKT4_PT5_21rocsparse_index_base_b.numbered_sgpr, 22
	.set _ZN9rocsparseL21csrmvt_general_kernelILj256ELj32EliDF16_DF16_ffEEvbbT2_NS_24const_host_device_scalarIT6_EEPKT1_S7_PKS1_PKT3_PKT4_PT5_21rocsparse_index_base_b.num_named_barrier, 0
	.set _ZN9rocsparseL21csrmvt_general_kernelILj256ELj32EliDF16_DF16_ffEEvbbT2_NS_24const_host_device_scalarIT6_EEPKT1_S7_PKS1_PKT3_PKT4_PT5_21rocsparse_index_base_b.private_seg_size, 0
	.set _ZN9rocsparseL21csrmvt_general_kernelILj256ELj32EliDF16_DF16_ffEEvbbT2_NS_24const_host_device_scalarIT6_EEPKT1_S7_PKS1_PKT3_PKT4_PT5_21rocsparse_index_base_b.uses_vcc, 1
	.set _ZN9rocsparseL21csrmvt_general_kernelILj256ELj32EliDF16_DF16_ffEEvbbT2_NS_24const_host_device_scalarIT6_EEPKT1_S7_PKS1_PKT3_PKT4_PT5_21rocsparse_index_base_b.uses_flat_scratch, 0
	.set _ZN9rocsparseL21csrmvt_general_kernelILj256ELj32EliDF16_DF16_ffEEvbbT2_NS_24const_host_device_scalarIT6_EEPKT1_S7_PKS1_PKT3_PKT4_PT5_21rocsparse_index_base_b.has_dyn_sized_stack, 0
	.set _ZN9rocsparseL21csrmvt_general_kernelILj256ELj32EliDF16_DF16_ffEEvbbT2_NS_24const_host_device_scalarIT6_EEPKT1_S7_PKS1_PKT3_PKT4_PT5_21rocsparse_index_base_b.has_recursion, 0
	.set _ZN9rocsparseL21csrmvt_general_kernelILj256ELj32EliDF16_DF16_ffEEvbbT2_NS_24const_host_device_scalarIT6_EEPKT1_S7_PKS1_PKT3_PKT4_PT5_21rocsparse_index_base_b.has_indirect_call, 0
	.section	.AMDGPU.csdata,"",@progbits
; Kernel info:
; codeLenInByte = 884
; TotalNumSgprs: 24
; NumVgprs: 16
; ScratchSize: 0
; MemoryBound: 0
; FloatMode: 240
; IeeeMode: 1
; LDSByteSize: 0 bytes/workgroup (compile time only)
; SGPRBlocks: 0
; VGPRBlocks: 0
; NumSGPRsForWavesPerEU: 24
; NumVGPRsForWavesPerEU: 16
; NamedBarCnt: 0
; Occupancy: 16
; WaveLimiterHint : 1
; COMPUTE_PGM_RSRC2:SCRATCH_EN: 0
; COMPUTE_PGM_RSRC2:USER_SGPR: 2
; COMPUTE_PGM_RSRC2:TRAP_HANDLER: 0
; COMPUTE_PGM_RSRC2:TGID_X_EN: 1
; COMPUTE_PGM_RSRC2:TGID_Y_EN: 0
; COMPUTE_PGM_RSRC2:TGID_Z_EN: 0
; COMPUTE_PGM_RSRC2:TIDIG_COMP_CNT: 0
	.section	.text._ZN9rocsparseL21csrmvt_general_kernelILj256ELj64EliDF16_DF16_ffEEvbbT2_NS_24const_host_device_scalarIT6_EEPKT1_S7_PKS1_PKT3_PKT4_PT5_21rocsparse_index_base_b,"axG",@progbits,_ZN9rocsparseL21csrmvt_general_kernelILj256ELj64EliDF16_DF16_ffEEvbbT2_NS_24const_host_device_scalarIT6_EEPKT1_S7_PKS1_PKT3_PKT4_PT5_21rocsparse_index_base_b,comdat
	.globl	_ZN9rocsparseL21csrmvt_general_kernelILj256ELj64EliDF16_DF16_ffEEvbbT2_NS_24const_host_device_scalarIT6_EEPKT1_S7_PKS1_PKT3_PKT4_PT5_21rocsparse_index_base_b ; -- Begin function _ZN9rocsparseL21csrmvt_general_kernelILj256ELj64EliDF16_DF16_ffEEvbbT2_NS_24const_host_device_scalarIT6_EEPKT1_S7_PKS1_PKT3_PKT4_PT5_21rocsparse_index_base_b
	.p2align	8
	.type	_ZN9rocsparseL21csrmvt_general_kernelILj256ELj64EliDF16_DF16_ffEEvbbT2_NS_24const_host_device_scalarIT6_EEPKT1_S7_PKS1_PKT3_PKT4_PT5_21rocsparse_index_base_b,@function
_ZN9rocsparseL21csrmvt_general_kernelILj256ELj64EliDF16_DF16_ffEEvbbT2_NS_24const_host_device_scalarIT6_EEPKT1_S7_PKS1_PKT3_PKT4_PT5_21rocsparse_index_base_b: ; @_ZN9rocsparseL21csrmvt_general_kernelILj256ELj64EliDF16_DF16_ffEEvbbT2_NS_24const_host_device_scalarIT6_EEPKT1_S7_PKS1_PKT3_PKT4_PT5_21rocsparse_index_base_b
; %bb.0:
	s_clause 0x1
	s_load_b64 s[2:3], s[0:1], 0x40
	s_load_b128 s[12:15], s[0:1], 0x8
	s_wait_kmcnt 0x0
	s_bitcmp1_b32 s3, 0
	s_cselect_b32 s3, -1, 0
	s_delay_alu instid0(SALU_CYCLE_1)
	s_and_b32 vcc_lo, exec_lo, s3
	s_cbranch_vccnz .LBB219_2
; %bb.1:
	s_load_b32 s12, s[12:13], 0x0
.LBB219_2:
	s_wait_kmcnt 0x0
	s_cmp_eq_f32 s12, 0
	s_cbranch_scc1 .LBB219_20
; %bb.3:
	s_clause 0x3
	s_load_b64 s[16:17], s[0:1], 0x0
	s_load_b32 s3, s[0:1], 0x48
	s_load_b64 s[18:19], s[0:1], 0x38
	s_load_b256 s[4:11], s[0:1], 0x18
	s_wait_xcnt 0x0
	s_bfe_u32 s0, ttmp6, 0x4000c
	s_and_b32 s13, ttmp6, 15
	s_add_co_i32 s0, s0, 1
	s_getreg_b32 s20, hwreg(HW_REG_IB_STS2, 6, 4)
	s_mul_i32 s0, ttmp9, s0
	s_delay_alu instid0(SALU_CYCLE_1)
	s_add_co_i32 s13, s13, s0
	s_wait_kmcnt 0x0
	s_and_b32 s16, s16, 1
	s_lshl_b32 s1, s3, 2
	s_cmp_eq_u32 s20, 0
	s_mov_b32 s3, -1
	s_cselect_b32 s0, ttmp9, s13
	s_cmp_eq_u32 s16, 0
	v_lshl_or_b32 v1, s0, 8, v0
	s_delay_alu instid0(VALU_DEP_1) | instskip(NEXT) | instid1(VALU_DEP_1)
	v_dual_lshrrev_b32 v2, 6, v1 :: v_dual_bitop2_b32 v0, 63, v0 bitop3:0x40
	v_cmp_gt_i32_e64 s0, s17, v2
	s_cbranch_scc0 .LBB219_11
; %bb.4:
	s_and_saveexec_b32 s13, s0
	s_cbranch_execz .LBB219_10
; %bb.5:
	v_dual_mov_b32 v1, 0 :: v_dual_mov_b32 v6, v2
	s_mov_b32 s3, 0
	s_delay_alu instid0(SALU_CYCLE_1) | instskip(NEXT) | instid1(VALU_DEP_1)
	s_mov_b32 s16, s3
	v_sub_nc_u64_e64 v[4:5], v[0:1], s[2:3]
	s_branch .LBB219_7
.LBB219_6:                              ;   in Loop: Header=BB219_7 Depth=1
	s_or_b32 exec_lo, exec_lo, s20
	v_add_nc_u32_e32 v6, s1, v6
	s_delay_alu instid0(VALU_DEP_1) | instskip(SKIP_1) | instid1(SALU_CYCLE_1)
	v_cmp_le_i32_e32 vcc_lo, s17, v6
	s_or_b32 s16, vcc_lo, s16
	s_and_not1_b32 exec_lo, exec_lo, s16
	s_cbranch_execz .LBB219_10
.LBB219_7:                              ; =>This Loop Header: Depth=1
                                        ;     Child Loop BB219_9 Depth 2
	s_clause 0x1
	global_load_b64 v[8:9], v6, s[4:5] scale_offset
	global_load_b64 v[10:11], v6, s[14:15] scale_offset
	s_mov_b32 s20, exec_lo
	s_wait_loadcnt 0x1
	v_sub_nc_u64_e64 v[8:9], v[8:9], s[2:3]
	s_wait_loadcnt 0x0
	v_add_nc_u64_e32 v[10:11], v[10:11], v[4:5]
	s_wait_xcnt 0x0
	s_delay_alu instid0(VALU_DEP_1)
	v_cmpx_lt_i64_e64 v[10:11], v[8:9]
	s_cbranch_execz .LBB219_6
; %bb.8:                                ;   in Loop: Header=BB219_7 Depth=1
	v_ashrrev_i32_e32 v7, 31, v6
	v_lshl_add_u64 v[14:15], v[10:11], 1, s[8:9]
	s_mov_b32 s21, 0
	s_delay_alu instid0(VALU_DEP_2)
	v_lshl_add_u64 v[12:13], v[6:7], 1, s[10:11]
	global_load_u16 v1, v[12:13], off
	s_wait_xcnt 0x0
	v_lshl_add_u64 v[12:13], v[10:11], 2, s[6:7]
	s_wait_loadcnt 0x0
	v_cvt_f32_f16_e32 v1, v1
	s_delay_alu instid0(VALU_DEP_1)
	v_mul_f32_e32 v1, s12, v1
.LBB219_9:                              ;   Parent Loop BB219_7 Depth=1
                                        ; =>  This Inner Loop Header: Depth=2
	global_load_u16 v3, v[14:15], off
	global_load_b32 v7, v[12:13], off
	v_add_nc_u64_e32 v[10:11], 64, v[10:11]
	s_wait_xcnt 0x0
	v_add_nc_u64_e32 v[12:13], 0x100, v[12:13]
	v_add_nc_u64_e32 v[14:15], 0x80, v[14:15]
	s_delay_alu instid0(VALU_DEP_3)
	v_cmp_ge_i64_e32 vcc_lo, v[10:11], v[8:9]
	s_or_b32 s21, vcc_lo, s21
	s_wait_loadcnt 0x1
	v_cvt_f32_f16_e32 v3, v3
	s_wait_loadcnt 0x0
	v_subrev_nc_u32_e32 v7, s2, v7
	s_delay_alu instid0(VALU_DEP_2)
	v_mul_f32_e32 v3, v1, v3
	global_atomic_add_f32 v7, v3, s[18:19] scale_offset scope:SCOPE_DEV
	s_wait_xcnt 0x0
	s_and_not1_b32 exec_lo, exec_lo, s21
	s_cbranch_execnz .LBB219_9
	s_branch .LBB219_6
.LBB219_10:
	s_or_b32 exec_lo, exec_lo, s13
	s_mov_b32 s3, 0
.LBB219_11:
	s_delay_alu instid0(SALU_CYCLE_1)
	s_and_not1_b32 vcc_lo, exec_lo, s3
	s_cbranch_vccnz .LBB219_20
; %bb.12:
	s_and_saveexec_b32 s3, s0
	s_cbranch_execz .LBB219_20
; %bb.13:
	v_mov_b32_e32 v1, 0
	s_mov_b32 s3, 0
	s_delay_alu instid0(SALU_CYCLE_1) | instskip(NEXT) | instid1(VALU_DEP_1)
	s_mov_b32 s0, s3
	v_sub_nc_u64_e64 v[0:1], v[0:1], s[2:3]
	s_branch .LBB219_15
.LBB219_14:                             ;   in Loop: Header=BB219_15 Depth=1
	s_or_b32 exec_lo, exec_lo, s13
	v_add_nc_u32_e32 v2, s1, v2
	s_delay_alu instid0(VALU_DEP_1) | instskip(SKIP_1) | instid1(SALU_CYCLE_1)
	v_cmp_le_i32_e32 vcc_lo, s17, v2
	s_or_b32 s0, vcc_lo, s0
	s_and_not1_b32 exec_lo, exec_lo, s0
	s_cbranch_execz .LBB219_20
.LBB219_15:                             ; =>This Loop Header: Depth=1
                                        ;     Child Loop BB219_18 Depth 2
	s_clause 0x1
	global_load_b64 v[4:5], v2, s[4:5] scale_offset
	global_load_b64 v[6:7], v2, s[14:15] scale_offset
	s_mov_b32 s13, exec_lo
	s_wait_loadcnt 0x1
	v_sub_nc_u64_e64 v[4:5], v[4:5], s[2:3]
	s_wait_loadcnt 0x0
	v_add_nc_u64_e32 v[6:7], v[6:7], v[0:1]
	s_wait_xcnt 0x0
	s_delay_alu instid0(VALU_DEP_1)
	v_cmpx_lt_i64_e64 v[6:7], v[4:5]
	s_cbranch_execz .LBB219_14
; %bb.16:                               ;   in Loop: Header=BB219_15 Depth=1
	v_ashrrev_i32_e32 v3, 31, v2
	v_lshl_add_u64 v[10:11], v[6:7], 1, s[8:9]
	s_mov_b32 s16, 0
	s_delay_alu instid0(VALU_DEP_2)
	v_lshl_add_u64 v[8:9], v[2:3], 1, s[10:11]
	global_load_u16 v3, v[8:9], off
	s_wait_xcnt 0x0
	v_lshl_add_u64 v[8:9], v[6:7], 2, s[6:7]
	s_wait_loadcnt 0x0
	v_cvt_f32_f16_e32 v3, v3
	s_delay_alu instid0(VALU_DEP_1)
	v_mul_f32_e32 v3, s12, v3
	s_branch .LBB219_18
.LBB219_17:                             ;   in Loop: Header=BB219_18 Depth=2
	s_wait_xcnt 0x0
	s_or_b32 exec_lo, exec_lo, s20
	v_add_nc_u64_e32 v[6:7], 64, v[6:7]
	v_add_nc_u64_e32 v[8:9], 0x100, v[8:9]
	;; [unrolled: 1-line block ×3, first 2 shown]
	s_delay_alu instid0(VALU_DEP_3) | instskip(SKIP_1) | instid1(SALU_CYCLE_1)
	v_cmp_ge_i64_e32 vcc_lo, v[6:7], v[4:5]
	s_or_b32 s16, vcc_lo, s16
	s_and_not1_b32 exec_lo, exec_lo, s16
	s_cbranch_execz .LBB219_14
.LBB219_18:                             ;   Parent Loop BB219_15 Depth=1
                                        ; =>  This Inner Loop Header: Depth=2
	global_load_b32 v12, v[8:9], off
	s_mov_b32 s20, exec_lo
	s_wait_loadcnt 0x0
	v_subrev_nc_u32_e32 v12, s2, v12
	s_wait_xcnt 0x0
	s_delay_alu instid0(VALU_DEP_1)
	v_cmpx_ne_u32_e64 v12, v2
	s_cbranch_execz .LBB219_17
; %bb.19:                               ;   in Loop: Header=BB219_18 Depth=2
	global_load_u16 v13, v[10:11], off
	s_wait_loadcnt 0x0
	v_cvt_f32_f16_e32 v13, v13
	s_delay_alu instid0(VALU_DEP_1)
	v_mul_f32_e32 v13, v3, v13
	s_wait_xcnt 0x0
	global_atomic_add_f32 v12, v13, s[18:19] scale_offset scope:SCOPE_DEV
	s_branch .LBB219_17
.LBB219_20:
	s_endpgm
	.section	.rodata,"a",@progbits
	.p2align	6, 0x0
	.amdhsa_kernel _ZN9rocsparseL21csrmvt_general_kernelILj256ELj64EliDF16_DF16_ffEEvbbT2_NS_24const_host_device_scalarIT6_EEPKT1_S7_PKS1_PKT3_PKT4_PT5_21rocsparse_index_base_b
		.amdhsa_group_segment_fixed_size 0
		.amdhsa_private_segment_fixed_size 0
		.amdhsa_kernarg_size 328
		.amdhsa_user_sgpr_count 2
		.amdhsa_user_sgpr_dispatch_ptr 0
		.amdhsa_user_sgpr_queue_ptr 0
		.amdhsa_user_sgpr_kernarg_segment_ptr 1
		.amdhsa_user_sgpr_dispatch_id 0
		.amdhsa_user_sgpr_kernarg_preload_length 0
		.amdhsa_user_sgpr_kernarg_preload_offset 0
		.amdhsa_user_sgpr_private_segment_size 0
		.amdhsa_wavefront_size32 1
		.amdhsa_uses_dynamic_stack 0
		.amdhsa_enable_private_segment 0
		.amdhsa_system_sgpr_workgroup_id_x 1
		.amdhsa_system_sgpr_workgroup_id_y 0
		.amdhsa_system_sgpr_workgroup_id_z 0
		.amdhsa_system_sgpr_workgroup_info 0
		.amdhsa_system_vgpr_workitem_id 0
		.amdhsa_next_free_vgpr 16
		.amdhsa_next_free_sgpr 22
		.amdhsa_named_barrier_count 0
		.amdhsa_reserve_vcc 1
		.amdhsa_float_round_mode_32 0
		.amdhsa_float_round_mode_16_64 0
		.amdhsa_float_denorm_mode_32 3
		.amdhsa_float_denorm_mode_16_64 3
		.amdhsa_fp16_overflow 0
		.amdhsa_memory_ordered 1
		.amdhsa_forward_progress 1
		.amdhsa_inst_pref_size 7
		.amdhsa_round_robin_scheduling 0
		.amdhsa_exception_fp_ieee_invalid_op 0
		.amdhsa_exception_fp_denorm_src 0
		.amdhsa_exception_fp_ieee_div_zero 0
		.amdhsa_exception_fp_ieee_overflow 0
		.amdhsa_exception_fp_ieee_underflow 0
		.amdhsa_exception_fp_ieee_inexact 0
		.amdhsa_exception_int_div_zero 0
	.end_amdhsa_kernel
	.section	.text._ZN9rocsparseL21csrmvt_general_kernelILj256ELj64EliDF16_DF16_ffEEvbbT2_NS_24const_host_device_scalarIT6_EEPKT1_S7_PKS1_PKT3_PKT4_PT5_21rocsparse_index_base_b,"axG",@progbits,_ZN9rocsparseL21csrmvt_general_kernelILj256ELj64EliDF16_DF16_ffEEvbbT2_NS_24const_host_device_scalarIT6_EEPKT1_S7_PKS1_PKT3_PKT4_PT5_21rocsparse_index_base_b,comdat
.Lfunc_end219:
	.size	_ZN9rocsparseL21csrmvt_general_kernelILj256ELj64EliDF16_DF16_ffEEvbbT2_NS_24const_host_device_scalarIT6_EEPKT1_S7_PKS1_PKT3_PKT4_PT5_21rocsparse_index_base_b, .Lfunc_end219-_ZN9rocsparseL21csrmvt_general_kernelILj256ELj64EliDF16_DF16_ffEEvbbT2_NS_24const_host_device_scalarIT6_EEPKT1_S7_PKS1_PKT3_PKT4_PT5_21rocsparse_index_base_b
                                        ; -- End function
	.set _ZN9rocsparseL21csrmvt_general_kernelILj256ELj64EliDF16_DF16_ffEEvbbT2_NS_24const_host_device_scalarIT6_EEPKT1_S7_PKS1_PKT3_PKT4_PT5_21rocsparse_index_base_b.num_vgpr, 16
	.set _ZN9rocsparseL21csrmvt_general_kernelILj256ELj64EliDF16_DF16_ffEEvbbT2_NS_24const_host_device_scalarIT6_EEPKT1_S7_PKS1_PKT3_PKT4_PT5_21rocsparse_index_base_b.num_agpr, 0
	.set _ZN9rocsparseL21csrmvt_general_kernelILj256ELj64EliDF16_DF16_ffEEvbbT2_NS_24const_host_device_scalarIT6_EEPKT1_S7_PKS1_PKT3_PKT4_PT5_21rocsparse_index_base_b.numbered_sgpr, 22
	.set _ZN9rocsparseL21csrmvt_general_kernelILj256ELj64EliDF16_DF16_ffEEvbbT2_NS_24const_host_device_scalarIT6_EEPKT1_S7_PKS1_PKT3_PKT4_PT5_21rocsparse_index_base_b.num_named_barrier, 0
	.set _ZN9rocsparseL21csrmvt_general_kernelILj256ELj64EliDF16_DF16_ffEEvbbT2_NS_24const_host_device_scalarIT6_EEPKT1_S7_PKS1_PKT3_PKT4_PT5_21rocsparse_index_base_b.private_seg_size, 0
	.set _ZN9rocsparseL21csrmvt_general_kernelILj256ELj64EliDF16_DF16_ffEEvbbT2_NS_24const_host_device_scalarIT6_EEPKT1_S7_PKS1_PKT3_PKT4_PT5_21rocsparse_index_base_b.uses_vcc, 1
	.set _ZN9rocsparseL21csrmvt_general_kernelILj256ELj64EliDF16_DF16_ffEEvbbT2_NS_24const_host_device_scalarIT6_EEPKT1_S7_PKS1_PKT3_PKT4_PT5_21rocsparse_index_base_b.uses_flat_scratch, 0
	.set _ZN9rocsparseL21csrmvt_general_kernelILj256ELj64EliDF16_DF16_ffEEvbbT2_NS_24const_host_device_scalarIT6_EEPKT1_S7_PKS1_PKT3_PKT4_PT5_21rocsparse_index_base_b.has_dyn_sized_stack, 0
	.set _ZN9rocsparseL21csrmvt_general_kernelILj256ELj64EliDF16_DF16_ffEEvbbT2_NS_24const_host_device_scalarIT6_EEPKT1_S7_PKS1_PKT3_PKT4_PT5_21rocsparse_index_base_b.has_recursion, 0
	.set _ZN9rocsparseL21csrmvt_general_kernelILj256ELj64EliDF16_DF16_ffEEvbbT2_NS_24const_host_device_scalarIT6_EEPKT1_S7_PKS1_PKT3_PKT4_PT5_21rocsparse_index_base_b.has_indirect_call, 0
	.section	.AMDGPU.csdata,"",@progbits
; Kernel info:
; codeLenInByte = 892
; TotalNumSgprs: 24
; NumVgprs: 16
; ScratchSize: 0
; MemoryBound: 0
; FloatMode: 240
; IeeeMode: 1
; LDSByteSize: 0 bytes/workgroup (compile time only)
; SGPRBlocks: 0
; VGPRBlocks: 0
; NumSGPRsForWavesPerEU: 24
; NumVGPRsForWavesPerEU: 16
; NamedBarCnt: 0
; Occupancy: 16
; WaveLimiterHint : 1
; COMPUTE_PGM_RSRC2:SCRATCH_EN: 0
; COMPUTE_PGM_RSRC2:USER_SGPR: 2
; COMPUTE_PGM_RSRC2:TRAP_HANDLER: 0
; COMPUTE_PGM_RSRC2:TGID_X_EN: 1
; COMPUTE_PGM_RSRC2:TGID_Y_EN: 0
; COMPUTE_PGM_RSRC2:TGID_Z_EN: 0
; COMPUTE_PGM_RSRC2:TIDIG_COMP_CNT: 0
	.section	.text._ZN9rocsparseL21csrmvn_general_kernelILj256ELj2EllDF16_DF16_ffEEvbT2_NS_24const_host_device_scalarIT6_EEPKT1_S7_PKS1_PKT3_PKT4_S4_PT5_21rocsparse_index_base_b,"axG",@progbits,_ZN9rocsparseL21csrmvn_general_kernelILj256ELj2EllDF16_DF16_ffEEvbT2_NS_24const_host_device_scalarIT6_EEPKT1_S7_PKS1_PKT3_PKT4_S4_PT5_21rocsparse_index_base_b,comdat
	.globl	_ZN9rocsparseL21csrmvn_general_kernelILj256ELj2EllDF16_DF16_ffEEvbT2_NS_24const_host_device_scalarIT6_EEPKT1_S7_PKS1_PKT3_PKT4_S4_PT5_21rocsparse_index_base_b ; -- Begin function _ZN9rocsparseL21csrmvn_general_kernelILj256ELj2EllDF16_DF16_ffEEvbT2_NS_24const_host_device_scalarIT6_EEPKT1_S7_PKS1_PKT3_PKT4_S4_PT5_21rocsparse_index_base_b
	.p2align	8
	.type	_ZN9rocsparseL21csrmvn_general_kernelILj256ELj2EllDF16_DF16_ffEEvbT2_NS_24const_host_device_scalarIT6_EEPKT1_S7_PKS1_PKT3_PKT4_S4_PT5_21rocsparse_index_base_b,@function
_ZN9rocsparseL21csrmvn_general_kernelILj256ELj2EllDF16_DF16_ffEEvbT2_NS_24const_host_device_scalarIT6_EEPKT1_S7_PKS1_PKT3_PKT4_S4_PT5_21rocsparse_index_base_b: ; @_ZN9rocsparseL21csrmvn_general_kernelILj256ELj2EllDF16_DF16_ffEEvbT2_NS_24const_host_device_scalarIT6_EEPKT1_S7_PKS1_PKT3_PKT4_S4_PT5_21rocsparse_index_base_b
; %bb.0:
	s_clause 0x2
	s_load_b64 s[2:3], s[0:1], 0x50
	s_load_b64 s[16:17], s[0:1], 0x40
	s_load_b256 s[4:11], s[0:1], 0x8
	s_wait_kmcnt 0x0
	s_bitcmp1_b32 s3, 0
	s_cselect_b32 s3, -1, 0
	s_delay_alu instid0(SALU_CYCLE_1)
	s_and_b32 vcc_lo, exec_lo, s3
	s_xor_b32 s3, s3, -1
	s_cbranch_vccnz .LBB220_2
; %bb.1:
	s_load_b32 s6, s[6:7], 0x0
.LBB220_2:
	s_and_not1_b32 vcc_lo, exec_lo, s3
	s_cbranch_vccnz .LBB220_4
; %bb.3:
	s_load_b32 s16, s[16:17], 0x0
.LBB220_4:
	s_wait_kmcnt 0x0
	s_cmp_neq_f32 s6, 0
	s_cselect_b32 s3, -1, 0
	s_cmp_neq_f32 s16, 1.0
	s_cselect_b32 s7, -1, 0
	s_delay_alu instid0(SALU_CYCLE_1) | instskip(NEXT) | instid1(SALU_CYCLE_1)
	s_or_b32 s3, s3, s7
	s_and_not1_b32 vcc_lo, exec_lo, s3
	s_cbranch_vccnz .LBB220_16
; %bb.5:
	s_bfe_u32 s3, ttmp6, 0x4000c
	s_and_b32 s7, ttmp6, 15
	s_add_co_i32 s3, s3, 1
	s_getreg_b32 s12, hwreg(HW_REG_IB_STS2, 6, 4)
	s_mul_i32 s3, ttmp9, s3
	v_mov_b32_e32 v3, 0
	s_add_co_i32 s7, s7, s3
	s_cmp_eq_u32 s12, 0
	s_cselect_b32 s3, ttmp9, s7
	s_delay_alu instid0(SALU_CYCLE_1) | instskip(SKIP_1) | instid1(VALU_DEP_1)
	v_lshl_or_b32 v1, s3, 8, v0
	s_mov_b32 s3, exec_lo
	v_lshrrev_b32_e32 v2, 1, v1
	s_delay_alu instid0(VALU_DEP_1)
	v_cmpx_gt_i64_e64 s[4:5], v[2:3]
	s_cbranch_execz .LBB220_16
; %bb.6:
	s_clause 0x1
	s_load_b32 s7, s[0:1], 0x58
	s_load_b64 s[18:19], s[0:1], 0x48
	v_mbcnt_lo_u32_b32 v1, -1, 0
	s_clause 0x1
	s_load_b64 s[22:23], s[0:1], 0x38
	s_load_b128 s[12:15], s[0:1], 0x28
	v_dual_mov_b32 v5, v3 :: v_dual_bitop2_b32 v4, 1, v0 bitop3:0x40
	s_mov_b32 s21, 0
	v_xor_b32_e32 v0, 1, v1
	s_wait_xcnt 0x0
	s_ashr_i32 s1, s2, 31
	s_mov_b32 s0, s2
	s_mov_b32 s3, s21
	s_lshl_b64 s[24:25], s[0:1], 1
	v_cmp_gt_i32_e32 vcc_lo, 32, v0
	v_cmp_eq_u32_e64 s0, 1, v4
	v_cndmask_b32_e32 v6, v1, v0, vcc_lo
	v_sub_nc_u64_e64 v[0:1], v[4:5], s[2:3]
	s_wait_kmcnt 0x0
	s_lshl_b32 s20, s7, 7
	s_cmp_neq_f32 s16, 0
	v_lshlrev_b32_e32 v12, 2, v6
	s_sub_nc_u64 s[22:23], s[22:23], s[24:25]
	s_mov_b32 s7, s21
	s_cselect_b32 s1, -1, 0
	s_branch .LBB220_9
.LBB220_7:                              ;   in Loop: Header=BB220_9 Depth=1
	global_store_b32 v[4:5], v6, off
.LBB220_8:                              ;   in Loop: Header=BB220_9 Depth=1
	s_wait_xcnt 0x0
	s_or_b32 exec_lo, exec_lo, s17
	v_add_nc_u64_e32 v[2:3], s[20:21], v[2:3]
	s_delay_alu instid0(VALU_DEP_1) | instskip(SKIP_1) | instid1(SALU_CYCLE_1)
	v_cmp_le_i64_e32 vcc_lo, s[4:5], v[2:3]
	s_or_b32 s7, vcc_lo, s7
	s_and_not1_b32 exec_lo, exec_lo, s7
	s_cbranch_execz .LBB220_16
.LBB220_9:                              ; =>This Loop Header: Depth=1
                                        ;     Child Loop BB220_11 Depth 2
	s_wait_dscnt 0x0
	v_lshlrev_b64_e32 v[4:5], 3, v[2:3]
	v_mov_b32_e32 v13, 0
	s_mov_b32 s17, exec_lo
	s_delay_alu instid0(VALU_DEP_2)
	v_add_nc_u64_e32 v[6:7], s[10:11], v[4:5]
	v_add_nc_u64_e32 v[4:5], s[8:9], v[4:5]
	global_load_b64 v[8:9], v[6:7], off
	global_load_b64 v[10:11], v[4:5], off
	s_wait_loadcnt 0x1
	s_wait_xcnt 0x0
	v_sub_nc_u64_e64 v[4:5], v[8:9], s[2:3]
	s_wait_loadcnt 0x0
	v_add_nc_u64_e32 v[6:7], v[10:11], v[0:1]
	s_delay_alu instid0(VALU_DEP_1)
	v_cmpx_lt_i64_e64 v[6:7], v[4:5]
	s_cbranch_execz .LBB220_13
; %bb.10:                               ;   in Loop: Header=BB220_9 Depth=1
	v_lshl_add_u64 v[8:9], v[6:7], 1, s[14:15]
	v_lshl_add_u64 v[10:11], v[6:7], 3, s[12:13]
	v_mov_b32_e32 v13, 0
	s_mov_b32 s24, 0
.LBB220_11:                             ;   Parent Loop BB220_9 Depth=1
                                        ; =>  This Inner Loop Header: Depth=2
	global_load_b64 v[14:15], v[10:11], off
	global_load_u16 v16, v[8:9], off
	v_add_nc_u64_e32 v[6:7], 2, v[6:7]
	s_wait_xcnt 0x0
	v_add_nc_u64_e32 v[8:9], 4, v[8:9]
	v_add_nc_u64_e32 v[10:11], 16, v[10:11]
	s_delay_alu instid0(VALU_DEP_3)
	v_cmp_ge_i64_e32 vcc_lo, v[6:7], v[4:5]
	s_or_b32 s24, vcc_lo, s24
	s_wait_loadcnt 0x1
	v_lshl_add_u64 v[14:15], v[14:15], 1, s[22:23]
	global_load_u16 v14, v[14:15], off
	s_wait_loadcnt 0x1
	s_wait_xcnt 0x0
	v_cvt_f32_f16_e32 v15, v16
	s_delay_alu instid0(VALU_DEP_1) | instskip(SKIP_1) | instid1(VALU_DEP_1)
	v_mul_f32_e32 v15, s6, v15
	s_wait_loadcnt 0x0
	v_fma_mix_f32 v13, v15, v14, v13 op_sel_hi:[0,1,0]
	s_and_not1_b32 exec_lo, exec_lo, s24
	s_cbranch_execnz .LBB220_11
; %bb.12:                               ;   in Loop: Header=BB220_9 Depth=1
	s_or_b32 exec_lo, exec_lo, s24
.LBB220_13:                             ;   in Loop: Header=BB220_9 Depth=1
	s_delay_alu instid0(SALU_CYCLE_1)
	s_or_b32 exec_lo, exec_lo, s17
	ds_bpermute_b32 v4, v12, v13
	s_and_saveexec_b32 s17, s0
	s_cbranch_execz .LBB220_8
; %bb.14:                               ;   in Loop: Header=BB220_9 Depth=1
	s_wait_dscnt 0x0
	v_add_f32_e32 v6, v13, v4
	v_lshl_add_u64 v[4:5], v[2:3], 2, s[18:19]
	s_and_not1_b32 vcc_lo, exec_lo, s1
	s_cbranch_vccnz .LBB220_7
; %bb.15:                               ;   in Loop: Header=BB220_9 Depth=1
	global_load_b32 v7, v[4:5], off
	s_wait_loadcnt 0x0
	v_fmac_f32_e32 v6, s16, v7
	s_branch .LBB220_7
.LBB220_16:
	s_endpgm
	.section	.rodata,"a",@progbits
	.p2align	6, 0x0
	.amdhsa_kernel _ZN9rocsparseL21csrmvn_general_kernelILj256ELj2EllDF16_DF16_ffEEvbT2_NS_24const_host_device_scalarIT6_EEPKT1_S7_PKS1_PKT3_PKT4_S4_PT5_21rocsparse_index_base_b
		.amdhsa_group_segment_fixed_size 0
		.amdhsa_private_segment_fixed_size 0
		.amdhsa_kernarg_size 344
		.amdhsa_user_sgpr_count 2
		.amdhsa_user_sgpr_dispatch_ptr 0
		.amdhsa_user_sgpr_queue_ptr 0
		.amdhsa_user_sgpr_kernarg_segment_ptr 1
		.amdhsa_user_sgpr_dispatch_id 0
		.amdhsa_user_sgpr_kernarg_preload_length 0
		.amdhsa_user_sgpr_kernarg_preload_offset 0
		.amdhsa_user_sgpr_private_segment_size 0
		.amdhsa_wavefront_size32 1
		.amdhsa_uses_dynamic_stack 0
		.amdhsa_enable_private_segment 0
		.amdhsa_system_sgpr_workgroup_id_x 1
		.amdhsa_system_sgpr_workgroup_id_y 0
		.amdhsa_system_sgpr_workgroup_id_z 0
		.amdhsa_system_sgpr_workgroup_info 0
		.amdhsa_system_vgpr_workitem_id 0
		.amdhsa_next_free_vgpr 17
		.amdhsa_next_free_sgpr 26
		.amdhsa_named_barrier_count 0
		.amdhsa_reserve_vcc 1
		.amdhsa_float_round_mode_32 0
		.amdhsa_float_round_mode_16_64 0
		.amdhsa_float_denorm_mode_32 3
		.amdhsa_float_denorm_mode_16_64 3
		.amdhsa_fp16_overflow 0
		.amdhsa_memory_ordered 1
		.amdhsa_forward_progress 1
		.amdhsa_inst_pref_size 6
		.amdhsa_round_robin_scheduling 0
		.amdhsa_exception_fp_ieee_invalid_op 0
		.amdhsa_exception_fp_denorm_src 0
		.amdhsa_exception_fp_ieee_div_zero 0
		.amdhsa_exception_fp_ieee_overflow 0
		.amdhsa_exception_fp_ieee_underflow 0
		.amdhsa_exception_fp_ieee_inexact 0
		.amdhsa_exception_int_div_zero 0
	.end_amdhsa_kernel
	.section	.text._ZN9rocsparseL21csrmvn_general_kernelILj256ELj2EllDF16_DF16_ffEEvbT2_NS_24const_host_device_scalarIT6_EEPKT1_S7_PKS1_PKT3_PKT4_S4_PT5_21rocsparse_index_base_b,"axG",@progbits,_ZN9rocsparseL21csrmvn_general_kernelILj256ELj2EllDF16_DF16_ffEEvbT2_NS_24const_host_device_scalarIT6_EEPKT1_S7_PKS1_PKT3_PKT4_S4_PT5_21rocsparse_index_base_b,comdat
.Lfunc_end220:
	.size	_ZN9rocsparseL21csrmvn_general_kernelILj256ELj2EllDF16_DF16_ffEEvbT2_NS_24const_host_device_scalarIT6_EEPKT1_S7_PKS1_PKT3_PKT4_S4_PT5_21rocsparse_index_base_b, .Lfunc_end220-_ZN9rocsparseL21csrmvn_general_kernelILj256ELj2EllDF16_DF16_ffEEvbT2_NS_24const_host_device_scalarIT6_EEPKT1_S7_PKS1_PKT3_PKT4_S4_PT5_21rocsparse_index_base_b
                                        ; -- End function
	.set _ZN9rocsparseL21csrmvn_general_kernelILj256ELj2EllDF16_DF16_ffEEvbT2_NS_24const_host_device_scalarIT6_EEPKT1_S7_PKS1_PKT3_PKT4_S4_PT5_21rocsparse_index_base_b.num_vgpr, 17
	.set _ZN9rocsparseL21csrmvn_general_kernelILj256ELj2EllDF16_DF16_ffEEvbT2_NS_24const_host_device_scalarIT6_EEPKT1_S7_PKS1_PKT3_PKT4_S4_PT5_21rocsparse_index_base_b.num_agpr, 0
	.set _ZN9rocsparseL21csrmvn_general_kernelILj256ELj2EllDF16_DF16_ffEEvbT2_NS_24const_host_device_scalarIT6_EEPKT1_S7_PKS1_PKT3_PKT4_S4_PT5_21rocsparse_index_base_b.numbered_sgpr, 26
	.set _ZN9rocsparseL21csrmvn_general_kernelILj256ELj2EllDF16_DF16_ffEEvbT2_NS_24const_host_device_scalarIT6_EEPKT1_S7_PKS1_PKT3_PKT4_S4_PT5_21rocsparse_index_base_b.num_named_barrier, 0
	.set _ZN9rocsparseL21csrmvn_general_kernelILj256ELj2EllDF16_DF16_ffEEvbT2_NS_24const_host_device_scalarIT6_EEPKT1_S7_PKS1_PKT3_PKT4_S4_PT5_21rocsparse_index_base_b.private_seg_size, 0
	.set _ZN9rocsparseL21csrmvn_general_kernelILj256ELj2EllDF16_DF16_ffEEvbT2_NS_24const_host_device_scalarIT6_EEPKT1_S7_PKS1_PKT3_PKT4_S4_PT5_21rocsparse_index_base_b.uses_vcc, 1
	.set _ZN9rocsparseL21csrmvn_general_kernelILj256ELj2EllDF16_DF16_ffEEvbT2_NS_24const_host_device_scalarIT6_EEPKT1_S7_PKS1_PKT3_PKT4_S4_PT5_21rocsparse_index_base_b.uses_flat_scratch, 0
	.set _ZN9rocsparseL21csrmvn_general_kernelILj256ELj2EllDF16_DF16_ffEEvbT2_NS_24const_host_device_scalarIT6_EEPKT1_S7_PKS1_PKT3_PKT4_S4_PT5_21rocsparse_index_base_b.has_dyn_sized_stack, 0
	.set _ZN9rocsparseL21csrmvn_general_kernelILj256ELj2EllDF16_DF16_ffEEvbT2_NS_24const_host_device_scalarIT6_EEPKT1_S7_PKS1_PKT3_PKT4_S4_PT5_21rocsparse_index_base_b.has_recursion, 0
	.set _ZN9rocsparseL21csrmvn_general_kernelILj256ELj2EllDF16_DF16_ffEEvbT2_NS_24const_host_device_scalarIT6_EEPKT1_S7_PKS1_PKT3_PKT4_S4_PT5_21rocsparse_index_base_b.has_indirect_call, 0
	.section	.AMDGPU.csdata,"",@progbits
; Kernel info:
; codeLenInByte = 692
; TotalNumSgprs: 28
; NumVgprs: 17
; ScratchSize: 0
; MemoryBound: 0
; FloatMode: 240
; IeeeMode: 1
; LDSByteSize: 0 bytes/workgroup (compile time only)
; SGPRBlocks: 0
; VGPRBlocks: 1
; NumSGPRsForWavesPerEU: 28
; NumVGPRsForWavesPerEU: 17
; NamedBarCnt: 0
; Occupancy: 16
; WaveLimiterHint : 1
; COMPUTE_PGM_RSRC2:SCRATCH_EN: 0
; COMPUTE_PGM_RSRC2:USER_SGPR: 2
; COMPUTE_PGM_RSRC2:TRAP_HANDLER: 0
; COMPUTE_PGM_RSRC2:TGID_X_EN: 1
; COMPUTE_PGM_RSRC2:TGID_Y_EN: 0
; COMPUTE_PGM_RSRC2:TGID_Z_EN: 0
; COMPUTE_PGM_RSRC2:TIDIG_COMP_CNT: 0
	.section	.text._ZN9rocsparseL21csrmvn_general_kernelILj256ELj4EllDF16_DF16_ffEEvbT2_NS_24const_host_device_scalarIT6_EEPKT1_S7_PKS1_PKT3_PKT4_S4_PT5_21rocsparse_index_base_b,"axG",@progbits,_ZN9rocsparseL21csrmvn_general_kernelILj256ELj4EllDF16_DF16_ffEEvbT2_NS_24const_host_device_scalarIT6_EEPKT1_S7_PKS1_PKT3_PKT4_S4_PT5_21rocsparse_index_base_b,comdat
	.globl	_ZN9rocsparseL21csrmvn_general_kernelILj256ELj4EllDF16_DF16_ffEEvbT2_NS_24const_host_device_scalarIT6_EEPKT1_S7_PKS1_PKT3_PKT4_S4_PT5_21rocsparse_index_base_b ; -- Begin function _ZN9rocsparseL21csrmvn_general_kernelILj256ELj4EllDF16_DF16_ffEEvbT2_NS_24const_host_device_scalarIT6_EEPKT1_S7_PKS1_PKT3_PKT4_S4_PT5_21rocsparse_index_base_b
	.p2align	8
	.type	_ZN9rocsparseL21csrmvn_general_kernelILj256ELj4EllDF16_DF16_ffEEvbT2_NS_24const_host_device_scalarIT6_EEPKT1_S7_PKS1_PKT3_PKT4_S4_PT5_21rocsparse_index_base_b,@function
_ZN9rocsparseL21csrmvn_general_kernelILj256ELj4EllDF16_DF16_ffEEvbT2_NS_24const_host_device_scalarIT6_EEPKT1_S7_PKS1_PKT3_PKT4_S4_PT5_21rocsparse_index_base_b: ; @_ZN9rocsparseL21csrmvn_general_kernelILj256ELj4EllDF16_DF16_ffEEvbT2_NS_24const_host_device_scalarIT6_EEPKT1_S7_PKS1_PKT3_PKT4_S4_PT5_21rocsparse_index_base_b
; %bb.0:
	s_clause 0x2
	s_load_b64 s[2:3], s[0:1], 0x50
	s_load_b64 s[16:17], s[0:1], 0x40
	s_load_b256 s[4:11], s[0:1], 0x8
	s_wait_kmcnt 0x0
	s_bitcmp1_b32 s3, 0
	s_cselect_b32 s3, -1, 0
	s_delay_alu instid0(SALU_CYCLE_1)
	s_and_b32 vcc_lo, exec_lo, s3
	s_xor_b32 s3, s3, -1
	s_cbranch_vccnz .LBB221_2
; %bb.1:
	s_load_b32 s6, s[6:7], 0x0
.LBB221_2:
	s_and_not1_b32 vcc_lo, exec_lo, s3
	s_cbranch_vccnz .LBB221_4
; %bb.3:
	s_load_b32 s16, s[16:17], 0x0
.LBB221_4:
	s_wait_kmcnt 0x0
	s_cmp_neq_f32 s6, 0
	s_cselect_b32 s3, -1, 0
	s_cmp_neq_f32 s16, 1.0
	s_cselect_b32 s7, -1, 0
	s_delay_alu instid0(SALU_CYCLE_1) | instskip(NEXT) | instid1(SALU_CYCLE_1)
	s_or_b32 s3, s3, s7
	s_and_not1_b32 vcc_lo, exec_lo, s3
	s_cbranch_vccnz .LBB221_16
; %bb.5:
	s_bfe_u32 s3, ttmp6, 0x4000c
	s_and_b32 s7, ttmp6, 15
	s_add_co_i32 s3, s3, 1
	s_getreg_b32 s12, hwreg(HW_REG_IB_STS2, 6, 4)
	s_mul_i32 s3, ttmp9, s3
	v_mov_b32_e32 v3, 0
	s_add_co_i32 s7, s7, s3
	s_cmp_eq_u32 s12, 0
	s_cselect_b32 s3, ttmp9, s7
	s_delay_alu instid0(SALU_CYCLE_1) | instskip(SKIP_1) | instid1(VALU_DEP_1)
	v_lshl_or_b32 v1, s3, 8, v0
	s_mov_b32 s3, exec_lo
	v_lshrrev_b32_e32 v2, 2, v1
	s_delay_alu instid0(VALU_DEP_1)
	v_cmpx_gt_i64_e64 s[4:5], v[2:3]
	s_cbranch_execz .LBB221_16
; %bb.6:
	v_mbcnt_lo_u32_b32 v6, -1, 0
	s_clause 0x3
	s_load_b32 s7, s[0:1], 0x58
	s_load_b64 s[18:19], s[0:1], 0x48
	s_load_b128 s[12:15], s[0:1], 0x28
	s_load_b64 s[22:23], s[0:1], 0x38
	v_dual_mov_b32 v5, v3 :: v_dual_bitop2_b32 v4, 3, v0 bitop3:0x40
	s_mov_b32 s21, 0
	v_xor_b32_e32 v8, 1, v6
	v_xor_b32_e32 v7, 2, v6
	s_mov_b32 s3, s21
	s_wait_xcnt 0x0
	s_ashr_i32 s1, s2, 31
	v_sub_nc_u64_e64 v[0:1], v[4:5], s[2:3]
	s_mov_b32 s0, s2
	v_cmp_gt_i32_e32 vcc_lo, 32, v7
	s_lshl_b64 s[24:25], s[0:1], 1
	v_cmp_eq_u32_e64 s0, 3, v4
	v_cndmask_b32_e32 v5, v6, v7, vcc_lo
	v_cmp_gt_i32_e32 vcc_lo, 32, v8
	s_wait_kmcnt 0x0
	s_lshl_b32 s20, s7, 6
	s_cmp_neq_f32 s16, 0
	s_mov_b32 s7, s21
	s_sub_nc_u64 s[22:23], s[22:23], s[24:25]
	v_dual_cndmask_b32 v6, v6, v8, vcc_lo :: v_dual_lshlrev_b32 v12, 2, v5
	s_cselect_b32 s1, -1, 0
	s_delay_alu instid0(VALU_DEP_1)
	v_lshlrev_b32_e32 v13, 2, v6
	s_branch .LBB221_9
.LBB221_7:                              ;   in Loop: Header=BB221_9 Depth=1
	global_store_b32 v[4:5], v6, off
.LBB221_8:                              ;   in Loop: Header=BB221_9 Depth=1
	s_wait_xcnt 0x0
	s_or_b32 exec_lo, exec_lo, s17
	v_add_nc_u64_e32 v[2:3], s[20:21], v[2:3]
	s_delay_alu instid0(VALU_DEP_1) | instskip(SKIP_1) | instid1(SALU_CYCLE_1)
	v_cmp_le_i64_e32 vcc_lo, s[4:5], v[2:3]
	s_or_b32 s7, vcc_lo, s7
	s_and_not1_b32 exec_lo, exec_lo, s7
	s_cbranch_execz .LBB221_16
.LBB221_9:                              ; =>This Loop Header: Depth=1
                                        ;     Child Loop BB221_11 Depth 2
	s_wait_dscnt 0x0
	v_lshlrev_b64_e32 v[4:5], 3, v[2:3]
	v_mov_b32_e32 v14, 0
	s_mov_b32 s17, exec_lo
	s_delay_alu instid0(VALU_DEP_2)
	v_add_nc_u64_e32 v[6:7], s[10:11], v[4:5]
	v_add_nc_u64_e32 v[4:5], s[8:9], v[4:5]
	global_load_b64 v[8:9], v[6:7], off
	global_load_b64 v[10:11], v[4:5], off
	s_wait_loadcnt 0x1
	s_wait_xcnt 0x0
	v_sub_nc_u64_e64 v[4:5], v[8:9], s[2:3]
	s_wait_loadcnt 0x0
	v_add_nc_u64_e32 v[6:7], v[10:11], v[0:1]
	s_delay_alu instid0(VALU_DEP_1)
	v_cmpx_lt_i64_e64 v[6:7], v[4:5]
	s_cbranch_execz .LBB221_13
; %bb.10:                               ;   in Loop: Header=BB221_9 Depth=1
	v_lshl_add_u64 v[8:9], v[6:7], 1, s[14:15]
	v_lshl_add_u64 v[10:11], v[6:7], 3, s[12:13]
	v_mov_b32_e32 v14, 0
	s_mov_b32 s24, 0
.LBB221_11:                             ;   Parent Loop BB221_9 Depth=1
                                        ; =>  This Inner Loop Header: Depth=2
	global_load_b64 v[16:17], v[10:11], off
	global_load_u16 v15, v[8:9], off
	v_add_nc_u64_e32 v[6:7], 4, v[6:7]
	s_wait_xcnt 0x0
	v_add_nc_u64_e32 v[8:9], 8, v[8:9]
	v_add_nc_u64_e32 v[10:11], 32, v[10:11]
	s_delay_alu instid0(VALU_DEP_3)
	v_cmp_ge_i64_e32 vcc_lo, v[6:7], v[4:5]
	s_or_b32 s24, vcc_lo, s24
	s_wait_loadcnt 0x1
	v_lshl_add_u64 v[16:17], v[16:17], 1, s[22:23]
	s_wait_loadcnt 0x0
	v_cvt_f32_f16_e32 v15, v15
	global_load_u16 v16, v[16:17], off
	v_mul_f32_e32 v15, s6, v15
	s_wait_loadcnt 0x0
	s_delay_alu instid0(VALU_DEP_1)
	v_fma_mix_f32 v14, v15, v16, v14 op_sel_hi:[0,1,0]
	s_wait_xcnt 0x0
	s_and_not1_b32 exec_lo, exec_lo, s24
	s_cbranch_execnz .LBB221_11
; %bb.12:                               ;   in Loop: Header=BB221_9 Depth=1
	s_or_b32 exec_lo, exec_lo, s24
.LBB221_13:                             ;   in Loop: Header=BB221_9 Depth=1
	s_delay_alu instid0(SALU_CYCLE_1)
	s_or_b32 exec_lo, exec_lo, s17
	ds_bpermute_b32 v4, v12, v14
	s_wait_dscnt 0x0
	v_add_f32_e32 v4, v14, v4
	ds_bpermute_b32 v5, v13, v4
	s_and_saveexec_b32 s17, s0
	s_cbranch_execz .LBB221_8
; %bb.14:                               ;   in Loop: Header=BB221_9 Depth=1
	s_wait_dscnt 0x0
	v_add_f32_e32 v6, v4, v5
	v_lshl_add_u64 v[4:5], v[2:3], 2, s[18:19]
	s_and_not1_b32 vcc_lo, exec_lo, s1
	s_cbranch_vccnz .LBB221_7
; %bb.15:                               ;   in Loop: Header=BB221_9 Depth=1
	global_load_b32 v7, v[4:5], off
	s_wait_loadcnt 0x0
	v_fmac_f32_e32 v6, s16, v7
	s_branch .LBB221_7
.LBB221_16:
	s_endpgm
	.section	.rodata,"a",@progbits
	.p2align	6, 0x0
	.amdhsa_kernel _ZN9rocsparseL21csrmvn_general_kernelILj256ELj4EllDF16_DF16_ffEEvbT2_NS_24const_host_device_scalarIT6_EEPKT1_S7_PKS1_PKT3_PKT4_S4_PT5_21rocsparse_index_base_b
		.amdhsa_group_segment_fixed_size 0
		.amdhsa_private_segment_fixed_size 0
		.amdhsa_kernarg_size 344
		.amdhsa_user_sgpr_count 2
		.amdhsa_user_sgpr_dispatch_ptr 0
		.amdhsa_user_sgpr_queue_ptr 0
		.amdhsa_user_sgpr_kernarg_segment_ptr 1
		.amdhsa_user_sgpr_dispatch_id 0
		.amdhsa_user_sgpr_kernarg_preload_length 0
		.amdhsa_user_sgpr_kernarg_preload_offset 0
		.amdhsa_user_sgpr_private_segment_size 0
		.amdhsa_wavefront_size32 1
		.amdhsa_uses_dynamic_stack 0
		.amdhsa_enable_private_segment 0
		.amdhsa_system_sgpr_workgroup_id_x 1
		.amdhsa_system_sgpr_workgroup_id_y 0
		.amdhsa_system_sgpr_workgroup_id_z 0
		.amdhsa_system_sgpr_workgroup_info 0
		.amdhsa_system_vgpr_workitem_id 0
		.amdhsa_next_free_vgpr 18
		.amdhsa_next_free_sgpr 26
		.amdhsa_named_barrier_count 0
		.amdhsa_reserve_vcc 1
		.amdhsa_float_round_mode_32 0
		.amdhsa_float_round_mode_16_64 0
		.amdhsa_float_denorm_mode_32 3
		.amdhsa_float_denorm_mode_16_64 3
		.amdhsa_fp16_overflow 0
		.amdhsa_memory_ordered 1
		.amdhsa_forward_progress 1
		.amdhsa_inst_pref_size 6
		.amdhsa_round_robin_scheduling 0
		.amdhsa_exception_fp_ieee_invalid_op 0
		.amdhsa_exception_fp_denorm_src 0
		.amdhsa_exception_fp_ieee_div_zero 0
		.amdhsa_exception_fp_ieee_overflow 0
		.amdhsa_exception_fp_ieee_underflow 0
		.amdhsa_exception_fp_ieee_inexact 0
		.amdhsa_exception_int_div_zero 0
	.end_amdhsa_kernel
	.section	.text._ZN9rocsparseL21csrmvn_general_kernelILj256ELj4EllDF16_DF16_ffEEvbT2_NS_24const_host_device_scalarIT6_EEPKT1_S7_PKS1_PKT3_PKT4_S4_PT5_21rocsparse_index_base_b,"axG",@progbits,_ZN9rocsparseL21csrmvn_general_kernelILj256ELj4EllDF16_DF16_ffEEvbT2_NS_24const_host_device_scalarIT6_EEPKT1_S7_PKS1_PKT3_PKT4_S4_PT5_21rocsparse_index_base_b,comdat
.Lfunc_end221:
	.size	_ZN9rocsparseL21csrmvn_general_kernelILj256ELj4EllDF16_DF16_ffEEvbT2_NS_24const_host_device_scalarIT6_EEPKT1_S7_PKS1_PKT3_PKT4_S4_PT5_21rocsparse_index_base_b, .Lfunc_end221-_ZN9rocsparseL21csrmvn_general_kernelILj256ELj4EllDF16_DF16_ffEEvbT2_NS_24const_host_device_scalarIT6_EEPKT1_S7_PKS1_PKT3_PKT4_S4_PT5_21rocsparse_index_base_b
                                        ; -- End function
	.set _ZN9rocsparseL21csrmvn_general_kernelILj256ELj4EllDF16_DF16_ffEEvbT2_NS_24const_host_device_scalarIT6_EEPKT1_S7_PKS1_PKT3_PKT4_S4_PT5_21rocsparse_index_base_b.num_vgpr, 18
	.set _ZN9rocsparseL21csrmvn_general_kernelILj256ELj4EllDF16_DF16_ffEEvbT2_NS_24const_host_device_scalarIT6_EEPKT1_S7_PKS1_PKT3_PKT4_S4_PT5_21rocsparse_index_base_b.num_agpr, 0
	.set _ZN9rocsparseL21csrmvn_general_kernelILj256ELj4EllDF16_DF16_ffEEvbT2_NS_24const_host_device_scalarIT6_EEPKT1_S7_PKS1_PKT3_PKT4_S4_PT5_21rocsparse_index_base_b.numbered_sgpr, 26
	.set _ZN9rocsparseL21csrmvn_general_kernelILj256ELj4EllDF16_DF16_ffEEvbT2_NS_24const_host_device_scalarIT6_EEPKT1_S7_PKS1_PKT3_PKT4_S4_PT5_21rocsparse_index_base_b.num_named_barrier, 0
	.set _ZN9rocsparseL21csrmvn_general_kernelILj256ELj4EllDF16_DF16_ffEEvbT2_NS_24const_host_device_scalarIT6_EEPKT1_S7_PKS1_PKT3_PKT4_S4_PT5_21rocsparse_index_base_b.private_seg_size, 0
	.set _ZN9rocsparseL21csrmvn_general_kernelILj256ELj4EllDF16_DF16_ffEEvbT2_NS_24const_host_device_scalarIT6_EEPKT1_S7_PKS1_PKT3_PKT4_S4_PT5_21rocsparse_index_base_b.uses_vcc, 1
	.set _ZN9rocsparseL21csrmvn_general_kernelILj256ELj4EllDF16_DF16_ffEEvbT2_NS_24const_host_device_scalarIT6_EEPKT1_S7_PKS1_PKT3_PKT4_S4_PT5_21rocsparse_index_base_b.uses_flat_scratch, 0
	.set _ZN9rocsparseL21csrmvn_general_kernelILj256ELj4EllDF16_DF16_ffEEvbT2_NS_24const_host_device_scalarIT6_EEPKT1_S7_PKS1_PKT3_PKT4_S4_PT5_21rocsparse_index_base_b.has_dyn_sized_stack, 0
	.set _ZN9rocsparseL21csrmvn_general_kernelILj256ELj4EllDF16_DF16_ffEEvbT2_NS_24const_host_device_scalarIT6_EEPKT1_S7_PKS1_PKT3_PKT4_S4_PT5_21rocsparse_index_base_b.has_recursion, 0
	.set _ZN9rocsparseL21csrmvn_general_kernelILj256ELj4EllDF16_DF16_ffEEvbT2_NS_24const_host_device_scalarIT6_EEPKT1_S7_PKS1_PKT3_PKT4_S4_PT5_21rocsparse_index_base_b.has_indirect_call, 0
	.section	.AMDGPU.csdata,"",@progbits
; Kernel info:
; codeLenInByte = 728
; TotalNumSgprs: 28
; NumVgprs: 18
; ScratchSize: 0
; MemoryBound: 0
; FloatMode: 240
; IeeeMode: 1
; LDSByteSize: 0 bytes/workgroup (compile time only)
; SGPRBlocks: 0
; VGPRBlocks: 1
; NumSGPRsForWavesPerEU: 28
; NumVGPRsForWavesPerEU: 18
; NamedBarCnt: 0
; Occupancy: 16
; WaveLimiterHint : 1
; COMPUTE_PGM_RSRC2:SCRATCH_EN: 0
; COMPUTE_PGM_RSRC2:USER_SGPR: 2
; COMPUTE_PGM_RSRC2:TRAP_HANDLER: 0
; COMPUTE_PGM_RSRC2:TGID_X_EN: 1
; COMPUTE_PGM_RSRC2:TGID_Y_EN: 0
; COMPUTE_PGM_RSRC2:TGID_Z_EN: 0
; COMPUTE_PGM_RSRC2:TIDIG_COMP_CNT: 0
	.section	.text._ZN9rocsparseL21csrmvn_general_kernelILj256ELj8EllDF16_DF16_ffEEvbT2_NS_24const_host_device_scalarIT6_EEPKT1_S7_PKS1_PKT3_PKT4_S4_PT5_21rocsparse_index_base_b,"axG",@progbits,_ZN9rocsparseL21csrmvn_general_kernelILj256ELj8EllDF16_DF16_ffEEvbT2_NS_24const_host_device_scalarIT6_EEPKT1_S7_PKS1_PKT3_PKT4_S4_PT5_21rocsparse_index_base_b,comdat
	.globl	_ZN9rocsparseL21csrmvn_general_kernelILj256ELj8EllDF16_DF16_ffEEvbT2_NS_24const_host_device_scalarIT6_EEPKT1_S7_PKS1_PKT3_PKT4_S4_PT5_21rocsparse_index_base_b ; -- Begin function _ZN9rocsparseL21csrmvn_general_kernelILj256ELj8EllDF16_DF16_ffEEvbT2_NS_24const_host_device_scalarIT6_EEPKT1_S7_PKS1_PKT3_PKT4_S4_PT5_21rocsparse_index_base_b
	.p2align	8
	.type	_ZN9rocsparseL21csrmvn_general_kernelILj256ELj8EllDF16_DF16_ffEEvbT2_NS_24const_host_device_scalarIT6_EEPKT1_S7_PKS1_PKT3_PKT4_S4_PT5_21rocsparse_index_base_b,@function
_ZN9rocsparseL21csrmvn_general_kernelILj256ELj8EllDF16_DF16_ffEEvbT2_NS_24const_host_device_scalarIT6_EEPKT1_S7_PKS1_PKT3_PKT4_S4_PT5_21rocsparse_index_base_b: ; @_ZN9rocsparseL21csrmvn_general_kernelILj256ELj8EllDF16_DF16_ffEEvbT2_NS_24const_host_device_scalarIT6_EEPKT1_S7_PKS1_PKT3_PKT4_S4_PT5_21rocsparse_index_base_b
; %bb.0:
	s_clause 0x2
	s_load_b64 s[2:3], s[0:1], 0x50
	s_load_b64 s[16:17], s[0:1], 0x40
	s_load_b256 s[4:11], s[0:1], 0x8
	s_wait_kmcnt 0x0
	s_bitcmp1_b32 s3, 0
	s_cselect_b32 s3, -1, 0
	s_delay_alu instid0(SALU_CYCLE_1)
	s_and_b32 vcc_lo, exec_lo, s3
	s_xor_b32 s3, s3, -1
	s_cbranch_vccnz .LBB222_2
; %bb.1:
	s_load_b32 s6, s[6:7], 0x0
.LBB222_2:
	s_and_not1_b32 vcc_lo, exec_lo, s3
	s_cbranch_vccnz .LBB222_4
; %bb.3:
	s_load_b32 s16, s[16:17], 0x0
.LBB222_4:
	s_wait_kmcnt 0x0
	s_cmp_neq_f32 s6, 0
	s_cselect_b32 s3, -1, 0
	s_cmp_neq_f32 s16, 1.0
	s_cselect_b32 s7, -1, 0
	s_delay_alu instid0(SALU_CYCLE_1) | instskip(NEXT) | instid1(SALU_CYCLE_1)
	s_or_b32 s3, s3, s7
	s_and_not1_b32 vcc_lo, exec_lo, s3
	s_cbranch_vccnz .LBB222_16
; %bb.5:
	s_bfe_u32 s3, ttmp6, 0x4000c
	s_and_b32 s7, ttmp6, 15
	s_add_co_i32 s3, s3, 1
	s_getreg_b32 s12, hwreg(HW_REG_IB_STS2, 6, 4)
	s_mul_i32 s3, ttmp9, s3
	v_mov_b32_e32 v3, 0
	s_add_co_i32 s7, s7, s3
	s_cmp_eq_u32 s12, 0
	s_cselect_b32 s3, ttmp9, s7
	s_delay_alu instid0(SALU_CYCLE_1) | instskip(SKIP_1) | instid1(VALU_DEP_1)
	v_lshl_or_b32 v1, s3, 8, v0
	s_mov_b32 s3, exec_lo
	v_lshrrev_b32_e32 v2, 3, v1
	s_delay_alu instid0(VALU_DEP_1)
	v_cmpx_gt_i64_e64 s[4:5], v[2:3]
	s_cbranch_execz .LBB222_16
; %bb.6:
	v_mbcnt_lo_u32_b32 v6, -1, 0
	v_dual_mov_b32 v5, v3 :: v_dual_bitop2_b32 v4, 7, v0 bitop3:0x40
	s_clause 0x3
	s_load_b32 s7, s[0:1], 0x58
	s_load_b64 s[18:19], s[0:1], 0x48
	s_load_b128 s[12:15], s[0:1], 0x28
	s_load_b64 s[22:23], s[0:1], 0x38
	s_mov_b32 s21, 0
	v_xor_b32_e32 v8, 2, v6
	v_xor_b32_e32 v7, 4, v6
	s_mov_b32 s3, s21
	s_wait_xcnt 0x0
	s_ashr_i32 s1, s2, 31
	v_sub_nc_u64_e64 v[0:1], v[4:5], s[2:3]
	s_mov_b32 s0, s2
	v_cmp_gt_i32_e32 vcc_lo, 32, v7
	s_lshl_b64 s[24:25], s[0:1], 1
	v_cmp_eq_u32_e64 s0, 7, v4
	v_dual_cndmask_b32 v7, v6, v7, vcc_lo :: v_dual_bitop2_b32 v5, 1, v6 bitop3:0x14
	v_cmp_gt_i32_e32 vcc_lo, 32, v8
	s_wait_kmcnt 0x0
	s_lshl_b32 s20, s7, 5
	s_delay_alu instid0(VALU_DEP_2)
	v_lshlrev_b32_e32 v12, 2, v7
	s_cmp_neq_f32 s16, 0
	v_cndmask_b32_e32 v8, v6, v8, vcc_lo
	v_cmp_gt_i32_e32 vcc_lo, 32, v5
	s_sub_nc_u64 s[22:23], s[22:23], s[24:25]
	s_cselect_b32 s1, -1, 0
	s_mov_b32 s7, s21
	v_dual_lshlrev_b32 v13, 2, v8 :: v_dual_cndmask_b32 v5, v6, v5, vcc_lo
	s_delay_alu instid0(VALU_DEP_1)
	v_lshlrev_b32_e32 v14, 2, v5
	s_branch .LBB222_9
.LBB222_7:                              ;   in Loop: Header=BB222_9 Depth=1
	global_store_b32 v[4:5], v6, off
.LBB222_8:                              ;   in Loop: Header=BB222_9 Depth=1
	s_wait_xcnt 0x0
	s_or_b32 exec_lo, exec_lo, s17
	v_add_nc_u64_e32 v[2:3], s[20:21], v[2:3]
	s_delay_alu instid0(VALU_DEP_1) | instskip(SKIP_1) | instid1(SALU_CYCLE_1)
	v_cmp_le_i64_e32 vcc_lo, s[4:5], v[2:3]
	s_or_b32 s7, vcc_lo, s7
	s_and_not1_b32 exec_lo, exec_lo, s7
	s_cbranch_execz .LBB222_16
.LBB222_9:                              ; =>This Loop Header: Depth=1
                                        ;     Child Loop BB222_11 Depth 2
	s_wait_dscnt 0x0
	v_lshlrev_b64_e32 v[4:5], 3, v[2:3]
	v_mov_b32_e32 v15, 0
	s_mov_b32 s17, exec_lo
	s_delay_alu instid0(VALU_DEP_2)
	v_add_nc_u64_e32 v[6:7], s[10:11], v[4:5]
	v_add_nc_u64_e32 v[4:5], s[8:9], v[4:5]
	global_load_b64 v[8:9], v[6:7], off
	global_load_b64 v[10:11], v[4:5], off
	s_wait_loadcnt 0x1
	s_wait_xcnt 0x0
	v_sub_nc_u64_e64 v[4:5], v[8:9], s[2:3]
	s_wait_loadcnt 0x0
	v_add_nc_u64_e32 v[6:7], v[10:11], v[0:1]
	s_delay_alu instid0(VALU_DEP_1)
	v_cmpx_lt_i64_e64 v[6:7], v[4:5]
	s_cbranch_execz .LBB222_13
; %bb.10:                               ;   in Loop: Header=BB222_9 Depth=1
	v_lshl_add_u64 v[8:9], v[6:7], 1, s[14:15]
	v_lshl_add_u64 v[10:11], v[6:7], 3, s[12:13]
	v_mov_b32_e32 v15, 0
	s_mov_b32 s24, 0
.LBB222_11:                             ;   Parent Loop BB222_9 Depth=1
                                        ; =>  This Inner Loop Header: Depth=2
	global_load_b64 v[16:17], v[10:11], off
	global_load_u16 v18, v[8:9], off
	v_add_nc_u64_e32 v[6:7], 8, v[6:7]
	s_wait_xcnt 0x0
	v_add_nc_u64_e32 v[8:9], 16, v[8:9]
	v_add_nc_u64_e32 v[10:11], 64, v[10:11]
	s_delay_alu instid0(VALU_DEP_3)
	v_cmp_ge_i64_e32 vcc_lo, v[6:7], v[4:5]
	s_or_b32 s24, vcc_lo, s24
	s_wait_loadcnt 0x1
	v_lshl_add_u64 v[16:17], v[16:17], 1, s[22:23]
	global_load_u16 v16, v[16:17], off
	s_wait_loadcnt 0x1
	s_wait_xcnt 0x0
	v_cvt_f32_f16_e32 v17, v18
	s_delay_alu instid0(VALU_DEP_1) | instskip(SKIP_1) | instid1(VALU_DEP_1)
	v_mul_f32_e32 v17, s6, v17
	s_wait_loadcnt 0x0
	v_fma_mix_f32 v15, v17, v16, v15 op_sel_hi:[0,1,0]
	s_and_not1_b32 exec_lo, exec_lo, s24
	s_cbranch_execnz .LBB222_11
; %bb.12:                               ;   in Loop: Header=BB222_9 Depth=1
	s_or_b32 exec_lo, exec_lo, s24
.LBB222_13:                             ;   in Loop: Header=BB222_9 Depth=1
	s_delay_alu instid0(SALU_CYCLE_1)
	s_or_b32 exec_lo, exec_lo, s17
	ds_bpermute_b32 v4, v12, v15
	s_wait_dscnt 0x0
	v_add_f32_e32 v4, v15, v4
	ds_bpermute_b32 v5, v13, v4
	s_wait_dscnt 0x0
	v_add_f32_e32 v4, v4, v5
	ds_bpermute_b32 v5, v14, v4
	s_and_saveexec_b32 s17, s0
	s_cbranch_execz .LBB222_8
; %bb.14:                               ;   in Loop: Header=BB222_9 Depth=1
	s_wait_dscnt 0x0
	v_add_f32_e32 v6, v4, v5
	v_lshl_add_u64 v[4:5], v[2:3], 2, s[18:19]
	s_and_not1_b32 vcc_lo, exec_lo, s1
	s_cbranch_vccnz .LBB222_7
; %bb.15:                               ;   in Loop: Header=BB222_9 Depth=1
	global_load_b32 v7, v[4:5], off
	s_wait_loadcnt 0x0
	v_fmac_f32_e32 v6, s16, v7
	s_branch .LBB222_7
.LBB222_16:
	s_endpgm
	.section	.rodata,"a",@progbits
	.p2align	6, 0x0
	.amdhsa_kernel _ZN9rocsparseL21csrmvn_general_kernelILj256ELj8EllDF16_DF16_ffEEvbT2_NS_24const_host_device_scalarIT6_EEPKT1_S7_PKS1_PKT3_PKT4_S4_PT5_21rocsparse_index_base_b
		.amdhsa_group_segment_fixed_size 0
		.amdhsa_private_segment_fixed_size 0
		.amdhsa_kernarg_size 344
		.amdhsa_user_sgpr_count 2
		.amdhsa_user_sgpr_dispatch_ptr 0
		.amdhsa_user_sgpr_queue_ptr 0
		.amdhsa_user_sgpr_kernarg_segment_ptr 1
		.amdhsa_user_sgpr_dispatch_id 0
		.amdhsa_user_sgpr_kernarg_preload_length 0
		.amdhsa_user_sgpr_kernarg_preload_offset 0
		.amdhsa_user_sgpr_private_segment_size 0
		.amdhsa_wavefront_size32 1
		.amdhsa_uses_dynamic_stack 0
		.amdhsa_enable_private_segment 0
		.amdhsa_system_sgpr_workgroup_id_x 1
		.amdhsa_system_sgpr_workgroup_id_y 0
		.amdhsa_system_sgpr_workgroup_id_z 0
		.amdhsa_system_sgpr_workgroup_info 0
		.amdhsa_system_vgpr_workitem_id 0
		.amdhsa_next_free_vgpr 19
		.amdhsa_next_free_sgpr 26
		.amdhsa_named_barrier_count 0
		.amdhsa_reserve_vcc 1
		.amdhsa_float_round_mode_32 0
		.amdhsa_float_round_mode_16_64 0
		.amdhsa_float_denorm_mode_32 3
		.amdhsa_float_denorm_mode_16_64 3
		.amdhsa_fp16_overflow 0
		.amdhsa_memory_ordered 1
		.amdhsa_forward_progress 1
		.amdhsa_inst_pref_size 6
		.amdhsa_round_robin_scheduling 0
		.amdhsa_exception_fp_ieee_invalid_op 0
		.amdhsa_exception_fp_denorm_src 0
		.amdhsa_exception_fp_ieee_div_zero 0
		.amdhsa_exception_fp_ieee_overflow 0
		.amdhsa_exception_fp_ieee_underflow 0
		.amdhsa_exception_fp_ieee_inexact 0
		.amdhsa_exception_int_div_zero 0
	.end_amdhsa_kernel
	.section	.text._ZN9rocsparseL21csrmvn_general_kernelILj256ELj8EllDF16_DF16_ffEEvbT2_NS_24const_host_device_scalarIT6_EEPKT1_S7_PKS1_PKT3_PKT4_S4_PT5_21rocsparse_index_base_b,"axG",@progbits,_ZN9rocsparseL21csrmvn_general_kernelILj256ELj8EllDF16_DF16_ffEEvbT2_NS_24const_host_device_scalarIT6_EEPKT1_S7_PKS1_PKT3_PKT4_S4_PT5_21rocsparse_index_base_b,comdat
.Lfunc_end222:
	.size	_ZN9rocsparseL21csrmvn_general_kernelILj256ELj8EllDF16_DF16_ffEEvbT2_NS_24const_host_device_scalarIT6_EEPKT1_S7_PKS1_PKT3_PKT4_S4_PT5_21rocsparse_index_base_b, .Lfunc_end222-_ZN9rocsparseL21csrmvn_general_kernelILj256ELj8EllDF16_DF16_ffEEvbT2_NS_24const_host_device_scalarIT6_EEPKT1_S7_PKS1_PKT3_PKT4_S4_PT5_21rocsparse_index_base_b
                                        ; -- End function
	.set _ZN9rocsparseL21csrmvn_general_kernelILj256ELj8EllDF16_DF16_ffEEvbT2_NS_24const_host_device_scalarIT6_EEPKT1_S7_PKS1_PKT3_PKT4_S4_PT5_21rocsparse_index_base_b.num_vgpr, 19
	.set _ZN9rocsparseL21csrmvn_general_kernelILj256ELj8EllDF16_DF16_ffEEvbT2_NS_24const_host_device_scalarIT6_EEPKT1_S7_PKS1_PKT3_PKT4_S4_PT5_21rocsparse_index_base_b.num_agpr, 0
	.set _ZN9rocsparseL21csrmvn_general_kernelILj256ELj8EllDF16_DF16_ffEEvbT2_NS_24const_host_device_scalarIT6_EEPKT1_S7_PKS1_PKT3_PKT4_S4_PT5_21rocsparse_index_base_b.numbered_sgpr, 26
	.set _ZN9rocsparseL21csrmvn_general_kernelILj256ELj8EllDF16_DF16_ffEEvbT2_NS_24const_host_device_scalarIT6_EEPKT1_S7_PKS1_PKT3_PKT4_S4_PT5_21rocsparse_index_base_b.num_named_barrier, 0
	.set _ZN9rocsparseL21csrmvn_general_kernelILj256ELj8EllDF16_DF16_ffEEvbT2_NS_24const_host_device_scalarIT6_EEPKT1_S7_PKS1_PKT3_PKT4_S4_PT5_21rocsparse_index_base_b.private_seg_size, 0
	.set _ZN9rocsparseL21csrmvn_general_kernelILj256ELj8EllDF16_DF16_ffEEvbT2_NS_24const_host_device_scalarIT6_EEPKT1_S7_PKS1_PKT3_PKT4_S4_PT5_21rocsparse_index_base_b.uses_vcc, 1
	.set _ZN9rocsparseL21csrmvn_general_kernelILj256ELj8EllDF16_DF16_ffEEvbT2_NS_24const_host_device_scalarIT6_EEPKT1_S7_PKS1_PKT3_PKT4_S4_PT5_21rocsparse_index_base_b.uses_flat_scratch, 0
	.set _ZN9rocsparseL21csrmvn_general_kernelILj256ELj8EllDF16_DF16_ffEEvbT2_NS_24const_host_device_scalarIT6_EEPKT1_S7_PKS1_PKT3_PKT4_S4_PT5_21rocsparse_index_base_b.has_dyn_sized_stack, 0
	.set _ZN9rocsparseL21csrmvn_general_kernelILj256ELj8EllDF16_DF16_ffEEvbT2_NS_24const_host_device_scalarIT6_EEPKT1_S7_PKS1_PKT3_PKT4_S4_PT5_21rocsparse_index_base_b.has_recursion, 0
	.set _ZN9rocsparseL21csrmvn_general_kernelILj256ELj8EllDF16_DF16_ffEEvbT2_NS_24const_host_device_scalarIT6_EEPKT1_S7_PKS1_PKT3_PKT4_S4_PT5_21rocsparse_index_base_b.has_indirect_call, 0
	.section	.AMDGPU.csdata,"",@progbits
; Kernel info:
; codeLenInByte = 768
; TotalNumSgprs: 28
; NumVgprs: 19
; ScratchSize: 0
; MemoryBound: 0
; FloatMode: 240
; IeeeMode: 1
; LDSByteSize: 0 bytes/workgroup (compile time only)
; SGPRBlocks: 0
; VGPRBlocks: 1
; NumSGPRsForWavesPerEU: 28
; NumVGPRsForWavesPerEU: 19
; NamedBarCnt: 0
; Occupancy: 16
; WaveLimiterHint : 1
; COMPUTE_PGM_RSRC2:SCRATCH_EN: 0
; COMPUTE_PGM_RSRC2:USER_SGPR: 2
; COMPUTE_PGM_RSRC2:TRAP_HANDLER: 0
; COMPUTE_PGM_RSRC2:TGID_X_EN: 1
; COMPUTE_PGM_RSRC2:TGID_Y_EN: 0
; COMPUTE_PGM_RSRC2:TGID_Z_EN: 0
; COMPUTE_PGM_RSRC2:TIDIG_COMP_CNT: 0
	.section	.text._ZN9rocsparseL21csrmvn_general_kernelILj256ELj16EllDF16_DF16_ffEEvbT2_NS_24const_host_device_scalarIT6_EEPKT1_S7_PKS1_PKT3_PKT4_S4_PT5_21rocsparse_index_base_b,"axG",@progbits,_ZN9rocsparseL21csrmvn_general_kernelILj256ELj16EllDF16_DF16_ffEEvbT2_NS_24const_host_device_scalarIT6_EEPKT1_S7_PKS1_PKT3_PKT4_S4_PT5_21rocsparse_index_base_b,comdat
	.globl	_ZN9rocsparseL21csrmvn_general_kernelILj256ELj16EllDF16_DF16_ffEEvbT2_NS_24const_host_device_scalarIT6_EEPKT1_S7_PKS1_PKT3_PKT4_S4_PT5_21rocsparse_index_base_b ; -- Begin function _ZN9rocsparseL21csrmvn_general_kernelILj256ELj16EllDF16_DF16_ffEEvbT2_NS_24const_host_device_scalarIT6_EEPKT1_S7_PKS1_PKT3_PKT4_S4_PT5_21rocsparse_index_base_b
	.p2align	8
	.type	_ZN9rocsparseL21csrmvn_general_kernelILj256ELj16EllDF16_DF16_ffEEvbT2_NS_24const_host_device_scalarIT6_EEPKT1_S7_PKS1_PKT3_PKT4_S4_PT5_21rocsparse_index_base_b,@function
_ZN9rocsparseL21csrmvn_general_kernelILj256ELj16EllDF16_DF16_ffEEvbT2_NS_24const_host_device_scalarIT6_EEPKT1_S7_PKS1_PKT3_PKT4_S4_PT5_21rocsparse_index_base_b: ; @_ZN9rocsparseL21csrmvn_general_kernelILj256ELj16EllDF16_DF16_ffEEvbT2_NS_24const_host_device_scalarIT6_EEPKT1_S7_PKS1_PKT3_PKT4_S4_PT5_21rocsparse_index_base_b
; %bb.0:
	s_clause 0x2
	s_load_b64 s[2:3], s[0:1], 0x50
	s_load_b64 s[16:17], s[0:1], 0x40
	s_load_b256 s[4:11], s[0:1], 0x8
	s_wait_kmcnt 0x0
	s_bitcmp1_b32 s3, 0
	s_cselect_b32 s3, -1, 0
	s_delay_alu instid0(SALU_CYCLE_1)
	s_and_b32 vcc_lo, exec_lo, s3
	s_xor_b32 s3, s3, -1
	s_cbranch_vccnz .LBB223_2
; %bb.1:
	s_load_b32 s6, s[6:7], 0x0
.LBB223_2:
	s_and_not1_b32 vcc_lo, exec_lo, s3
	s_cbranch_vccnz .LBB223_4
; %bb.3:
	s_load_b32 s16, s[16:17], 0x0
.LBB223_4:
	s_wait_kmcnt 0x0
	s_cmp_neq_f32 s6, 0
	s_cselect_b32 s3, -1, 0
	s_cmp_neq_f32 s16, 1.0
	s_cselect_b32 s7, -1, 0
	s_delay_alu instid0(SALU_CYCLE_1) | instskip(NEXT) | instid1(SALU_CYCLE_1)
	s_or_b32 s3, s3, s7
	s_and_not1_b32 vcc_lo, exec_lo, s3
	s_cbranch_vccnz .LBB223_16
; %bb.5:
	s_bfe_u32 s3, ttmp6, 0x4000c
	s_and_b32 s7, ttmp6, 15
	s_add_co_i32 s3, s3, 1
	s_getreg_b32 s12, hwreg(HW_REG_IB_STS2, 6, 4)
	s_mul_i32 s3, ttmp9, s3
	v_mov_b32_e32 v3, 0
	s_add_co_i32 s7, s7, s3
	s_cmp_eq_u32 s12, 0
	s_cselect_b32 s3, ttmp9, s7
	s_delay_alu instid0(SALU_CYCLE_1) | instskip(SKIP_1) | instid1(VALU_DEP_1)
	v_lshl_or_b32 v1, s3, 8, v0
	s_mov_b32 s3, exec_lo
	v_lshrrev_b32_e32 v2, 4, v1
	s_delay_alu instid0(VALU_DEP_1)
	v_cmpx_gt_i64_e64 s[4:5], v[2:3]
	s_cbranch_execz .LBB223_16
; %bb.6:
	v_dual_mov_b32 v5, v3 :: v_dual_bitop2_b32 v4, 15, v0 bitop3:0x40
	v_mbcnt_lo_u32_b32 v6, -1, 0
	s_mov_b32 s21, 0
	s_clause 0x3
	s_load_b32 s7, s[0:1], 0x58
	s_load_b64 s[18:19], s[0:1], 0x48
	s_load_b128 s[12:15], s[0:1], 0x28
	s_load_b64 s[22:23], s[0:1], 0x38
	s_mov_b32 s3, s21
	s_wait_xcnt 0x0
	s_ashr_i32 s1, s2, 31
	v_sub_nc_u64_e64 v[0:1], v[4:5], s[2:3]
	v_xor_b32_e32 v5, 4, v6
	v_xor_b32_e32 v7, 8, v6
	;; [unrolled: 1-line block ×4, first 2 shown]
	s_mov_b32 s0, s2
	s_delay_alu instid0(VALU_DEP_3)
	v_cmp_gt_i32_e32 vcc_lo, 32, v7
	s_lshl_b64 s[24:25], s[0:1], 1
	v_cmp_eq_u32_e64 s0, 15, v4
	v_cndmask_b32_e32 v7, v6, v7, vcc_lo
	v_cmp_gt_i32_e32 vcc_lo, 32, v5
	s_wait_kmcnt 0x0
	s_lshl_b32 s20, s7, 4
	s_cmp_neq_f32 s16, 0
	s_mov_b32 s7, s21
	s_sub_nc_u64 s[22:23], s[22:23], s[24:25]
	v_cndmask_b32_e32 v5, v6, v5, vcc_lo
	v_cmp_gt_i32_e32 vcc_lo, 32, v8
	v_lshlrev_b32_e32 v12, 2, v7
	s_cselect_b32 s1, -1, 0
	s_delay_alu instid0(VALU_DEP_3) | instskip(SKIP_1) | instid1(VALU_DEP_2)
	v_dual_cndmask_b32 v8, v6, v8 :: v_dual_lshlrev_b32 v13, 2, v5
	v_cmp_gt_i32_e32 vcc_lo, 32, v9
	v_dual_cndmask_b32 v6, v6, v9, vcc_lo :: v_dual_lshlrev_b32 v14, 2, v8
	s_delay_alu instid0(VALU_DEP_1)
	v_lshlrev_b32_e32 v15, 2, v6
	s_branch .LBB223_9
.LBB223_7:                              ;   in Loop: Header=BB223_9 Depth=1
	global_store_b32 v[4:5], v6, off
.LBB223_8:                              ;   in Loop: Header=BB223_9 Depth=1
	s_wait_xcnt 0x0
	s_or_b32 exec_lo, exec_lo, s17
	v_add_nc_u64_e32 v[2:3], s[20:21], v[2:3]
	s_delay_alu instid0(VALU_DEP_1) | instskip(SKIP_1) | instid1(SALU_CYCLE_1)
	v_cmp_le_i64_e32 vcc_lo, s[4:5], v[2:3]
	s_or_b32 s7, vcc_lo, s7
	s_and_not1_b32 exec_lo, exec_lo, s7
	s_cbranch_execz .LBB223_16
.LBB223_9:                              ; =>This Loop Header: Depth=1
                                        ;     Child Loop BB223_11 Depth 2
	s_wait_dscnt 0x0
	v_lshlrev_b64_e32 v[4:5], 3, v[2:3]
	v_mov_b32_e32 v16, 0
	s_mov_b32 s17, exec_lo
	s_delay_alu instid0(VALU_DEP_2)
	v_add_nc_u64_e32 v[6:7], s[10:11], v[4:5]
	v_add_nc_u64_e32 v[4:5], s[8:9], v[4:5]
	global_load_b64 v[8:9], v[6:7], off
	global_load_b64 v[10:11], v[4:5], off
	s_wait_loadcnt 0x1
	s_wait_xcnt 0x0
	v_sub_nc_u64_e64 v[4:5], v[8:9], s[2:3]
	s_wait_loadcnt 0x0
	v_add_nc_u64_e32 v[6:7], v[10:11], v[0:1]
	s_delay_alu instid0(VALU_DEP_1)
	v_cmpx_lt_i64_e64 v[6:7], v[4:5]
	s_cbranch_execz .LBB223_13
; %bb.10:                               ;   in Loop: Header=BB223_9 Depth=1
	v_lshl_add_u64 v[8:9], v[6:7], 1, s[14:15]
	v_lshl_add_u64 v[10:11], v[6:7], 3, s[12:13]
	v_mov_b32_e32 v16, 0
	s_mov_b32 s24, 0
.LBB223_11:                             ;   Parent Loop BB223_9 Depth=1
                                        ; =>  This Inner Loop Header: Depth=2
	global_load_b64 v[18:19], v[10:11], off
	global_load_u16 v17, v[8:9], off
	v_add_nc_u64_e32 v[6:7], 16, v[6:7]
	s_wait_xcnt 0x0
	v_add_nc_u64_e32 v[8:9], 32, v[8:9]
	v_add_nc_u64_e32 v[10:11], 0x80, v[10:11]
	s_delay_alu instid0(VALU_DEP_3)
	v_cmp_ge_i64_e32 vcc_lo, v[6:7], v[4:5]
	s_or_b32 s24, vcc_lo, s24
	s_wait_loadcnt 0x1
	v_lshl_add_u64 v[18:19], v[18:19], 1, s[22:23]
	s_wait_loadcnt 0x0
	v_cvt_f32_f16_e32 v17, v17
	global_load_u16 v18, v[18:19], off
	v_mul_f32_e32 v17, s6, v17
	s_wait_loadcnt 0x0
	s_delay_alu instid0(VALU_DEP_1)
	v_fma_mix_f32 v16, v17, v18, v16 op_sel_hi:[0,1,0]
	s_wait_xcnt 0x0
	s_and_not1_b32 exec_lo, exec_lo, s24
	s_cbranch_execnz .LBB223_11
; %bb.12:                               ;   in Loop: Header=BB223_9 Depth=1
	s_or_b32 exec_lo, exec_lo, s24
.LBB223_13:                             ;   in Loop: Header=BB223_9 Depth=1
	s_delay_alu instid0(SALU_CYCLE_1)
	s_or_b32 exec_lo, exec_lo, s17
	ds_bpermute_b32 v4, v12, v16
	s_wait_dscnt 0x0
	v_add_f32_e32 v4, v16, v4
	ds_bpermute_b32 v5, v13, v4
	s_wait_dscnt 0x0
	v_add_f32_e32 v4, v4, v5
	;; [unrolled: 3-line block ×3, first 2 shown]
	ds_bpermute_b32 v5, v15, v4
	s_and_saveexec_b32 s17, s0
	s_cbranch_execz .LBB223_8
; %bb.14:                               ;   in Loop: Header=BB223_9 Depth=1
	s_wait_dscnt 0x0
	v_add_f32_e32 v6, v4, v5
	v_lshl_add_u64 v[4:5], v[2:3], 2, s[18:19]
	s_and_not1_b32 vcc_lo, exec_lo, s1
	s_cbranch_vccnz .LBB223_7
; %bb.15:                               ;   in Loop: Header=BB223_9 Depth=1
	global_load_b32 v7, v[4:5], off
	s_wait_loadcnt 0x0
	v_fmac_f32_e32 v6, s16, v7
	s_branch .LBB223_7
.LBB223_16:
	s_endpgm
	.section	.rodata,"a",@progbits
	.p2align	6, 0x0
	.amdhsa_kernel _ZN9rocsparseL21csrmvn_general_kernelILj256ELj16EllDF16_DF16_ffEEvbT2_NS_24const_host_device_scalarIT6_EEPKT1_S7_PKS1_PKT3_PKT4_S4_PT5_21rocsparse_index_base_b
		.amdhsa_group_segment_fixed_size 0
		.amdhsa_private_segment_fixed_size 0
		.amdhsa_kernarg_size 344
		.amdhsa_user_sgpr_count 2
		.amdhsa_user_sgpr_dispatch_ptr 0
		.amdhsa_user_sgpr_queue_ptr 0
		.amdhsa_user_sgpr_kernarg_segment_ptr 1
		.amdhsa_user_sgpr_dispatch_id 0
		.amdhsa_user_sgpr_kernarg_preload_length 0
		.amdhsa_user_sgpr_kernarg_preload_offset 0
		.amdhsa_user_sgpr_private_segment_size 0
		.amdhsa_wavefront_size32 1
		.amdhsa_uses_dynamic_stack 0
		.amdhsa_enable_private_segment 0
		.amdhsa_system_sgpr_workgroup_id_x 1
		.amdhsa_system_sgpr_workgroup_id_y 0
		.amdhsa_system_sgpr_workgroup_id_z 0
		.amdhsa_system_sgpr_workgroup_info 0
		.amdhsa_system_vgpr_workitem_id 0
		.amdhsa_next_free_vgpr 20
		.amdhsa_next_free_sgpr 26
		.amdhsa_named_barrier_count 0
		.amdhsa_reserve_vcc 1
		.amdhsa_float_round_mode_32 0
		.amdhsa_float_round_mode_16_64 0
		.amdhsa_float_denorm_mode_32 3
		.amdhsa_float_denorm_mode_16_64 3
		.amdhsa_fp16_overflow 0
		.amdhsa_memory_ordered 1
		.amdhsa_forward_progress 1
		.amdhsa_inst_pref_size 7
		.amdhsa_round_robin_scheduling 0
		.amdhsa_exception_fp_ieee_invalid_op 0
		.amdhsa_exception_fp_denorm_src 0
		.amdhsa_exception_fp_ieee_div_zero 0
		.amdhsa_exception_fp_ieee_overflow 0
		.amdhsa_exception_fp_ieee_underflow 0
		.amdhsa_exception_fp_ieee_inexact 0
		.amdhsa_exception_int_div_zero 0
	.end_amdhsa_kernel
	.section	.text._ZN9rocsparseL21csrmvn_general_kernelILj256ELj16EllDF16_DF16_ffEEvbT2_NS_24const_host_device_scalarIT6_EEPKT1_S7_PKS1_PKT3_PKT4_S4_PT5_21rocsparse_index_base_b,"axG",@progbits,_ZN9rocsparseL21csrmvn_general_kernelILj256ELj16EllDF16_DF16_ffEEvbT2_NS_24const_host_device_scalarIT6_EEPKT1_S7_PKS1_PKT3_PKT4_S4_PT5_21rocsparse_index_base_b,comdat
.Lfunc_end223:
	.size	_ZN9rocsparseL21csrmvn_general_kernelILj256ELj16EllDF16_DF16_ffEEvbT2_NS_24const_host_device_scalarIT6_EEPKT1_S7_PKS1_PKT3_PKT4_S4_PT5_21rocsparse_index_base_b, .Lfunc_end223-_ZN9rocsparseL21csrmvn_general_kernelILj256ELj16EllDF16_DF16_ffEEvbT2_NS_24const_host_device_scalarIT6_EEPKT1_S7_PKS1_PKT3_PKT4_S4_PT5_21rocsparse_index_base_b
                                        ; -- End function
	.set _ZN9rocsparseL21csrmvn_general_kernelILj256ELj16EllDF16_DF16_ffEEvbT2_NS_24const_host_device_scalarIT6_EEPKT1_S7_PKS1_PKT3_PKT4_S4_PT5_21rocsparse_index_base_b.num_vgpr, 20
	.set _ZN9rocsparseL21csrmvn_general_kernelILj256ELj16EllDF16_DF16_ffEEvbT2_NS_24const_host_device_scalarIT6_EEPKT1_S7_PKS1_PKT3_PKT4_S4_PT5_21rocsparse_index_base_b.num_agpr, 0
	.set _ZN9rocsparseL21csrmvn_general_kernelILj256ELj16EllDF16_DF16_ffEEvbT2_NS_24const_host_device_scalarIT6_EEPKT1_S7_PKS1_PKT3_PKT4_S4_PT5_21rocsparse_index_base_b.numbered_sgpr, 26
	.set _ZN9rocsparseL21csrmvn_general_kernelILj256ELj16EllDF16_DF16_ffEEvbT2_NS_24const_host_device_scalarIT6_EEPKT1_S7_PKS1_PKT3_PKT4_S4_PT5_21rocsparse_index_base_b.num_named_barrier, 0
	.set _ZN9rocsparseL21csrmvn_general_kernelILj256ELj16EllDF16_DF16_ffEEvbT2_NS_24const_host_device_scalarIT6_EEPKT1_S7_PKS1_PKT3_PKT4_S4_PT5_21rocsparse_index_base_b.private_seg_size, 0
	.set _ZN9rocsparseL21csrmvn_general_kernelILj256ELj16EllDF16_DF16_ffEEvbT2_NS_24const_host_device_scalarIT6_EEPKT1_S7_PKS1_PKT3_PKT4_S4_PT5_21rocsparse_index_base_b.uses_vcc, 1
	.set _ZN9rocsparseL21csrmvn_general_kernelILj256ELj16EllDF16_DF16_ffEEvbT2_NS_24const_host_device_scalarIT6_EEPKT1_S7_PKS1_PKT3_PKT4_S4_PT5_21rocsparse_index_base_b.uses_flat_scratch, 0
	.set _ZN9rocsparseL21csrmvn_general_kernelILj256ELj16EllDF16_DF16_ffEEvbT2_NS_24const_host_device_scalarIT6_EEPKT1_S7_PKS1_PKT3_PKT4_S4_PT5_21rocsparse_index_base_b.has_dyn_sized_stack, 0
	.set _ZN9rocsparseL21csrmvn_general_kernelILj256ELj16EllDF16_DF16_ffEEvbT2_NS_24const_host_device_scalarIT6_EEPKT1_S7_PKS1_PKT3_PKT4_S4_PT5_21rocsparse_index_base_b.has_recursion, 0
	.set _ZN9rocsparseL21csrmvn_general_kernelILj256ELj16EllDF16_DF16_ffEEvbT2_NS_24const_host_device_scalarIT6_EEPKT1_S7_PKS1_PKT3_PKT4_S4_PT5_21rocsparse_index_base_b.has_indirect_call, 0
	.section	.AMDGPU.csdata,"",@progbits
; Kernel info:
; codeLenInByte = 804
; TotalNumSgprs: 28
; NumVgprs: 20
; ScratchSize: 0
; MemoryBound: 0
; FloatMode: 240
; IeeeMode: 1
; LDSByteSize: 0 bytes/workgroup (compile time only)
; SGPRBlocks: 0
; VGPRBlocks: 1
; NumSGPRsForWavesPerEU: 28
; NumVGPRsForWavesPerEU: 20
; NamedBarCnt: 0
; Occupancy: 16
; WaveLimiterHint : 1
; COMPUTE_PGM_RSRC2:SCRATCH_EN: 0
; COMPUTE_PGM_RSRC2:USER_SGPR: 2
; COMPUTE_PGM_RSRC2:TRAP_HANDLER: 0
; COMPUTE_PGM_RSRC2:TGID_X_EN: 1
; COMPUTE_PGM_RSRC2:TGID_Y_EN: 0
; COMPUTE_PGM_RSRC2:TGID_Z_EN: 0
; COMPUTE_PGM_RSRC2:TIDIG_COMP_CNT: 0
	.section	.text._ZN9rocsparseL21csrmvn_general_kernelILj256ELj32EllDF16_DF16_ffEEvbT2_NS_24const_host_device_scalarIT6_EEPKT1_S7_PKS1_PKT3_PKT4_S4_PT5_21rocsparse_index_base_b,"axG",@progbits,_ZN9rocsparseL21csrmvn_general_kernelILj256ELj32EllDF16_DF16_ffEEvbT2_NS_24const_host_device_scalarIT6_EEPKT1_S7_PKS1_PKT3_PKT4_S4_PT5_21rocsparse_index_base_b,comdat
	.globl	_ZN9rocsparseL21csrmvn_general_kernelILj256ELj32EllDF16_DF16_ffEEvbT2_NS_24const_host_device_scalarIT6_EEPKT1_S7_PKS1_PKT3_PKT4_S4_PT5_21rocsparse_index_base_b ; -- Begin function _ZN9rocsparseL21csrmvn_general_kernelILj256ELj32EllDF16_DF16_ffEEvbT2_NS_24const_host_device_scalarIT6_EEPKT1_S7_PKS1_PKT3_PKT4_S4_PT5_21rocsparse_index_base_b
	.p2align	8
	.type	_ZN9rocsparseL21csrmvn_general_kernelILj256ELj32EllDF16_DF16_ffEEvbT2_NS_24const_host_device_scalarIT6_EEPKT1_S7_PKS1_PKT3_PKT4_S4_PT5_21rocsparse_index_base_b,@function
_ZN9rocsparseL21csrmvn_general_kernelILj256ELj32EllDF16_DF16_ffEEvbT2_NS_24const_host_device_scalarIT6_EEPKT1_S7_PKS1_PKT3_PKT4_S4_PT5_21rocsparse_index_base_b: ; @_ZN9rocsparseL21csrmvn_general_kernelILj256ELj32EllDF16_DF16_ffEEvbT2_NS_24const_host_device_scalarIT6_EEPKT1_S7_PKS1_PKT3_PKT4_S4_PT5_21rocsparse_index_base_b
; %bb.0:
	s_clause 0x2
	s_load_b64 s[2:3], s[0:1], 0x50
	s_load_b64 s[16:17], s[0:1], 0x40
	s_load_b256 s[4:11], s[0:1], 0x8
	s_wait_kmcnt 0x0
	s_bitcmp1_b32 s3, 0
	s_cselect_b32 s3, -1, 0
	s_delay_alu instid0(SALU_CYCLE_1)
	s_and_b32 vcc_lo, exec_lo, s3
	s_xor_b32 s3, s3, -1
	s_cbranch_vccnz .LBB224_2
; %bb.1:
	s_load_b32 s6, s[6:7], 0x0
.LBB224_2:
	s_and_not1_b32 vcc_lo, exec_lo, s3
	s_cbranch_vccnz .LBB224_4
; %bb.3:
	s_load_b32 s16, s[16:17], 0x0
.LBB224_4:
	s_wait_kmcnt 0x0
	s_cmp_neq_f32 s6, 0
	s_cselect_b32 s3, -1, 0
	s_cmp_neq_f32 s16, 1.0
	s_cselect_b32 s7, -1, 0
	s_delay_alu instid0(SALU_CYCLE_1) | instskip(NEXT) | instid1(SALU_CYCLE_1)
	s_or_b32 s3, s3, s7
	s_and_not1_b32 vcc_lo, exec_lo, s3
	s_cbranch_vccnz .LBB224_16
; %bb.5:
	s_bfe_u32 s3, ttmp6, 0x4000c
	s_and_b32 s7, ttmp6, 15
	s_add_co_i32 s3, s3, 1
	s_getreg_b32 s12, hwreg(HW_REG_IB_STS2, 6, 4)
	s_mul_i32 s3, ttmp9, s3
	v_mov_b32_e32 v3, 0
	s_add_co_i32 s7, s7, s3
	s_cmp_eq_u32 s12, 0
	s_cselect_b32 s3, ttmp9, s7
	s_delay_alu instid0(SALU_CYCLE_1) | instskip(SKIP_1) | instid1(VALU_DEP_1)
	v_lshl_or_b32 v1, s3, 8, v0
	s_mov_b32 s3, exec_lo
	v_lshrrev_b32_e32 v2, 5, v1
	s_delay_alu instid0(VALU_DEP_1)
	v_cmpx_gt_i64_e64 s[4:5], v[2:3]
	s_cbranch_execz .LBB224_16
; %bb.6:
	v_mbcnt_lo_u32_b32 v6, -1, 0
	v_dual_mov_b32 v5, v3 :: v_dual_bitop2_b32 v4, 31, v0 bitop3:0x40
	s_mov_b32 s21, 0
	s_clause 0x1
	s_load_b32 s7, s[0:1], 0x58
	s_load_b64 s[18:19], s[0:1], 0x48
	v_xor_b32_e32 v0, 16, v6
	s_mov_b32 s3, s21
	s_clause 0x1
	s_load_b128 s[12:15], s[0:1], 0x28
	s_load_b64 s[22:23], s[0:1], 0x38
	s_wait_xcnt 0x0
	s_ashr_i32 s1, s2, 31
	s_mov_b32 s0, s2
	v_cmp_gt_i32_e32 vcc_lo, 32, v0
	s_lshl_b64 s[24:25], s[0:1], 1
	v_cmp_eq_u32_e64 s0, 31, v4
	v_cndmask_b32_e32 v7, v6, v0, vcc_lo
	v_sub_nc_u64_e64 v[0:1], v[4:5], s[2:3]
	s_delay_alu instid0(VALU_DEP_2) | instskip(NEXT) | instid1(VALU_DEP_1)
	v_dual_lshlrev_b32 v12, 2, v7 :: v_dual_bitop2_b32 v5, 8, v6 bitop3:0x14
	v_cmp_gt_i32_e32 vcc_lo, 32, v5
	v_xor_b32_e32 v8, 4, v6
	s_wait_kmcnt 0x0
	s_lshl_b32 s20, s7, 3
	s_cmp_neq_f32 s16, 0
	s_mov_b32 s7, s21
	v_cndmask_b32_e32 v5, v6, v5, vcc_lo
	v_cmp_gt_i32_e32 vcc_lo, 32, v8
	v_xor_b32_e32 v9, 2, v6
	s_cselect_b32 s1, -1, 0
	s_sub_nc_u64 s[22:23], s[22:23], s[24:25]
	v_dual_cndmask_b32 v8, v6, v8 :: v_dual_lshlrev_b32 v13, 2, v5
	s_delay_alu instid0(VALU_DEP_2) | instskip(SKIP_1) | instid1(VALU_DEP_1)
	v_cmp_gt_i32_e32 vcc_lo, 32, v9
	v_dual_cndmask_b32 v9, v6, v9, vcc_lo :: v_dual_bitop2_b32 v7, 1, v6 bitop3:0x14
	v_cmp_gt_i32_e32 vcc_lo, 32, v7
	s_delay_alu instid0(VALU_DEP_2) | instskip(SKIP_1) | instid1(VALU_DEP_1)
	v_dual_lshlrev_b32 v14, 2, v8 :: v_dual_lshlrev_b32 v15, 2, v9
	v_cndmask_b32_e32 v6, v6, v7, vcc_lo
	v_lshlrev_b32_e32 v16, 2, v6
	s_branch .LBB224_9
.LBB224_7:                              ;   in Loop: Header=BB224_9 Depth=1
	global_store_b32 v[4:5], v6, off
.LBB224_8:                              ;   in Loop: Header=BB224_9 Depth=1
	s_wait_xcnt 0x0
	s_or_b32 exec_lo, exec_lo, s17
	v_add_nc_u64_e32 v[2:3], s[20:21], v[2:3]
	s_delay_alu instid0(VALU_DEP_1) | instskip(SKIP_1) | instid1(SALU_CYCLE_1)
	v_cmp_le_i64_e32 vcc_lo, s[4:5], v[2:3]
	s_or_b32 s7, vcc_lo, s7
	s_and_not1_b32 exec_lo, exec_lo, s7
	s_cbranch_execz .LBB224_16
.LBB224_9:                              ; =>This Loop Header: Depth=1
                                        ;     Child Loop BB224_11 Depth 2
	s_wait_dscnt 0x0
	v_lshlrev_b64_e32 v[4:5], 3, v[2:3]
	v_mov_b32_e32 v17, 0
	s_mov_b32 s17, exec_lo
	s_delay_alu instid0(VALU_DEP_2)
	v_add_nc_u64_e32 v[6:7], s[10:11], v[4:5]
	v_add_nc_u64_e32 v[4:5], s[8:9], v[4:5]
	global_load_b64 v[8:9], v[6:7], off
	global_load_b64 v[10:11], v[4:5], off
	s_wait_loadcnt 0x1
	s_wait_xcnt 0x0
	v_sub_nc_u64_e64 v[4:5], v[8:9], s[2:3]
	s_wait_loadcnt 0x0
	v_add_nc_u64_e32 v[6:7], v[10:11], v[0:1]
	s_delay_alu instid0(VALU_DEP_1)
	v_cmpx_lt_i64_e64 v[6:7], v[4:5]
	s_cbranch_execz .LBB224_13
; %bb.10:                               ;   in Loop: Header=BB224_9 Depth=1
	v_lshl_add_u64 v[8:9], v[6:7], 1, s[14:15]
	v_lshl_add_u64 v[10:11], v[6:7], 3, s[12:13]
	v_mov_b32_e32 v17, 0
	s_mov_b32 s24, 0
.LBB224_11:                             ;   Parent Loop BB224_9 Depth=1
                                        ; =>  This Inner Loop Header: Depth=2
	global_load_b64 v[18:19], v[10:11], off
	global_load_u16 v20, v[8:9], off
	v_add_nc_u64_e32 v[6:7], 32, v[6:7]
	s_wait_xcnt 0x0
	v_add_nc_u64_e32 v[8:9], 64, v[8:9]
	v_add_nc_u64_e32 v[10:11], 0x100, v[10:11]
	s_delay_alu instid0(VALU_DEP_3)
	v_cmp_ge_i64_e32 vcc_lo, v[6:7], v[4:5]
	s_or_b32 s24, vcc_lo, s24
	s_wait_loadcnt 0x1
	v_lshl_add_u64 v[18:19], v[18:19], 1, s[22:23]
	global_load_u16 v18, v[18:19], off
	s_wait_loadcnt 0x1
	s_wait_xcnt 0x0
	v_cvt_f32_f16_e32 v19, v20
	s_delay_alu instid0(VALU_DEP_1) | instskip(SKIP_1) | instid1(VALU_DEP_1)
	v_mul_f32_e32 v19, s6, v19
	s_wait_loadcnt 0x0
	v_fma_mix_f32 v17, v19, v18, v17 op_sel_hi:[0,1,0]
	s_and_not1_b32 exec_lo, exec_lo, s24
	s_cbranch_execnz .LBB224_11
; %bb.12:                               ;   in Loop: Header=BB224_9 Depth=1
	s_or_b32 exec_lo, exec_lo, s24
.LBB224_13:                             ;   in Loop: Header=BB224_9 Depth=1
	s_delay_alu instid0(SALU_CYCLE_1)
	s_or_b32 exec_lo, exec_lo, s17
	ds_bpermute_b32 v4, v12, v17
	s_wait_dscnt 0x0
	v_add_f32_e32 v4, v17, v4
	ds_bpermute_b32 v5, v13, v4
	s_wait_dscnt 0x0
	v_add_f32_e32 v4, v4, v5
	;; [unrolled: 3-line block ×4, first 2 shown]
	ds_bpermute_b32 v5, v16, v4
	s_and_saveexec_b32 s17, s0
	s_cbranch_execz .LBB224_8
; %bb.14:                               ;   in Loop: Header=BB224_9 Depth=1
	s_wait_dscnt 0x0
	v_add_f32_e32 v6, v4, v5
	v_lshl_add_u64 v[4:5], v[2:3], 2, s[18:19]
	s_and_not1_b32 vcc_lo, exec_lo, s1
	s_cbranch_vccnz .LBB224_7
; %bb.15:                               ;   in Loop: Header=BB224_9 Depth=1
	global_load_b32 v7, v[4:5], off
	s_wait_loadcnt 0x0
	v_fmac_f32_e32 v6, s16, v7
	s_branch .LBB224_7
.LBB224_16:
	s_endpgm
	.section	.rodata,"a",@progbits
	.p2align	6, 0x0
	.amdhsa_kernel _ZN9rocsparseL21csrmvn_general_kernelILj256ELj32EllDF16_DF16_ffEEvbT2_NS_24const_host_device_scalarIT6_EEPKT1_S7_PKS1_PKT3_PKT4_S4_PT5_21rocsparse_index_base_b
		.amdhsa_group_segment_fixed_size 0
		.amdhsa_private_segment_fixed_size 0
		.amdhsa_kernarg_size 344
		.amdhsa_user_sgpr_count 2
		.amdhsa_user_sgpr_dispatch_ptr 0
		.amdhsa_user_sgpr_queue_ptr 0
		.amdhsa_user_sgpr_kernarg_segment_ptr 1
		.amdhsa_user_sgpr_dispatch_id 0
		.amdhsa_user_sgpr_kernarg_preload_length 0
		.amdhsa_user_sgpr_kernarg_preload_offset 0
		.amdhsa_user_sgpr_private_segment_size 0
		.amdhsa_wavefront_size32 1
		.amdhsa_uses_dynamic_stack 0
		.amdhsa_enable_private_segment 0
		.amdhsa_system_sgpr_workgroup_id_x 1
		.amdhsa_system_sgpr_workgroup_id_y 0
		.amdhsa_system_sgpr_workgroup_id_z 0
		.amdhsa_system_sgpr_workgroup_info 0
		.amdhsa_system_vgpr_workitem_id 0
		.amdhsa_next_free_vgpr 21
		.amdhsa_next_free_sgpr 26
		.amdhsa_named_barrier_count 0
		.amdhsa_reserve_vcc 1
		.amdhsa_float_round_mode_32 0
		.amdhsa_float_round_mode_16_64 0
		.amdhsa_float_denorm_mode_32 3
		.amdhsa_float_denorm_mode_16_64 3
		.amdhsa_fp16_overflow 0
		.amdhsa_memory_ordered 1
		.amdhsa_forward_progress 1
		.amdhsa_inst_pref_size 7
		.amdhsa_round_robin_scheduling 0
		.amdhsa_exception_fp_ieee_invalid_op 0
		.amdhsa_exception_fp_denorm_src 0
		.amdhsa_exception_fp_ieee_div_zero 0
		.amdhsa_exception_fp_ieee_overflow 0
		.amdhsa_exception_fp_ieee_underflow 0
		.amdhsa_exception_fp_ieee_inexact 0
		.amdhsa_exception_int_div_zero 0
	.end_amdhsa_kernel
	.section	.text._ZN9rocsparseL21csrmvn_general_kernelILj256ELj32EllDF16_DF16_ffEEvbT2_NS_24const_host_device_scalarIT6_EEPKT1_S7_PKS1_PKT3_PKT4_S4_PT5_21rocsparse_index_base_b,"axG",@progbits,_ZN9rocsparseL21csrmvn_general_kernelILj256ELj32EllDF16_DF16_ffEEvbT2_NS_24const_host_device_scalarIT6_EEPKT1_S7_PKS1_PKT3_PKT4_S4_PT5_21rocsparse_index_base_b,comdat
.Lfunc_end224:
	.size	_ZN9rocsparseL21csrmvn_general_kernelILj256ELj32EllDF16_DF16_ffEEvbT2_NS_24const_host_device_scalarIT6_EEPKT1_S7_PKS1_PKT3_PKT4_S4_PT5_21rocsparse_index_base_b, .Lfunc_end224-_ZN9rocsparseL21csrmvn_general_kernelILj256ELj32EllDF16_DF16_ffEEvbT2_NS_24const_host_device_scalarIT6_EEPKT1_S7_PKS1_PKT3_PKT4_S4_PT5_21rocsparse_index_base_b
                                        ; -- End function
	.set _ZN9rocsparseL21csrmvn_general_kernelILj256ELj32EllDF16_DF16_ffEEvbT2_NS_24const_host_device_scalarIT6_EEPKT1_S7_PKS1_PKT3_PKT4_S4_PT5_21rocsparse_index_base_b.num_vgpr, 21
	.set _ZN9rocsparseL21csrmvn_general_kernelILj256ELj32EllDF16_DF16_ffEEvbT2_NS_24const_host_device_scalarIT6_EEPKT1_S7_PKS1_PKT3_PKT4_S4_PT5_21rocsparse_index_base_b.num_agpr, 0
	.set _ZN9rocsparseL21csrmvn_general_kernelILj256ELj32EllDF16_DF16_ffEEvbT2_NS_24const_host_device_scalarIT6_EEPKT1_S7_PKS1_PKT3_PKT4_S4_PT5_21rocsparse_index_base_b.numbered_sgpr, 26
	.set _ZN9rocsparseL21csrmvn_general_kernelILj256ELj32EllDF16_DF16_ffEEvbT2_NS_24const_host_device_scalarIT6_EEPKT1_S7_PKS1_PKT3_PKT4_S4_PT5_21rocsparse_index_base_b.num_named_barrier, 0
	.set _ZN9rocsparseL21csrmvn_general_kernelILj256ELj32EllDF16_DF16_ffEEvbT2_NS_24const_host_device_scalarIT6_EEPKT1_S7_PKS1_PKT3_PKT4_S4_PT5_21rocsparse_index_base_b.private_seg_size, 0
	.set _ZN9rocsparseL21csrmvn_general_kernelILj256ELj32EllDF16_DF16_ffEEvbT2_NS_24const_host_device_scalarIT6_EEPKT1_S7_PKS1_PKT3_PKT4_S4_PT5_21rocsparse_index_base_b.uses_vcc, 1
	.set _ZN9rocsparseL21csrmvn_general_kernelILj256ELj32EllDF16_DF16_ffEEvbT2_NS_24const_host_device_scalarIT6_EEPKT1_S7_PKS1_PKT3_PKT4_S4_PT5_21rocsparse_index_base_b.uses_flat_scratch, 0
	.set _ZN9rocsparseL21csrmvn_general_kernelILj256ELj32EllDF16_DF16_ffEEvbT2_NS_24const_host_device_scalarIT6_EEPKT1_S7_PKS1_PKT3_PKT4_S4_PT5_21rocsparse_index_base_b.has_dyn_sized_stack, 0
	.set _ZN9rocsparseL21csrmvn_general_kernelILj256ELj32EllDF16_DF16_ffEEvbT2_NS_24const_host_device_scalarIT6_EEPKT1_S7_PKS1_PKT3_PKT4_S4_PT5_21rocsparse_index_base_b.has_recursion, 0
	.set _ZN9rocsparseL21csrmvn_general_kernelILj256ELj32EllDF16_DF16_ffEEvbT2_NS_24const_host_device_scalarIT6_EEPKT1_S7_PKS1_PKT3_PKT4_S4_PT5_21rocsparse_index_base_b.has_indirect_call, 0
	.section	.AMDGPU.csdata,"",@progbits
; Kernel info:
; codeLenInByte = 848
; TotalNumSgprs: 28
; NumVgprs: 21
; ScratchSize: 0
; MemoryBound: 0
; FloatMode: 240
; IeeeMode: 1
; LDSByteSize: 0 bytes/workgroup (compile time only)
; SGPRBlocks: 0
; VGPRBlocks: 1
; NumSGPRsForWavesPerEU: 28
; NumVGPRsForWavesPerEU: 21
; NamedBarCnt: 0
; Occupancy: 16
; WaveLimiterHint : 1
; COMPUTE_PGM_RSRC2:SCRATCH_EN: 0
; COMPUTE_PGM_RSRC2:USER_SGPR: 2
; COMPUTE_PGM_RSRC2:TRAP_HANDLER: 0
; COMPUTE_PGM_RSRC2:TGID_X_EN: 1
; COMPUTE_PGM_RSRC2:TGID_Y_EN: 0
; COMPUTE_PGM_RSRC2:TGID_Z_EN: 0
; COMPUTE_PGM_RSRC2:TIDIG_COMP_CNT: 0
	.section	.text._ZN9rocsparseL21csrmvn_general_kernelILj256ELj64EllDF16_DF16_ffEEvbT2_NS_24const_host_device_scalarIT6_EEPKT1_S7_PKS1_PKT3_PKT4_S4_PT5_21rocsparse_index_base_b,"axG",@progbits,_ZN9rocsparseL21csrmvn_general_kernelILj256ELj64EllDF16_DF16_ffEEvbT2_NS_24const_host_device_scalarIT6_EEPKT1_S7_PKS1_PKT3_PKT4_S4_PT5_21rocsparse_index_base_b,comdat
	.globl	_ZN9rocsparseL21csrmvn_general_kernelILj256ELj64EllDF16_DF16_ffEEvbT2_NS_24const_host_device_scalarIT6_EEPKT1_S7_PKS1_PKT3_PKT4_S4_PT5_21rocsparse_index_base_b ; -- Begin function _ZN9rocsparseL21csrmvn_general_kernelILj256ELj64EllDF16_DF16_ffEEvbT2_NS_24const_host_device_scalarIT6_EEPKT1_S7_PKS1_PKT3_PKT4_S4_PT5_21rocsparse_index_base_b
	.p2align	8
	.type	_ZN9rocsparseL21csrmvn_general_kernelILj256ELj64EllDF16_DF16_ffEEvbT2_NS_24const_host_device_scalarIT6_EEPKT1_S7_PKS1_PKT3_PKT4_S4_PT5_21rocsparse_index_base_b,@function
_ZN9rocsparseL21csrmvn_general_kernelILj256ELj64EllDF16_DF16_ffEEvbT2_NS_24const_host_device_scalarIT6_EEPKT1_S7_PKS1_PKT3_PKT4_S4_PT5_21rocsparse_index_base_b: ; @_ZN9rocsparseL21csrmvn_general_kernelILj256ELj64EllDF16_DF16_ffEEvbT2_NS_24const_host_device_scalarIT6_EEPKT1_S7_PKS1_PKT3_PKT4_S4_PT5_21rocsparse_index_base_b
; %bb.0:
	s_clause 0x2
	s_load_b64 s[2:3], s[0:1], 0x50
	s_load_b64 s[16:17], s[0:1], 0x40
	s_load_b256 s[4:11], s[0:1], 0x8
	s_wait_kmcnt 0x0
	s_bitcmp1_b32 s3, 0
	s_cselect_b32 s3, -1, 0
	s_delay_alu instid0(SALU_CYCLE_1)
	s_and_b32 vcc_lo, exec_lo, s3
	s_xor_b32 s3, s3, -1
	s_cbranch_vccnz .LBB225_2
; %bb.1:
	s_load_b32 s6, s[6:7], 0x0
.LBB225_2:
	s_and_not1_b32 vcc_lo, exec_lo, s3
	s_cbranch_vccnz .LBB225_4
; %bb.3:
	s_load_b32 s16, s[16:17], 0x0
.LBB225_4:
	s_wait_kmcnt 0x0
	s_cmp_neq_f32 s6, 0
	s_cselect_b32 s3, -1, 0
	s_cmp_neq_f32 s16, 1.0
	s_cselect_b32 s7, -1, 0
	s_delay_alu instid0(SALU_CYCLE_1) | instskip(NEXT) | instid1(SALU_CYCLE_1)
	s_or_b32 s3, s3, s7
	s_and_not1_b32 vcc_lo, exec_lo, s3
	s_cbranch_vccnz .LBB225_16
; %bb.5:
	s_bfe_u32 s3, ttmp6, 0x4000c
	s_and_b32 s7, ttmp6, 15
	s_add_co_i32 s3, s3, 1
	s_getreg_b32 s12, hwreg(HW_REG_IB_STS2, 6, 4)
	s_mul_i32 s3, ttmp9, s3
	v_mov_b32_e32 v3, 0
	s_add_co_i32 s7, s7, s3
	s_cmp_eq_u32 s12, 0
	s_cselect_b32 s3, ttmp9, s7
	s_delay_alu instid0(SALU_CYCLE_1) | instskip(SKIP_1) | instid1(VALU_DEP_1)
	v_lshl_or_b32 v1, s3, 8, v0
	s_mov_b32 s3, exec_lo
	v_lshrrev_b32_e32 v2, 6, v1
	s_delay_alu instid0(VALU_DEP_1)
	v_cmpx_gt_i64_e64 s[4:5], v[2:3]
	s_cbranch_execz .LBB225_16
; %bb.6:
	v_mbcnt_lo_u32_b32 v6, -1, 0
	v_dual_mov_b32 v5, v3 :: v_dual_bitop2_b32 v4, 63, v0 bitop3:0x40
	s_mov_b32 s21, 0
	s_clause 0x3
	s_load_b32 s7, s[0:1], 0x58
	s_load_b64 s[18:19], s[0:1], 0x48
	s_load_b128 s[12:15], s[0:1], 0x28
	s_load_b64 s[22:23], s[0:1], 0x38
	v_xor_b32_e32 v1, 16, v6
	v_or_b32_e32 v0, 32, v6
	s_mov_b32 s3, s21
	s_wait_xcnt 0x0
	s_ashr_i32 s1, s2, 31
	s_mov_b32 s0, s2
	v_cmp_gt_i32_e32 vcc_lo, 32, v0
	s_lshl_b64 s[24:25], s[0:1], 1
	v_cmp_eq_u32_e64 s0, 63, v4
	v_cndmask_b32_e32 v7, v6, v0, vcc_lo
	v_cmp_gt_i32_e32 vcc_lo, 32, v1
	s_wait_kmcnt 0x0
	s_lshl_b32 s20, s7, 2
	v_cndmask_b32_e32 v8, v6, v1, vcc_lo
	v_sub_nc_u64_e64 v[0:1], v[4:5], s[2:3]
	v_dual_lshlrev_b32 v12, 2, v7 :: v_dual_bitop2_b32 v5, 8, v6 bitop3:0x14
	s_delay_alu instid0(VALU_DEP_3) | instskip(SKIP_1) | instid1(VALU_DEP_2)
	v_dual_lshlrev_b32 v13, 2, v8 :: v_dual_bitop2_b32 v7, 4, v6 bitop3:0x14
	s_cmp_neq_f32 s16, 0
	v_cmp_gt_i32_e32 vcc_lo, 32, v5
	v_xor_b32_e32 v8, 2, v6
	s_sub_nc_u64 s[22:23], s[22:23], s[24:25]
	s_cselect_b32 s1, -1, 0
	s_mov_b32 s7, s21
	v_cndmask_b32_e32 v5, v6, v5, vcc_lo
	v_cmp_gt_i32_e32 vcc_lo, 32, v7
	v_dual_cndmask_b32 v7, v6, v7, vcc_lo :: v_dual_bitop2_b32 v9, 1, v6 bitop3:0x14
	v_cmp_gt_i32_e32 vcc_lo, 32, v8
	s_delay_alu instid0(VALU_DEP_2) | instskip(SKIP_1) | instid1(VALU_DEP_4)
	v_dual_lshlrev_b32 v14, 2, v5 :: v_dual_lshlrev_b32 v15, 2, v7
	v_cndmask_b32_e32 v8, v6, v8, vcc_lo
	v_cmp_gt_i32_e32 vcc_lo, 32, v9
	s_delay_alu instid0(VALU_DEP_2) | instskip(NEXT) | instid1(VALU_DEP_1)
	v_dual_cndmask_b32 v6, v6, v9, vcc_lo :: v_dual_lshlrev_b32 v16, 2, v8
	v_lshlrev_b32_e32 v17, 2, v6
	s_branch .LBB225_9
.LBB225_7:                              ;   in Loop: Header=BB225_9 Depth=1
	global_store_b32 v[4:5], v6, off
.LBB225_8:                              ;   in Loop: Header=BB225_9 Depth=1
	s_wait_xcnt 0x0
	s_or_b32 exec_lo, exec_lo, s17
	v_add_nc_u64_e32 v[2:3], s[20:21], v[2:3]
	s_delay_alu instid0(VALU_DEP_1) | instskip(SKIP_1) | instid1(SALU_CYCLE_1)
	v_cmp_le_i64_e32 vcc_lo, s[4:5], v[2:3]
	s_or_b32 s7, vcc_lo, s7
	s_and_not1_b32 exec_lo, exec_lo, s7
	s_cbranch_execz .LBB225_16
.LBB225_9:                              ; =>This Loop Header: Depth=1
                                        ;     Child Loop BB225_11 Depth 2
	s_wait_dscnt 0x0
	v_lshlrev_b64_e32 v[4:5], 3, v[2:3]
	v_mov_b32_e32 v18, 0
	s_mov_b32 s17, exec_lo
	s_delay_alu instid0(VALU_DEP_2)
	v_add_nc_u64_e32 v[6:7], s[10:11], v[4:5]
	v_add_nc_u64_e32 v[4:5], s[8:9], v[4:5]
	global_load_b64 v[8:9], v[6:7], off
	global_load_b64 v[10:11], v[4:5], off
	s_wait_loadcnt 0x1
	s_wait_xcnt 0x0
	v_sub_nc_u64_e64 v[4:5], v[8:9], s[2:3]
	s_wait_loadcnt 0x0
	v_add_nc_u64_e32 v[6:7], v[10:11], v[0:1]
	s_delay_alu instid0(VALU_DEP_1)
	v_cmpx_lt_i64_e64 v[6:7], v[4:5]
	s_cbranch_execz .LBB225_13
; %bb.10:                               ;   in Loop: Header=BB225_9 Depth=1
	v_lshl_add_u64 v[8:9], v[6:7], 1, s[14:15]
	v_lshl_add_u64 v[10:11], v[6:7], 3, s[12:13]
	v_mov_b32_e32 v18, 0
	s_mov_b32 s24, 0
.LBB225_11:                             ;   Parent Loop BB225_9 Depth=1
                                        ; =>  This Inner Loop Header: Depth=2
	global_load_b64 v[20:21], v[10:11], off
	global_load_u16 v19, v[8:9], off
	v_add_nc_u64_e32 v[6:7], 64, v[6:7]
	s_wait_xcnt 0x0
	v_add_nc_u64_e32 v[8:9], 0x80, v[8:9]
	v_add_nc_u64_e32 v[10:11], 0x200, v[10:11]
	s_delay_alu instid0(VALU_DEP_3)
	v_cmp_ge_i64_e32 vcc_lo, v[6:7], v[4:5]
	s_or_b32 s24, vcc_lo, s24
	s_wait_loadcnt 0x1
	v_lshl_add_u64 v[20:21], v[20:21], 1, s[22:23]
	s_wait_loadcnt 0x0
	v_cvt_f32_f16_e32 v19, v19
	global_load_u16 v20, v[20:21], off
	v_mul_f32_e32 v19, s6, v19
	s_wait_loadcnt 0x0
	s_delay_alu instid0(VALU_DEP_1)
	v_fma_mix_f32 v18, v19, v20, v18 op_sel_hi:[0,1,0]
	s_wait_xcnt 0x0
	s_and_not1_b32 exec_lo, exec_lo, s24
	s_cbranch_execnz .LBB225_11
; %bb.12:                               ;   in Loop: Header=BB225_9 Depth=1
	s_or_b32 exec_lo, exec_lo, s24
.LBB225_13:                             ;   in Loop: Header=BB225_9 Depth=1
	s_delay_alu instid0(SALU_CYCLE_1)
	s_or_b32 exec_lo, exec_lo, s17
	ds_bpermute_b32 v4, v12, v18
	s_wait_dscnt 0x0
	v_add_f32_e32 v4, v18, v4
	ds_bpermute_b32 v5, v13, v4
	s_wait_dscnt 0x0
	v_add_f32_e32 v4, v4, v5
	;; [unrolled: 3-line block ×5, first 2 shown]
	ds_bpermute_b32 v5, v17, v4
	s_and_saveexec_b32 s17, s0
	s_cbranch_execz .LBB225_8
; %bb.14:                               ;   in Loop: Header=BB225_9 Depth=1
	s_wait_dscnt 0x0
	v_add_f32_e32 v6, v4, v5
	v_lshl_add_u64 v[4:5], v[2:3], 2, s[18:19]
	s_and_not1_b32 vcc_lo, exec_lo, s1
	s_cbranch_vccnz .LBB225_7
; %bb.15:                               ;   in Loop: Header=BB225_9 Depth=1
	global_load_b32 v7, v[4:5], off
	s_wait_loadcnt 0x0
	v_fmac_f32_e32 v6, s16, v7
	s_branch .LBB225_7
.LBB225_16:
	s_endpgm
	.section	.rodata,"a",@progbits
	.p2align	6, 0x0
	.amdhsa_kernel _ZN9rocsparseL21csrmvn_general_kernelILj256ELj64EllDF16_DF16_ffEEvbT2_NS_24const_host_device_scalarIT6_EEPKT1_S7_PKS1_PKT3_PKT4_S4_PT5_21rocsparse_index_base_b
		.amdhsa_group_segment_fixed_size 0
		.amdhsa_private_segment_fixed_size 0
		.amdhsa_kernarg_size 344
		.amdhsa_user_sgpr_count 2
		.amdhsa_user_sgpr_dispatch_ptr 0
		.amdhsa_user_sgpr_queue_ptr 0
		.amdhsa_user_sgpr_kernarg_segment_ptr 1
		.amdhsa_user_sgpr_dispatch_id 0
		.amdhsa_user_sgpr_kernarg_preload_length 0
		.amdhsa_user_sgpr_kernarg_preload_offset 0
		.amdhsa_user_sgpr_private_segment_size 0
		.amdhsa_wavefront_size32 1
		.amdhsa_uses_dynamic_stack 0
		.amdhsa_enable_private_segment 0
		.amdhsa_system_sgpr_workgroup_id_x 1
		.amdhsa_system_sgpr_workgroup_id_y 0
		.amdhsa_system_sgpr_workgroup_id_z 0
		.amdhsa_system_sgpr_workgroup_info 0
		.amdhsa_system_vgpr_workitem_id 0
		.amdhsa_next_free_vgpr 22
		.amdhsa_next_free_sgpr 26
		.amdhsa_named_barrier_count 0
		.amdhsa_reserve_vcc 1
		.amdhsa_float_round_mode_32 0
		.amdhsa_float_round_mode_16_64 0
		.amdhsa_float_denorm_mode_32 3
		.amdhsa_float_denorm_mode_16_64 3
		.amdhsa_fp16_overflow 0
		.amdhsa_memory_ordered 1
		.amdhsa_forward_progress 1
		.amdhsa_inst_pref_size 7
		.amdhsa_round_robin_scheduling 0
		.amdhsa_exception_fp_ieee_invalid_op 0
		.amdhsa_exception_fp_denorm_src 0
		.amdhsa_exception_fp_ieee_div_zero 0
		.amdhsa_exception_fp_ieee_overflow 0
		.amdhsa_exception_fp_ieee_underflow 0
		.amdhsa_exception_fp_ieee_inexact 0
		.amdhsa_exception_int_div_zero 0
	.end_amdhsa_kernel
	.section	.text._ZN9rocsparseL21csrmvn_general_kernelILj256ELj64EllDF16_DF16_ffEEvbT2_NS_24const_host_device_scalarIT6_EEPKT1_S7_PKS1_PKT3_PKT4_S4_PT5_21rocsparse_index_base_b,"axG",@progbits,_ZN9rocsparseL21csrmvn_general_kernelILj256ELj64EllDF16_DF16_ffEEvbT2_NS_24const_host_device_scalarIT6_EEPKT1_S7_PKS1_PKT3_PKT4_S4_PT5_21rocsparse_index_base_b,comdat
.Lfunc_end225:
	.size	_ZN9rocsparseL21csrmvn_general_kernelILj256ELj64EllDF16_DF16_ffEEvbT2_NS_24const_host_device_scalarIT6_EEPKT1_S7_PKS1_PKT3_PKT4_S4_PT5_21rocsparse_index_base_b, .Lfunc_end225-_ZN9rocsparseL21csrmvn_general_kernelILj256ELj64EllDF16_DF16_ffEEvbT2_NS_24const_host_device_scalarIT6_EEPKT1_S7_PKS1_PKT3_PKT4_S4_PT5_21rocsparse_index_base_b
                                        ; -- End function
	.set _ZN9rocsparseL21csrmvn_general_kernelILj256ELj64EllDF16_DF16_ffEEvbT2_NS_24const_host_device_scalarIT6_EEPKT1_S7_PKS1_PKT3_PKT4_S4_PT5_21rocsparse_index_base_b.num_vgpr, 22
	.set _ZN9rocsparseL21csrmvn_general_kernelILj256ELj64EllDF16_DF16_ffEEvbT2_NS_24const_host_device_scalarIT6_EEPKT1_S7_PKS1_PKT3_PKT4_S4_PT5_21rocsparse_index_base_b.num_agpr, 0
	.set _ZN9rocsparseL21csrmvn_general_kernelILj256ELj64EllDF16_DF16_ffEEvbT2_NS_24const_host_device_scalarIT6_EEPKT1_S7_PKS1_PKT3_PKT4_S4_PT5_21rocsparse_index_base_b.numbered_sgpr, 26
	.set _ZN9rocsparseL21csrmvn_general_kernelILj256ELj64EllDF16_DF16_ffEEvbT2_NS_24const_host_device_scalarIT6_EEPKT1_S7_PKS1_PKT3_PKT4_S4_PT5_21rocsparse_index_base_b.num_named_barrier, 0
	.set _ZN9rocsparseL21csrmvn_general_kernelILj256ELj64EllDF16_DF16_ffEEvbT2_NS_24const_host_device_scalarIT6_EEPKT1_S7_PKS1_PKT3_PKT4_S4_PT5_21rocsparse_index_base_b.private_seg_size, 0
	.set _ZN9rocsparseL21csrmvn_general_kernelILj256ELj64EllDF16_DF16_ffEEvbT2_NS_24const_host_device_scalarIT6_EEPKT1_S7_PKS1_PKT3_PKT4_S4_PT5_21rocsparse_index_base_b.uses_vcc, 1
	.set _ZN9rocsparseL21csrmvn_general_kernelILj256ELj64EllDF16_DF16_ffEEvbT2_NS_24const_host_device_scalarIT6_EEPKT1_S7_PKS1_PKT3_PKT4_S4_PT5_21rocsparse_index_base_b.uses_flat_scratch, 0
	.set _ZN9rocsparseL21csrmvn_general_kernelILj256ELj64EllDF16_DF16_ffEEvbT2_NS_24const_host_device_scalarIT6_EEPKT1_S7_PKS1_PKT3_PKT4_S4_PT5_21rocsparse_index_base_b.has_dyn_sized_stack, 0
	.set _ZN9rocsparseL21csrmvn_general_kernelILj256ELj64EllDF16_DF16_ffEEvbT2_NS_24const_host_device_scalarIT6_EEPKT1_S7_PKS1_PKT3_PKT4_S4_PT5_21rocsparse_index_base_b.has_recursion, 0
	.set _ZN9rocsparseL21csrmvn_general_kernelILj256ELj64EllDF16_DF16_ffEEvbT2_NS_24const_host_device_scalarIT6_EEPKT1_S7_PKS1_PKT3_PKT4_S4_PT5_21rocsparse_index_base_b.has_indirect_call, 0
	.section	.AMDGPU.csdata,"",@progbits
; Kernel info:
; codeLenInByte = 888
; TotalNumSgprs: 28
; NumVgprs: 22
; ScratchSize: 0
; MemoryBound: 0
; FloatMode: 240
; IeeeMode: 1
; LDSByteSize: 0 bytes/workgroup (compile time only)
; SGPRBlocks: 0
; VGPRBlocks: 1
; NumSGPRsForWavesPerEU: 28
; NumVGPRsForWavesPerEU: 22
; NamedBarCnt: 0
; Occupancy: 16
; WaveLimiterHint : 1
; COMPUTE_PGM_RSRC2:SCRATCH_EN: 0
; COMPUTE_PGM_RSRC2:USER_SGPR: 2
; COMPUTE_PGM_RSRC2:TRAP_HANDLER: 0
; COMPUTE_PGM_RSRC2:TGID_X_EN: 1
; COMPUTE_PGM_RSRC2:TGID_Y_EN: 0
; COMPUTE_PGM_RSRC2:TGID_Z_EN: 0
; COMPUTE_PGM_RSRC2:TIDIG_COMP_CNT: 0
	.section	.text._ZN9rocsparseL21csrmvt_general_kernelILj256ELj4EllDF16_DF16_ffEEvbbT2_NS_24const_host_device_scalarIT6_EEPKT1_S7_PKS1_PKT3_PKT4_PT5_21rocsparse_index_base_b,"axG",@progbits,_ZN9rocsparseL21csrmvt_general_kernelILj256ELj4EllDF16_DF16_ffEEvbbT2_NS_24const_host_device_scalarIT6_EEPKT1_S7_PKS1_PKT3_PKT4_PT5_21rocsparse_index_base_b,comdat
	.globl	_ZN9rocsparseL21csrmvt_general_kernelILj256ELj4EllDF16_DF16_ffEEvbbT2_NS_24const_host_device_scalarIT6_EEPKT1_S7_PKS1_PKT3_PKT4_PT5_21rocsparse_index_base_b ; -- Begin function _ZN9rocsparseL21csrmvt_general_kernelILj256ELj4EllDF16_DF16_ffEEvbbT2_NS_24const_host_device_scalarIT6_EEPKT1_S7_PKS1_PKT3_PKT4_PT5_21rocsparse_index_base_b
	.p2align	8
	.type	_ZN9rocsparseL21csrmvt_general_kernelILj256ELj4EllDF16_DF16_ffEEvbbT2_NS_24const_host_device_scalarIT6_EEPKT1_S7_PKS1_PKT3_PKT4_PT5_21rocsparse_index_base_b,@function
_ZN9rocsparseL21csrmvt_general_kernelILj256ELj4EllDF16_DF16_ffEEvbbT2_NS_24const_host_device_scalarIT6_EEPKT1_S7_PKS1_PKT3_PKT4_PT5_21rocsparse_index_base_b: ; @_ZN9rocsparseL21csrmvt_general_kernelILj256ELj4EllDF16_DF16_ffEEvbbT2_NS_24const_host_device_scalarIT6_EEPKT1_S7_PKS1_PKT3_PKT4_PT5_21rocsparse_index_base_b
; %bb.0:
	s_clause 0x1
	s_load_b64 s[2:3], s[0:1], 0x48
	s_load_b256 s[4:11], s[0:1], 0x8
	s_wait_kmcnt 0x0
	s_bitcmp1_b32 s3, 0
	s_cselect_b32 s3, -1, 0
	s_delay_alu instid0(SALU_CYCLE_1)
	s_and_b32 vcc_lo, exec_lo, s3
	s_cbranch_vccnz .LBB226_2
; %bb.1:
	s_load_b32 s6, s[6:7], 0x0
.LBB226_2:
	s_wait_kmcnt 0x0
	s_cmp_eq_f32 s6, 0
	s_mov_b32 s21, 0
	s_cbranch_scc1 .LBB226_20
; %bb.3:
	s_clause 0x1
	s_load_b32 s3, s[0:1], 0x0
	s_load_b32 s7, s[0:1], 0x50
	s_bfe_u32 s12, ttmp6, 0x4000c
	s_and_b32 s13, ttmp6, 15
	s_add_co_i32 s12, s12, 1
	s_getreg_b32 s14, hwreg(HW_REG_IB_STS2, 6, 4)
	s_mul_i32 s12, ttmp9, s12
	v_mov_b32_e32 v3, 0
	s_add_co_i32 s22, s13, s12
	s_wait_kmcnt 0x0
	s_and_b32 s3, s3, 1
	s_lshl_b32 s20, s7, 6
	s_cmp_eq_u32 s14, 0
	s_load_b256 s[12:19], s[0:1], 0x28
	s_wait_xcnt 0x0
	s_cselect_b32 s0, ttmp9, s22
	s_cmp_eq_u32 s3, 0
	v_lshl_or_b32 v1, s0, 8, v0
	v_and_b32_e32 v0, 3, v0
	s_mov_b32 s1, -1
	s_delay_alu instid0(VALU_DEP_2) | instskip(NEXT) | instid1(VALU_DEP_1)
	v_lshrrev_b32_e32 v2, 2, v1
	v_cmp_gt_i64_e64 s0, s[4:5], v[2:3]
	s_cbranch_scc0 .LBB226_11
; %bb.4:
	s_and_saveexec_b32 s1, s0
	s_cbranch_execz .LBB226_10
; %bb.5:
	v_mov_b32_e32 v1, 0
	s_mov_b32 s3, 0
	v_mov_b64_e32 v[6:7], v[2:3]
	s_mov_b32 s7, s3
	s_delay_alu instid0(VALU_DEP_2)
	v_sub_nc_u64_e64 v[4:5], v[0:1], s[2:3]
	s_branch .LBB226_7
.LBB226_6:                              ;   in Loop: Header=BB226_7 Depth=1
	s_or_b32 exec_lo, exec_lo, s22
	v_add_nc_u64_e32 v[6:7], s[20:21], v[6:7]
	s_delay_alu instid0(VALU_DEP_1) | instskip(SKIP_1) | instid1(SALU_CYCLE_1)
	v_cmp_le_i64_e32 vcc_lo, s[4:5], v[6:7]
	s_or_b32 s7, vcc_lo, s7
	s_and_not1_b32 exec_lo, exec_lo, s7
	s_cbranch_execz .LBB226_10
.LBB226_7:                              ; =>This Loop Header: Depth=1
                                        ;     Child Loop BB226_9 Depth 2
	s_delay_alu instid0(VALU_DEP_2) | instskip(SKIP_1) | instid1(VALU_DEP_1)
	v_lshlrev_b64_e32 v[8:9], 3, v[6:7]
	s_mov_b32 s22, exec_lo
	v_add_nc_u64_e32 v[10:11], s[10:11], v[8:9]
	v_add_nc_u64_e32 v[8:9], s[8:9], v[8:9]
	global_load_b64 v[12:13], v[10:11], off
	global_load_b64 v[14:15], v[8:9], off
	s_wait_loadcnt 0x1
	s_wait_xcnt 0x0
	v_sub_nc_u64_e64 v[8:9], v[12:13], s[2:3]
	s_wait_loadcnt 0x0
	v_add_nc_u64_e32 v[10:11], v[14:15], v[4:5]
	s_delay_alu instid0(VALU_DEP_1)
	v_cmpx_lt_i64_e64 v[10:11], v[8:9]
	s_cbranch_execz .LBB226_6
; %bb.8:                                ;   in Loop: Header=BB226_7 Depth=1
	s_wait_kmcnt 0x0
	v_lshl_add_u64 v[12:13], v[6:7], 1, s[16:17]
	v_lshl_add_u64 v[14:15], v[10:11], 1, s[14:15]
	s_mov_b32 s23, 0
	global_load_u16 v1, v[12:13], off
	s_wait_xcnt 0x0
	v_lshl_add_u64 v[12:13], v[10:11], 3, s[12:13]
	s_wait_loadcnt 0x0
	v_cvt_f32_f16_e32 v1, v1
	s_delay_alu instid0(VALU_DEP_1)
	v_mul_f32_e32 v1, s6, v1
.LBB226_9:                              ;   Parent Loop BB226_7 Depth=1
                                        ; =>  This Inner Loop Header: Depth=2
	global_load_b64 v[16:17], v[12:13], off
	global_load_u16 v18, v[14:15], off
	v_add_nc_u64_e32 v[10:11], 4, v[10:11]
	s_wait_xcnt 0x1
	v_add_nc_u64_e32 v[12:13], 32, v[12:13]
	s_wait_xcnt 0x0
	v_add_nc_u64_e32 v[14:15], 8, v[14:15]
	s_delay_alu instid0(VALU_DEP_3)
	v_cmp_ge_i64_e32 vcc_lo, v[10:11], v[8:9]
	s_or_b32 s23, vcc_lo, s23
	s_wait_loadcnt 0x1
	v_sub_nc_u64_e64 v[16:17], v[16:17], s[2:3]
	s_wait_loadcnt 0x0
	v_cvt_f32_f16_e32 v18, v18
	s_delay_alu instid0(VALU_DEP_1) | instskip(NEXT) | instid1(VALU_DEP_3)
	v_mul_f32_e32 v18, v1, v18
	v_lshl_add_u64 v[16:17], v[16:17], 2, s[18:19]
	global_atomic_add_f32 v[16:17], v18, off scope:SCOPE_DEV
	s_wait_xcnt 0x0
	s_and_not1_b32 exec_lo, exec_lo, s23
	s_cbranch_execnz .LBB226_9
	s_branch .LBB226_6
.LBB226_10:
	s_or_b32 exec_lo, exec_lo, s1
	s_mov_b32 s1, 0
.LBB226_11:
	s_delay_alu instid0(SALU_CYCLE_1)
	s_and_not1_b32 vcc_lo, exec_lo, s1
	s_cbranch_vccnz .LBB226_20
; %bb.12:
	s_and_saveexec_b32 s1, s0
	s_cbranch_execz .LBB226_20
; %bb.13:
	v_mov_b32_e32 v1, 0
	s_mov_b32 s3, 0
	s_delay_alu instid0(SALU_CYCLE_1) | instskip(NEXT) | instid1(VALU_DEP_1)
	s_mov_b32 s0, s3
	v_sub_nc_u64_e64 v[0:1], v[0:1], s[2:3]
	s_branch .LBB226_15
.LBB226_14:                             ;   in Loop: Header=BB226_15 Depth=1
	s_or_b32 exec_lo, exec_lo, s1
	v_add_nc_u64_e32 v[2:3], s[20:21], v[2:3]
	s_delay_alu instid0(VALU_DEP_1) | instskip(SKIP_1) | instid1(SALU_CYCLE_1)
	v_cmp_le_i64_e32 vcc_lo, s[4:5], v[2:3]
	s_or_b32 s0, vcc_lo, s0
	s_and_not1_b32 exec_lo, exec_lo, s0
	s_cbranch_execz .LBB226_20
.LBB226_15:                             ; =>This Loop Header: Depth=1
                                        ;     Child Loop BB226_18 Depth 2
	v_lshlrev_b64_e32 v[4:5], 3, v[2:3]
	s_mov_b32 s1, exec_lo
	s_delay_alu instid0(VALU_DEP_1)
	v_add_nc_u64_e32 v[6:7], s[10:11], v[4:5]
	v_add_nc_u64_e32 v[4:5], s[8:9], v[4:5]
	global_load_b64 v[8:9], v[6:7], off
	global_load_b64 v[10:11], v[4:5], off
	s_wait_loadcnt 0x1
	s_wait_xcnt 0x0
	v_sub_nc_u64_e64 v[4:5], v[8:9], s[2:3]
	s_wait_loadcnt 0x0
	v_add_nc_u64_e32 v[6:7], v[10:11], v[0:1]
	s_delay_alu instid0(VALU_DEP_1)
	v_cmpx_lt_i64_e64 v[6:7], v[4:5]
	s_cbranch_execz .LBB226_14
; %bb.16:                               ;   in Loop: Header=BB226_15 Depth=1
	s_wait_kmcnt 0x0
	v_lshl_add_u64 v[8:9], v[2:3], 1, s[16:17]
	s_mov_b32 s7, 0
	global_load_u16 v8, v[8:9], off
	s_wait_loadcnt 0x0
	v_cvt_f32_f16_e32 v10, v8
	s_wait_xcnt 0x0
	v_lshl_add_u64 v[8:9], v[6:7], 3, s[12:13]
	s_delay_alu instid0(VALU_DEP_2)
	v_mul_f32_e32 v14, s6, v10
	v_lshl_add_u64 v[10:11], v[6:7], 1, s[14:15]
	s_branch .LBB226_18
.LBB226_17:                             ;   in Loop: Header=BB226_18 Depth=2
	s_wait_xcnt 0x0
	s_or_b32 exec_lo, exec_lo, s22
	v_add_nc_u64_e32 v[6:7], 4, v[6:7]
	v_add_nc_u64_e32 v[8:9], 32, v[8:9]
	;; [unrolled: 1-line block ×3, first 2 shown]
	s_delay_alu instid0(VALU_DEP_3) | instskip(SKIP_1) | instid1(SALU_CYCLE_1)
	v_cmp_ge_i64_e32 vcc_lo, v[6:7], v[4:5]
	s_or_b32 s7, vcc_lo, s7
	s_and_not1_b32 exec_lo, exec_lo, s7
	s_cbranch_execz .LBB226_14
.LBB226_18:                             ;   Parent Loop BB226_15 Depth=1
                                        ; =>  This Inner Loop Header: Depth=2
	global_load_b64 v[12:13], v[8:9], off
	s_mov_b32 s22, exec_lo
	s_wait_loadcnt 0x0
	v_sub_nc_u64_e64 v[12:13], v[12:13], s[2:3]
	s_wait_xcnt 0x0
	s_delay_alu instid0(VALU_DEP_1)
	v_cmpx_ne_u64_e64 v[12:13], v[2:3]
	s_cbranch_execz .LBB226_17
; %bb.19:                               ;   in Loop: Header=BB226_18 Depth=2
	global_load_u16 v15, v[10:11], off
	v_lshl_add_u64 v[12:13], v[12:13], 2, s[18:19]
	s_wait_loadcnt 0x0
	v_cvt_f32_f16_e32 v15, v15
	s_delay_alu instid0(VALU_DEP_1)
	v_mul_f32_e32 v15, v14, v15
	s_wait_xcnt 0x0
	global_atomic_add_f32 v[12:13], v15, off scope:SCOPE_DEV
	s_branch .LBB226_17
.LBB226_20:
	s_endpgm
	.section	.rodata,"a",@progbits
	.p2align	6, 0x0
	.amdhsa_kernel _ZN9rocsparseL21csrmvt_general_kernelILj256ELj4EllDF16_DF16_ffEEvbbT2_NS_24const_host_device_scalarIT6_EEPKT1_S7_PKS1_PKT3_PKT4_PT5_21rocsparse_index_base_b
		.amdhsa_group_segment_fixed_size 0
		.amdhsa_private_segment_fixed_size 0
		.amdhsa_kernarg_size 336
		.amdhsa_user_sgpr_count 2
		.amdhsa_user_sgpr_dispatch_ptr 0
		.amdhsa_user_sgpr_queue_ptr 0
		.amdhsa_user_sgpr_kernarg_segment_ptr 1
		.amdhsa_user_sgpr_dispatch_id 0
		.amdhsa_user_sgpr_kernarg_preload_length 0
		.amdhsa_user_sgpr_kernarg_preload_offset 0
		.amdhsa_user_sgpr_private_segment_size 0
		.amdhsa_wavefront_size32 1
		.amdhsa_uses_dynamic_stack 0
		.amdhsa_enable_private_segment 0
		.amdhsa_system_sgpr_workgroup_id_x 1
		.amdhsa_system_sgpr_workgroup_id_y 0
		.amdhsa_system_sgpr_workgroup_id_z 0
		.amdhsa_system_sgpr_workgroup_info 0
		.amdhsa_system_vgpr_workitem_id 0
		.amdhsa_next_free_vgpr 19
		.amdhsa_next_free_sgpr 24
		.amdhsa_named_barrier_count 0
		.amdhsa_reserve_vcc 1
		.amdhsa_float_round_mode_32 0
		.amdhsa_float_round_mode_16_64 0
		.amdhsa_float_denorm_mode_32 3
		.amdhsa_float_denorm_mode_16_64 3
		.amdhsa_fp16_overflow 0
		.amdhsa_memory_ordered 1
		.amdhsa_forward_progress 1
		.amdhsa_inst_pref_size 8
		.amdhsa_round_robin_scheduling 0
		.amdhsa_exception_fp_ieee_invalid_op 0
		.amdhsa_exception_fp_denorm_src 0
		.amdhsa_exception_fp_ieee_div_zero 0
		.amdhsa_exception_fp_ieee_overflow 0
		.amdhsa_exception_fp_ieee_underflow 0
		.amdhsa_exception_fp_ieee_inexact 0
		.amdhsa_exception_int_div_zero 0
	.end_amdhsa_kernel
	.section	.text._ZN9rocsparseL21csrmvt_general_kernelILj256ELj4EllDF16_DF16_ffEEvbbT2_NS_24const_host_device_scalarIT6_EEPKT1_S7_PKS1_PKT3_PKT4_PT5_21rocsparse_index_base_b,"axG",@progbits,_ZN9rocsparseL21csrmvt_general_kernelILj256ELj4EllDF16_DF16_ffEEvbbT2_NS_24const_host_device_scalarIT6_EEPKT1_S7_PKS1_PKT3_PKT4_PT5_21rocsparse_index_base_b,comdat
.Lfunc_end226:
	.size	_ZN9rocsparseL21csrmvt_general_kernelILj256ELj4EllDF16_DF16_ffEEvbbT2_NS_24const_host_device_scalarIT6_EEPKT1_S7_PKS1_PKT3_PKT4_PT5_21rocsparse_index_base_b, .Lfunc_end226-_ZN9rocsparseL21csrmvt_general_kernelILj256ELj4EllDF16_DF16_ffEEvbbT2_NS_24const_host_device_scalarIT6_EEPKT1_S7_PKS1_PKT3_PKT4_PT5_21rocsparse_index_base_b
                                        ; -- End function
	.set _ZN9rocsparseL21csrmvt_general_kernelILj256ELj4EllDF16_DF16_ffEEvbbT2_NS_24const_host_device_scalarIT6_EEPKT1_S7_PKS1_PKT3_PKT4_PT5_21rocsparse_index_base_b.num_vgpr, 19
	.set _ZN9rocsparseL21csrmvt_general_kernelILj256ELj4EllDF16_DF16_ffEEvbbT2_NS_24const_host_device_scalarIT6_EEPKT1_S7_PKS1_PKT3_PKT4_PT5_21rocsparse_index_base_b.num_agpr, 0
	.set _ZN9rocsparseL21csrmvt_general_kernelILj256ELj4EllDF16_DF16_ffEEvbbT2_NS_24const_host_device_scalarIT6_EEPKT1_S7_PKS1_PKT3_PKT4_PT5_21rocsparse_index_base_b.numbered_sgpr, 24
	.set _ZN9rocsparseL21csrmvt_general_kernelILj256ELj4EllDF16_DF16_ffEEvbbT2_NS_24const_host_device_scalarIT6_EEPKT1_S7_PKS1_PKT3_PKT4_PT5_21rocsparse_index_base_b.num_named_barrier, 0
	.set _ZN9rocsparseL21csrmvt_general_kernelILj256ELj4EllDF16_DF16_ffEEvbbT2_NS_24const_host_device_scalarIT6_EEPKT1_S7_PKS1_PKT3_PKT4_PT5_21rocsparse_index_base_b.private_seg_size, 0
	.set _ZN9rocsparseL21csrmvt_general_kernelILj256ELj4EllDF16_DF16_ffEEvbbT2_NS_24const_host_device_scalarIT6_EEPKT1_S7_PKS1_PKT3_PKT4_PT5_21rocsparse_index_base_b.uses_vcc, 1
	.set _ZN9rocsparseL21csrmvt_general_kernelILj256ELj4EllDF16_DF16_ffEEvbbT2_NS_24const_host_device_scalarIT6_EEPKT1_S7_PKS1_PKT3_PKT4_PT5_21rocsparse_index_base_b.uses_flat_scratch, 0
	.set _ZN9rocsparseL21csrmvt_general_kernelILj256ELj4EllDF16_DF16_ffEEvbbT2_NS_24const_host_device_scalarIT6_EEPKT1_S7_PKS1_PKT3_PKT4_PT5_21rocsparse_index_base_b.has_dyn_sized_stack, 0
	.set _ZN9rocsparseL21csrmvt_general_kernelILj256ELj4EllDF16_DF16_ffEEvbbT2_NS_24const_host_device_scalarIT6_EEPKT1_S7_PKS1_PKT3_PKT4_PT5_21rocsparse_index_base_b.has_recursion, 0
	.set _ZN9rocsparseL21csrmvt_general_kernelILj256ELj4EllDF16_DF16_ffEEvbbT2_NS_24const_host_device_scalarIT6_EEPKT1_S7_PKS1_PKT3_PKT4_PT5_21rocsparse_index_base_b.has_indirect_call, 0
	.section	.AMDGPU.csdata,"",@progbits
; Kernel info:
; codeLenInByte = 912
; TotalNumSgprs: 26
; NumVgprs: 19
; ScratchSize: 0
; MemoryBound: 0
; FloatMode: 240
; IeeeMode: 1
; LDSByteSize: 0 bytes/workgroup (compile time only)
; SGPRBlocks: 0
; VGPRBlocks: 1
; NumSGPRsForWavesPerEU: 26
; NumVGPRsForWavesPerEU: 19
; NamedBarCnt: 0
; Occupancy: 16
; WaveLimiterHint : 1
; COMPUTE_PGM_RSRC2:SCRATCH_EN: 0
; COMPUTE_PGM_RSRC2:USER_SGPR: 2
; COMPUTE_PGM_RSRC2:TRAP_HANDLER: 0
; COMPUTE_PGM_RSRC2:TGID_X_EN: 1
; COMPUTE_PGM_RSRC2:TGID_Y_EN: 0
; COMPUTE_PGM_RSRC2:TGID_Z_EN: 0
; COMPUTE_PGM_RSRC2:TIDIG_COMP_CNT: 0
	.section	.text._ZN9rocsparseL21csrmvt_general_kernelILj256ELj8EllDF16_DF16_ffEEvbbT2_NS_24const_host_device_scalarIT6_EEPKT1_S7_PKS1_PKT3_PKT4_PT5_21rocsparse_index_base_b,"axG",@progbits,_ZN9rocsparseL21csrmvt_general_kernelILj256ELj8EllDF16_DF16_ffEEvbbT2_NS_24const_host_device_scalarIT6_EEPKT1_S7_PKS1_PKT3_PKT4_PT5_21rocsparse_index_base_b,comdat
	.globl	_ZN9rocsparseL21csrmvt_general_kernelILj256ELj8EllDF16_DF16_ffEEvbbT2_NS_24const_host_device_scalarIT6_EEPKT1_S7_PKS1_PKT3_PKT4_PT5_21rocsparse_index_base_b ; -- Begin function _ZN9rocsparseL21csrmvt_general_kernelILj256ELj8EllDF16_DF16_ffEEvbbT2_NS_24const_host_device_scalarIT6_EEPKT1_S7_PKS1_PKT3_PKT4_PT5_21rocsparse_index_base_b
	.p2align	8
	.type	_ZN9rocsparseL21csrmvt_general_kernelILj256ELj8EllDF16_DF16_ffEEvbbT2_NS_24const_host_device_scalarIT6_EEPKT1_S7_PKS1_PKT3_PKT4_PT5_21rocsparse_index_base_b,@function
_ZN9rocsparseL21csrmvt_general_kernelILj256ELj8EllDF16_DF16_ffEEvbbT2_NS_24const_host_device_scalarIT6_EEPKT1_S7_PKS1_PKT3_PKT4_PT5_21rocsparse_index_base_b: ; @_ZN9rocsparseL21csrmvt_general_kernelILj256ELj8EllDF16_DF16_ffEEvbbT2_NS_24const_host_device_scalarIT6_EEPKT1_S7_PKS1_PKT3_PKT4_PT5_21rocsparse_index_base_b
; %bb.0:
	s_clause 0x1
	s_load_b64 s[2:3], s[0:1], 0x48
	s_load_b256 s[4:11], s[0:1], 0x8
	s_wait_kmcnt 0x0
	s_bitcmp1_b32 s3, 0
	s_cselect_b32 s3, -1, 0
	s_delay_alu instid0(SALU_CYCLE_1)
	s_and_b32 vcc_lo, exec_lo, s3
	s_cbranch_vccnz .LBB227_2
; %bb.1:
	s_load_b32 s6, s[6:7], 0x0
.LBB227_2:
	s_wait_kmcnt 0x0
	s_cmp_eq_f32 s6, 0
	s_mov_b32 s21, 0
	s_cbranch_scc1 .LBB227_20
; %bb.3:
	s_clause 0x1
	s_load_b32 s3, s[0:1], 0x0
	s_load_b32 s7, s[0:1], 0x50
	s_bfe_u32 s12, ttmp6, 0x4000c
	s_and_b32 s13, ttmp6, 15
	s_add_co_i32 s12, s12, 1
	s_getreg_b32 s14, hwreg(HW_REG_IB_STS2, 6, 4)
	s_mul_i32 s12, ttmp9, s12
	v_mov_b32_e32 v3, 0
	s_add_co_i32 s22, s13, s12
	s_wait_kmcnt 0x0
	s_and_b32 s3, s3, 1
	s_lshl_b32 s20, s7, 5
	s_cmp_eq_u32 s14, 0
	s_load_b256 s[12:19], s[0:1], 0x28
	s_wait_xcnt 0x0
	s_cselect_b32 s0, ttmp9, s22
	s_cmp_eq_u32 s3, 0
	v_lshl_or_b32 v1, s0, 8, v0
	v_and_b32_e32 v0, 7, v0
	s_mov_b32 s1, -1
	s_delay_alu instid0(VALU_DEP_2) | instskip(NEXT) | instid1(VALU_DEP_1)
	v_lshrrev_b32_e32 v2, 3, v1
	v_cmp_gt_i64_e64 s0, s[4:5], v[2:3]
	s_cbranch_scc0 .LBB227_11
; %bb.4:
	s_and_saveexec_b32 s1, s0
	s_cbranch_execz .LBB227_10
; %bb.5:
	v_mov_b32_e32 v1, 0
	s_mov_b32 s3, 0
	v_mov_b64_e32 v[6:7], v[2:3]
	s_mov_b32 s7, s3
	s_delay_alu instid0(VALU_DEP_2)
	v_sub_nc_u64_e64 v[4:5], v[0:1], s[2:3]
	s_branch .LBB227_7
.LBB227_6:                              ;   in Loop: Header=BB227_7 Depth=1
	s_or_b32 exec_lo, exec_lo, s22
	v_add_nc_u64_e32 v[6:7], s[20:21], v[6:7]
	s_delay_alu instid0(VALU_DEP_1) | instskip(SKIP_1) | instid1(SALU_CYCLE_1)
	v_cmp_le_i64_e32 vcc_lo, s[4:5], v[6:7]
	s_or_b32 s7, vcc_lo, s7
	s_and_not1_b32 exec_lo, exec_lo, s7
	s_cbranch_execz .LBB227_10
.LBB227_7:                              ; =>This Loop Header: Depth=1
                                        ;     Child Loop BB227_9 Depth 2
	s_delay_alu instid0(VALU_DEP_2) | instskip(SKIP_1) | instid1(VALU_DEP_1)
	v_lshlrev_b64_e32 v[8:9], 3, v[6:7]
	s_mov_b32 s22, exec_lo
	v_add_nc_u64_e32 v[10:11], s[10:11], v[8:9]
	v_add_nc_u64_e32 v[8:9], s[8:9], v[8:9]
	global_load_b64 v[12:13], v[10:11], off
	global_load_b64 v[14:15], v[8:9], off
	s_wait_loadcnt 0x1
	s_wait_xcnt 0x0
	v_sub_nc_u64_e64 v[8:9], v[12:13], s[2:3]
	s_wait_loadcnt 0x0
	v_add_nc_u64_e32 v[10:11], v[14:15], v[4:5]
	s_delay_alu instid0(VALU_DEP_1)
	v_cmpx_lt_i64_e64 v[10:11], v[8:9]
	s_cbranch_execz .LBB227_6
; %bb.8:                                ;   in Loop: Header=BB227_7 Depth=1
	s_wait_kmcnt 0x0
	v_lshl_add_u64 v[12:13], v[6:7], 1, s[16:17]
	v_lshl_add_u64 v[14:15], v[10:11], 1, s[14:15]
	s_mov_b32 s23, 0
	global_load_u16 v1, v[12:13], off
	s_wait_xcnt 0x0
	v_lshl_add_u64 v[12:13], v[10:11], 3, s[12:13]
	s_wait_loadcnt 0x0
	v_cvt_f32_f16_e32 v1, v1
	s_delay_alu instid0(VALU_DEP_1)
	v_mul_f32_e32 v1, s6, v1
.LBB227_9:                              ;   Parent Loop BB227_7 Depth=1
                                        ; =>  This Inner Loop Header: Depth=2
	global_load_b64 v[16:17], v[12:13], off
	global_load_u16 v18, v[14:15], off
	v_add_nc_u64_e32 v[10:11], 8, v[10:11]
	s_wait_xcnt 0x1
	v_add_nc_u64_e32 v[12:13], 64, v[12:13]
	s_wait_xcnt 0x0
	v_add_nc_u64_e32 v[14:15], 16, v[14:15]
	s_delay_alu instid0(VALU_DEP_3)
	v_cmp_ge_i64_e32 vcc_lo, v[10:11], v[8:9]
	s_or_b32 s23, vcc_lo, s23
	s_wait_loadcnt 0x1
	v_sub_nc_u64_e64 v[16:17], v[16:17], s[2:3]
	s_wait_loadcnt 0x0
	v_cvt_f32_f16_e32 v18, v18
	s_delay_alu instid0(VALU_DEP_1) | instskip(NEXT) | instid1(VALU_DEP_3)
	v_mul_f32_e32 v18, v1, v18
	v_lshl_add_u64 v[16:17], v[16:17], 2, s[18:19]
	global_atomic_add_f32 v[16:17], v18, off scope:SCOPE_DEV
	s_wait_xcnt 0x0
	s_and_not1_b32 exec_lo, exec_lo, s23
	s_cbranch_execnz .LBB227_9
	s_branch .LBB227_6
.LBB227_10:
	s_or_b32 exec_lo, exec_lo, s1
	s_mov_b32 s1, 0
.LBB227_11:
	s_delay_alu instid0(SALU_CYCLE_1)
	s_and_not1_b32 vcc_lo, exec_lo, s1
	s_cbranch_vccnz .LBB227_20
; %bb.12:
	s_and_saveexec_b32 s1, s0
	s_cbranch_execz .LBB227_20
; %bb.13:
	v_mov_b32_e32 v1, 0
	s_mov_b32 s3, 0
	s_delay_alu instid0(SALU_CYCLE_1) | instskip(NEXT) | instid1(VALU_DEP_1)
	s_mov_b32 s0, s3
	v_sub_nc_u64_e64 v[0:1], v[0:1], s[2:3]
	s_branch .LBB227_15
.LBB227_14:                             ;   in Loop: Header=BB227_15 Depth=1
	s_or_b32 exec_lo, exec_lo, s1
	v_add_nc_u64_e32 v[2:3], s[20:21], v[2:3]
	s_delay_alu instid0(VALU_DEP_1) | instskip(SKIP_1) | instid1(SALU_CYCLE_1)
	v_cmp_le_i64_e32 vcc_lo, s[4:5], v[2:3]
	s_or_b32 s0, vcc_lo, s0
	s_and_not1_b32 exec_lo, exec_lo, s0
	s_cbranch_execz .LBB227_20
.LBB227_15:                             ; =>This Loop Header: Depth=1
                                        ;     Child Loop BB227_18 Depth 2
	v_lshlrev_b64_e32 v[4:5], 3, v[2:3]
	s_mov_b32 s1, exec_lo
	s_delay_alu instid0(VALU_DEP_1)
	v_add_nc_u64_e32 v[6:7], s[10:11], v[4:5]
	v_add_nc_u64_e32 v[4:5], s[8:9], v[4:5]
	global_load_b64 v[8:9], v[6:7], off
	global_load_b64 v[10:11], v[4:5], off
	s_wait_loadcnt 0x1
	s_wait_xcnt 0x0
	v_sub_nc_u64_e64 v[4:5], v[8:9], s[2:3]
	s_wait_loadcnt 0x0
	v_add_nc_u64_e32 v[6:7], v[10:11], v[0:1]
	s_delay_alu instid0(VALU_DEP_1)
	v_cmpx_lt_i64_e64 v[6:7], v[4:5]
	s_cbranch_execz .LBB227_14
; %bb.16:                               ;   in Loop: Header=BB227_15 Depth=1
	s_wait_kmcnt 0x0
	v_lshl_add_u64 v[8:9], v[2:3], 1, s[16:17]
	s_mov_b32 s7, 0
	global_load_u16 v8, v[8:9], off
	s_wait_loadcnt 0x0
	v_cvt_f32_f16_e32 v10, v8
	s_wait_xcnt 0x0
	v_lshl_add_u64 v[8:9], v[6:7], 3, s[12:13]
	s_delay_alu instid0(VALU_DEP_2)
	v_mul_f32_e32 v14, s6, v10
	v_lshl_add_u64 v[10:11], v[6:7], 1, s[14:15]
	s_branch .LBB227_18
.LBB227_17:                             ;   in Loop: Header=BB227_18 Depth=2
	s_wait_xcnt 0x0
	s_or_b32 exec_lo, exec_lo, s22
	v_add_nc_u64_e32 v[6:7], 8, v[6:7]
	v_add_nc_u64_e32 v[8:9], 64, v[8:9]
	;; [unrolled: 1-line block ×3, first 2 shown]
	s_delay_alu instid0(VALU_DEP_3) | instskip(SKIP_1) | instid1(SALU_CYCLE_1)
	v_cmp_ge_i64_e32 vcc_lo, v[6:7], v[4:5]
	s_or_b32 s7, vcc_lo, s7
	s_and_not1_b32 exec_lo, exec_lo, s7
	s_cbranch_execz .LBB227_14
.LBB227_18:                             ;   Parent Loop BB227_15 Depth=1
                                        ; =>  This Inner Loop Header: Depth=2
	global_load_b64 v[12:13], v[8:9], off
	s_mov_b32 s22, exec_lo
	s_wait_loadcnt 0x0
	v_sub_nc_u64_e64 v[12:13], v[12:13], s[2:3]
	s_wait_xcnt 0x0
	s_delay_alu instid0(VALU_DEP_1)
	v_cmpx_ne_u64_e64 v[12:13], v[2:3]
	s_cbranch_execz .LBB227_17
; %bb.19:                               ;   in Loop: Header=BB227_18 Depth=2
	global_load_u16 v15, v[10:11], off
	v_lshl_add_u64 v[12:13], v[12:13], 2, s[18:19]
	s_wait_loadcnt 0x0
	v_cvt_f32_f16_e32 v15, v15
	s_delay_alu instid0(VALU_DEP_1)
	v_mul_f32_e32 v15, v14, v15
	s_wait_xcnt 0x0
	global_atomic_add_f32 v[12:13], v15, off scope:SCOPE_DEV
	s_branch .LBB227_17
.LBB227_20:
	s_endpgm
	.section	.rodata,"a",@progbits
	.p2align	6, 0x0
	.amdhsa_kernel _ZN9rocsparseL21csrmvt_general_kernelILj256ELj8EllDF16_DF16_ffEEvbbT2_NS_24const_host_device_scalarIT6_EEPKT1_S7_PKS1_PKT3_PKT4_PT5_21rocsparse_index_base_b
		.amdhsa_group_segment_fixed_size 0
		.amdhsa_private_segment_fixed_size 0
		.amdhsa_kernarg_size 336
		.amdhsa_user_sgpr_count 2
		.amdhsa_user_sgpr_dispatch_ptr 0
		.amdhsa_user_sgpr_queue_ptr 0
		.amdhsa_user_sgpr_kernarg_segment_ptr 1
		.amdhsa_user_sgpr_dispatch_id 0
		.amdhsa_user_sgpr_kernarg_preload_length 0
		.amdhsa_user_sgpr_kernarg_preload_offset 0
		.amdhsa_user_sgpr_private_segment_size 0
		.amdhsa_wavefront_size32 1
		.amdhsa_uses_dynamic_stack 0
		.amdhsa_enable_private_segment 0
		.amdhsa_system_sgpr_workgroup_id_x 1
		.amdhsa_system_sgpr_workgroup_id_y 0
		.amdhsa_system_sgpr_workgroup_id_z 0
		.amdhsa_system_sgpr_workgroup_info 0
		.amdhsa_system_vgpr_workitem_id 0
		.amdhsa_next_free_vgpr 19
		.amdhsa_next_free_sgpr 24
		.amdhsa_named_barrier_count 0
		.amdhsa_reserve_vcc 1
		.amdhsa_float_round_mode_32 0
		.amdhsa_float_round_mode_16_64 0
		.amdhsa_float_denorm_mode_32 3
		.amdhsa_float_denorm_mode_16_64 3
		.amdhsa_fp16_overflow 0
		.amdhsa_memory_ordered 1
		.amdhsa_forward_progress 1
		.amdhsa_inst_pref_size 8
		.amdhsa_round_robin_scheduling 0
		.amdhsa_exception_fp_ieee_invalid_op 0
		.amdhsa_exception_fp_denorm_src 0
		.amdhsa_exception_fp_ieee_div_zero 0
		.amdhsa_exception_fp_ieee_overflow 0
		.amdhsa_exception_fp_ieee_underflow 0
		.amdhsa_exception_fp_ieee_inexact 0
		.amdhsa_exception_int_div_zero 0
	.end_amdhsa_kernel
	.section	.text._ZN9rocsparseL21csrmvt_general_kernelILj256ELj8EllDF16_DF16_ffEEvbbT2_NS_24const_host_device_scalarIT6_EEPKT1_S7_PKS1_PKT3_PKT4_PT5_21rocsparse_index_base_b,"axG",@progbits,_ZN9rocsparseL21csrmvt_general_kernelILj256ELj8EllDF16_DF16_ffEEvbbT2_NS_24const_host_device_scalarIT6_EEPKT1_S7_PKS1_PKT3_PKT4_PT5_21rocsparse_index_base_b,comdat
.Lfunc_end227:
	.size	_ZN9rocsparseL21csrmvt_general_kernelILj256ELj8EllDF16_DF16_ffEEvbbT2_NS_24const_host_device_scalarIT6_EEPKT1_S7_PKS1_PKT3_PKT4_PT5_21rocsparse_index_base_b, .Lfunc_end227-_ZN9rocsparseL21csrmvt_general_kernelILj256ELj8EllDF16_DF16_ffEEvbbT2_NS_24const_host_device_scalarIT6_EEPKT1_S7_PKS1_PKT3_PKT4_PT5_21rocsparse_index_base_b
                                        ; -- End function
	.set _ZN9rocsparseL21csrmvt_general_kernelILj256ELj8EllDF16_DF16_ffEEvbbT2_NS_24const_host_device_scalarIT6_EEPKT1_S7_PKS1_PKT3_PKT4_PT5_21rocsparse_index_base_b.num_vgpr, 19
	.set _ZN9rocsparseL21csrmvt_general_kernelILj256ELj8EllDF16_DF16_ffEEvbbT2_NS_24const_host_device_scalarIT6_EEPKT1_S7_PKS1_PKT3_PKT4_PT5_21rocsparse_index_base_b.num_agpr, 0
	.set _ZN9rocsparseL21csrmvt_general_kernelILj256ELj8EllDF16_DF16_ffEEvbbT2_NS_24const_host_device_scalarIT6_EEPKT1_S7_PKS1_PKT3_PKT4_PT5_21rocsparse_index_base_b.numbered_sgpr, 24
	.set _ZN9rocsparseL21csrmvt_general_kernelILj256ELj8EllDF16_DF16_ffEEvbbT2_NS_24const_host_device_scalarIT6_EEPKT1_S7_PKS1_PKT3_PKT4_PT5_21rocsparse_index_base_b.num_named_barrier, 0
	.set _ZN9rocsparseL21csrmvt_general_kernelILj256ELj8EllDF16_DF16_ffEEvbbT2_NS_24const_host_device_scalarIT6_EEPKT1_S7_PKS1_PKT3_PKT4_PT5_21rocsparse_index_base_b.private_seg_size, 0
	.set _ZN9rocsparseL21csrmvt_general_kernelILj256ELj8EllDF16_DF16_ffEEvbbT2_NS_24const_host_device_scalarIT6_EEPKT1_S7_PKS1_PKT3_PKT4_PT5_21rocsparse_index_base_b.uses_vcc, 1
	.set _ZN9rocsparseL21csrmvt_general_kernelILj256ELj8EllDF16_DF16_ffEEvbbT2_NS_24const_host_device_scalarIT6_EEPKT1_S7_PKS1_PKT3_PKT4_PT5_21rocsparse_index_base_b.uses_flat_scratch, 0
	.set _ZN9rocsparseL21csrmvt_general_kernelILj256ELj8EllDF16_DF16_ffEEvbbT2_NS_24const_host_device_scalarIT6_EEPKT1_S7_PKS1_PKT3_PKT4_PT5_21rocsparse_index_base_b.has_dyn_sized_stack, 0
	.set _ZN9rocsparseL21csrmvt_general_kernelILj256ELj8EllDF16_DF16_ffEEvbbT2_NS_24const_host_device_scalarIT6_EEPKT1_S7_PKS1_PKT3_PKT4_PT5_21rocsparse_index_base_b.has_recursion, 0
	.set _ZN9rocsparseL21csrmvt_general_kernelILj256ELj8EllDF16_DF16_ffEEvbbT2_NS_24const_host_device_scalarIT6_EEPKT1_S7_PKS1_PKT3_PKT4_PT5_21rocsparse_index_base_b.has_indirect_call, 0
	.section	.AMDGPU.csdata,"",@progbits
; Kernel info:
; codeLenInByte = 912
; TotalNumSgprs: 26
; NumVgprs: 19
; ScratchSize: 0
; MemoryBound: 0
; FloatMode: 240
; IeeeMode: 1
; LDSByteSize: 0 bytes/workgroup (compile time only)
; SGPRBlocks: 0
; VGPRBlocks: 1
; NumSGPRsForWavesPerEU: 26
; NumVGPRsForWavesPerEU: 19
; NamedBarCnt: 0
; Occupancy: 16
; WaveLimiterHint : 1
; COMPUTE_PGM_RSRC2:SCRATCH_EN: 0
; COMPUTE_PGM_RSRC2:USER_SGPR: 2
; COMPUTE_PGM_RSRC2:TRAP_HANDLER: 0
; COMPUTE_PGM_RSRC2:TGID_X_EN: 1
; COMPUTE_PGM_RSRC2:TGID_Y_EN: 0
; COMPUTE_PGM_RSRC2:TGID_Z_EN: 0
; COMPUTE_PGM_RSRC2:TIDIG_COMP_CNT: 0
	.section	.text._ZN9rocsparseL21csrmvt_general_kernelILj256ELj16EllDF16_DF16_ffEEvbbT2_NS_24const_host_device_scalarIT6_EEPKT1_S7_PKS1_PKT3_PKT4_PT5_21rocsparse_index_base_b,"axG",@progbits,_ZN9rocsparseL21csrmvt_general_kernelILj256ELj16EllDF16_DF16_ffEEvbbT2_NS_24const_host_device_scalarIT6_EEPKT1_S7_PKS1_PKT3_PKT4_PT5_21rocsparse_index_base_b,comdat
	.globl	_ZN9rocsparseL21csrmvt_general_kernelILj256ELj16EllDF16_DF16_ffEEvbbT2_NS_24const_host_device_scalarIT6_EEPKT1_S7_PKS1_PKT3_PKT4_PT5_21rocsparse_index_base_b ; -- Begin function _ZN9rocsparseL21csrmvt_general_kernelILj256ELj16EllDF16_DF16_ffEEvbbT2_NS_24const_host_device_scalarIT6_EEPKT1_S7_PKS1_PKT3_PKT4_PT5_21rocsparse_index_base_b
	.p2align	8
	.type	_ZN9rocsparseL21csrmvt_general_kernelILj256ELj16EllDF16_DF16_ffEEvbbT2_NS_24const_host_device_scalarIT6_EEPKT1_S7_PKS1_PKT3_PKT4_PT5_21rocsparse_index_base_b,@function
_ZN9rocsparseL21csrmvt_general_kernelILj256ELj16EllDF16_DF16_ffEEvbbT2_NS_24const_host_device_scalarIT6_EEPKT1_S7_PKS1_PKT3_PKT4_PT5_21rocsparse_index_base_b: ; @_ZN9rocsparseL21csrmvt_general_kernelILj256ELj16EllDF16_DF16_ffEEvbbT2_NS_24const_host_device_scalarIT6_EEPKT1_S7_PKS1_PKT3_PKT4_PT5_21rocsparse_index_base_b
; %bb.0:
	s_clause 0x1
	s_load_b64 s[2:3], s[0:1], 0x48
	s_load_b256 s[4:11], s[0:1], 0x8
	s_wait_kmcnt 0x0
	s_bitcmp1_b32 s3, 0
	s_cselect_b32 s3, -1, 0
	s_delay_alu instid0(SALU_CYCLE_1)
	s_and_b32 vcc_lo, exec_lo, s3
	s_cbranch_vccnz .LBB228_2
; %bb.1:
	s_load_b32 s6, s[6:7], 0x0
.LBB228_2:
	s_wait_kmcnt 0x0
	s_cmp_eq_f32 s6, 0
	s_mov_b32 s21, 0
	s_cbranch_scc1 .LBB228_20
; %bb.3:
	s_clause 0x1
	s_load_b32 s3, s[0:1], 0x0
	s_load_b32 s7, s[0:1], 0x50
	s_bfe_u32 s12, ttmp6, 0x4000c
	s_and_b32 s13, ttmp6, 15
	s_add_co_i32 s12, s12, 1
	s_getreg_b32 s14, hwreg(HW_REG_IB_STS2, 6, 4)
	s_mul_i32 s12, ttmp9, s12
	v_mov_b32_e32 v3, 0
	s_add_co_i32 s22, s13, s12
	s_wait_kmcnt 0x0
	s_and_b32 s3, s3, 1
	s_lshl_b32 s20, s7, 4
	s_cmp_eq_u32 s14, 0
	s_load_b256 s[12:19], s[0:1], 0x28
	s_wait_xcnt 0x0
	s_cselect_b32 s0, ttmp9, s22
	s_cmp_eq_u32 s3, 0
	v_lshl_or_b32 v1, s0, 8, v0
	v_and_b32_e32 v0, 15, v0
	s_mov_b32 s1, -1
	s_delay_alu instid0(VALU_DEP_2) | instskip(NEXT) | instid1(VALU_DEP_1)
	v_lshrrev_b32_e32 v2, 4, v1
	v_cmp_gt_i64_e64 s0, s[4:5], v[2:3]
	s_cbranch_scc0 .LBB228_11
; %bb.4:
	s_and_saveexec_b32 s1, s0
	s_cbranch_execz .LBB228_10
; %bb.5:
	v_mov_b32_e32 v1, 0
	s_mov_b32 s3, 0
	v_mov_b64_e32 v[6:7], v[2:3]
	s_mov_b32 s7, s3
	s_delay_alu instid0(VALU_DEP_2)
	v_sub_nc_u64_e64 v[4:5], v[0:1], s[2:3]
	s_branch .LBB228_7
.LBB228_6:                              ;   in Loop: Header=BB228_7 Depth=1
	s_or_b32 exec_lo, exec_lo, s22
	v_add_nc_u64_e32 v[6:7], s[20:21], v[6:7]
	s_delay_alu instid0(VALU_DEP_1) | instskip(SKIP_1) | instid1(SALU_CYCLE_1)
	v_cmp_le_i64_e32 vcc_lo, s[4:5], v[6:7]
	s_or_b32 s7, vcc_lo, s7
	s_and_not1_b32 exec_lo, exec_lo, s7
	s_cbranch_execz .LBB228_10
.LBB228_7:                              ; =>This Loop Header: Depth=1
                                        ;     Child Loop BB228_9 Depth 2
	s_delay_alu instid0(VALU_DEP_2) | instskip(SKIP_1) | instid1(VALU_DEP_1)
	v_lshlrev_b64_e32 v[8:9], 3, v[6:7]
	s_mov_b32 s22, exec_lo
	v_add_nc_u64_e32 v[10:11], s[10:11], v[8:9]
	v_add_nc_u64_e32 v[8:9], s[8:9], v[8:9]
	global_load_b64 v[12:13], v[10:11], off
	global_load_b64 v[14:15], v[8:9], off
	s_wait_loadcnt 0x1
	s_wait_xcnt 0x0
	v_sub_nc_u64_e64 v[8:9], v[12:13], s[2:3]
	s_wait_loadcnt 0x0
	v_add_nc_u64_e32 v[10:11], v[14:15], v[4:5]
	s_delay_alu instid0(VALU_DEP_1)
	v_cmpx_lt_i64_e64 v[10:11], v[8:9]
	s_cbranch_execz .LBB228_6
; %bb.8:                                ;   in Loop: Header=BB228_7 Depth=1
	s_wait_kmcnt 0x0
	v_lshl_add_u64 v[12:13], v[6:7], 1, s[16:17]
	v_lshl_add_u64 v[14:15], v[10:11], 1, s[14:15]
	s_mov_b32 s23, 0
	global_load_u16 v1, v[12:13], off
	s_wait_xcnt 0x0
	v_lshl_add_u64 v[12:13], v[10:11], 3, s[12:13]
	s_wait_loadcnt 0x0
	v_cvt_f32_f16_e32 v1, v1
	s_delay_alu instid0(VALU_DEP_1)
	v_mul_f32_e32 v1, s6, v1
.LBB228_9:                              ;   Parent Loop BB228_7 Depth=1
                                        ; =>  This Inner Loop Header: Depth=2
	global_load_b64 v[16:17], v[12:13], off
	global_load_u16 v18, v[14:15], off
	v_add_nc_u64_e32 v[10:11], 16, v[10:11]
	s_wait_xcnt 0x1
	v_add_nc_u64_e32 v[12:13], 0x80, v[12:13]
	s_wait_xcnt 0x0
	v_add_nc_u64_e32 v[14:15], 32, v[14:15]
	s_delay_alu instid0(VALU_DEP_3)
	v_cmp_ge_i64_e32 vcc_lo, v[10:11], v[8:9]
	s_or_b32 s23, vcc_lo, s23
	s_wait_loadcnt 0x1
	v_sub_nc_u64_e64 v[16:17], v[16:17], s[2:3]
	s_wait_loadcnt 0x0
	v_cvt_f32_f16_e32 v18, v18
	s_delay_alu instid0(VALU_DEP_1) | instskip(NEXT) | instid1(VALU_DEP_3)
	v_mul_f32_e32 v18, v1, v18
	v_lshl_add_u64 v[16:17], v[16:17], 2, s[18:19]
	global_atomic_add_f32 v[16:17], v18, off scope:SCOPE_DEV
	s_wait_xcnt 0x0
	s_and_not1_b32 exec_lo, exec_lo, s23
	s_cbranch_execnz .LBB228_9
	s_branch .LBB228_6
.LBB228_10:
	s_or_b32 exec_lo, exec_lo, s1
	s_mov_b32 s1, 0
.LBB228_11:
	s_delay_alu instid0(SALU_CYCLE_1)
	s_and_not1_b32 vcc_lo, exec_lo, s1
	s_cbranch_vccnz .LBB228_20
; %bb.12:
	s_and_saveexec_b32 s1, s0
	s_cbranch_execz .LBB228_20
; %bb.13:
	v_mov_b32_e32 v1, 0
	s_mov_b32 s3, 0
	s_delay_alu instid0(SALU_CYCLE_1) | instskip(NEXT) | instid1(VALU_DEP_1)
	s_mov_b32 s0, s3
	v_sub_nc_u64_e64 v[0:1], v[0:1], s[2:3]
	s_branch .LBB228_15
.LBB228_14:                             ;   in Loop: Header=BB228_15 Depth=1
	s_or_b32 exec_lo, exec_lo, s1
	v_add_nc_u64_e32 v[2:3], s[20:21], v[2:3]
	s_delay_alu instid0(VALU_DEP_1) | instskip(SKIP_1) | instid1(SALU_CYCLE_1)
	v_cmp_le_i64_e32 vcc_lo, s[4:5], v[2:3]
	s_or_b32 s0, vcc_lo, s0
	s_and_not1_b32 exec_lo, exec_lo, s0
	s_cbranch_execz .LBB228_20
.LBB228_15:                             ; =>This Loop Header: Depth=1
                                        ;     Child Loop BB228_18 Depth 2
	v_lshlrev_b64_e32 v[4:5], 3, v[2:3]
	s_mov_b32 s1, exec_lo
	s_delay_alu instid0(VALU_DEP_1)
	v_add_nc_u64_e32 v[6:7], s[10:11], v[4:5]
	v_add_nc_u64_e32 v[4:5], s[8:9], v[4:5]
	global_load_b64 v[8:9], v[6:7], off
	global_load_b64 v[10:11], v[4:5], off
	s_wait_loadcnt 0x1
	s_wait_xcnt 0x0
	v_sub_nc_u64_e64 v[4:5], v[8:9], s[2:3]
	s_wait_loadcnt 0x0
	v_add_nc_u64_e32 v[6:7], v[10:11], v[0:1]
	s_delay_alu instid0(VALU_DEP_1)
	v_cmpx_lt_i64_e64 v[6:7], v[4:5]
	s_cbranch_execz .LBB228_14
; %bb.16:                               ;   in Loop: Header=BB228_15 Depth=1
	s_wait_kmcnt 0x0
	v_lshl_add_u64 v[8:9], v[2:3], 1, s[16:17]
	s_mov_b32 s7, 0
	global_load_u16 v8, v[8:9], off
	s_wait_loadcnt 0x0
	v_cvt_f32_f16_e32 v10, v8
	s_wait_xcnt 0x0
	v_lshl_add_u64 v[8:9], v[6:7], 3, s[12:13]
	s_delay_alu instid0(VALU_DEP_2)
	v_mul_f32_e32 v14, s6, v10
	v_lshl_add_u64 v[10:11], v[6:7], 1, s[14:15]
	s_branch .LBB228_18
.LBB228_17:                             ;   in Loop: Header=BB228_18 Depth=2
	s_wait_xcnt 0x0
	s_or_b32 exec_lo, exec_lo, s22
	v_add_nc_u64_e32 v[6:7], 16, v[6:7]
	v_add_nc_u64_e32 v[8:9], 0x80, v[8:9]
	;; [unrolled: 1-line block ×3, first 2 shown]
	s_delay_alu instid0(VALU_DEP_3) | instskip(SKIP_1) | instid1(SALU_CYCLE_1)
	v_cmp_ge_i64_e32 vcc_lo, v[6:7], v[4:5]
	s_or_b32 s7, vcc_lo, s7
	s_and_not1_b32 exec_lo, exec_lo, s7
	s_cbranch_execz .LBB228_14
.LBB228_18:                             ;   Parent Loop BB228_15 Depth=1
                                        ; =>  This Inner Loop Header: Depth=2
	global_load_b64 v[12:13], v[8:9], off
	s_mov_b32 s22, exec_lo
	s_wait_loadcnt 0x0
	v_sub_nc_u64_e64 v[12:13], v[12:13], s[2:3]
	s_wait_xcnt 0x0
	s_delay_alu instid0(VALU_DEP_1)
	v_cmpx_ne_u64_e64 v[12:13], v[2:3]
	s_cbranch_execz .LBB228_17
; %bb.19:                               ;   in Loop: Header=BB228_18 Depth=2
	global_load_u16 v15, v[10:11], off
	v_lshl_add_u64 v[12:13], v[12:13], 2, s[18:19]
	s_wait_loadcnt 0x0
	v_cvt_f32_f16_e32 v15, v15
	s_delay_alu instid0(VALU_DEP_1)
	v_mul_f32_e32 v15, v14, v15
	s_wait_xcnt 0x0
	global_atomic_add_f32 v[12:13], v15, off scope:SCOPE_DEV
	s_branch .LBB228_17
.LBB228_20:
	s_endpgm
	.section	.rodata,"a",@progbits
	.p2align	6, 0x0
	.amdhsa_kernel _ZN9rocsparseL21csrmvt_general_kernelILj256ELj16EllDF16_DF16_ffEEvbbT2_NS_24const_host_device_scalarIT6_EEPKT1_S7_PKS1_PKT3_PKT4_PT5_21rocsparse_index_base_b
		.amdhsa_group_segment_fixed_size 0
		.amdhsa_private_segment_fixed_size 0
		.amdhsa_kernarg_size 336
		.amdhsa_user_sgpr_count 2
		.amdhsa_user_sgpr_dispatch_ptr 0
		.amdhsa_user_sgpr_queue_ptr 0
		.amdhsa_user_sgpr_kernarg_segment_ptr 1
		.amdhsa_user_sgpr_dispatch_id 0
		.amdhsa_user_sgpr_kernarg_preload_length 0
		.amdhsa_user_sgpr_kernarg_preload_offset 0
		.amdhsa_user_sgpr_private_segment_size 0
		.amdhsa_wavefront_size32 1
		.amdhsa_uses_dynamic_stack 0
		.amdhsa_enable_private_segment 0
		.amdhsa_system_sgpr_workgroup_id_x 1
		.amdhsa_system_sgpr_workgroup_id_y 0
		.amdhsa_system_sgpr_workgroup_id_z 0
		.amdhsa_system_sgpr_workgroup_info 0
		.amdhsa_system_vgpr_workitem_id 0
		.amdhsa_next_free_vgpr 19
		.amdhsa_next_free_sgpr 24
		.amdhsa_named_barrier_count 0
		.amdhsa_reserve_vcc 1
		.amdhsa_float_round_mode_32 0
		.amdhsa_float_round_mode_16_64 0
		.amdhsa_float_denorm_mode_32 3
		.amdhsa_float_denorm_mode_16_64 3
		.amdhsa_fp16_overflow 0
		.amdhsa_memory_ordered 1
		.amdhsa_forward_progress 1
		.amdhsa_inst_pref_size 8
		.amdhsa_round_robin_scheduling 0
		.amdhsa_exception_fp_ieee_invalid_op 0
		.amdhsa_exception_fp_denorm_src 0
		.amdhsa_exception_fp_ieee_div_zero 0
		.amdhsa_exception_fp_ieee_overflow 0
		.amdhsa_exception_fp_ieee_underflow 0
		.amdhsa_exception_fp_ieee_inexact 0
		.amdhsa_exception_int_div_zero 0
	.end_amdhsa_kernel
	.section	.text._ZN9rocsparseL21csrmvt_general_kernelILj256ELj16EllDF16_DF16_ffEEvbbT2_NS_24const_host_device_scalarIT6_EEPKT1_S7_PKS1_PKT3_PKT4_PT5_21rocsparse_index_base_b,"axG",@progbits,_ZN9rocsparseL21csrmvt_general_kernelILj256ELj16EllDF16_DF16_ffEEvbbT2_NS_24const_host_device_scalarIT6_EEPKT1_S7_PKS1_PKT3_PKT4_PT5_21rocsparse_index_base_b,comdat
.Lfunc_end228:
	.size	_ZN9rocsparseL21csrmvt_general_kernelILj256ELj16EllDF16_DF16_ffEEvbbT2_NS_24const_host_device_scalarIT6_EEPKT1_S7_PKS1_PKT3_PKT4_PT5_21rocsparse_index_base_b, .Lfunc_end228-_ZN9rocsparseL21csrmvt_general_kernelILj256ELj16EllDF16_DF16_ffEEvbbT2_NS_24const_host_device_scalarIT6_EEPKT1_S7_PKS1_PKT3_PKT4_PT5_21rocsparse_index_base_b
                                        ; -- End function
	.set _ZN9rocsparseL21csrmvt_general_kernelILj256ELj16EllDF16_DF16_ffEEvbbT2_NS_24const_host_device_scalarIT6_EEPKT1_S7_PKS1_PKT3_PKT4_PT5_21rocsparse_index_base_b.num_vgpr, 19
	.set _ZN9rocsparseL21csrmvt_general_kernelILj256ELj16EllDF16_DF16_ffEEvbbT2_NS_24const_host_device_scalarIT6_EEPKT1_S7_PKS1_PKT3_PKT4_PT5_21rocsparse_index_base_b.num_agpr, 0
	.set _ZN9rocsparseL21csrmvt_general_kernelILj256ELj16EllDF16_DF16_ffEEvbbT2_NS_24const_host_device_scalarIT6_EEPKT1_S7_PKS1_PKT3_PKT4_PT5_21rocsparse_index_base_b.numbered_sgpr, 24
	.set _ZN9rocsparseL21csrmvt_general_kernelILj256ELj16EllDF16_DF16_ffEEvbbT2_NS_24const_host_device_scalarIT6_EEPKT1_S7_PKS1_PKT3_PKT4_PT5_21rocsparse_index_base_b.num_named_barrier, 0
	.set _ZN9rocsparseL21csrmvt_general_kernelILj256ELj16EllDF16_DF16_ffEEvbbT2_NS_24const_host_device_scalarIT6_EEPKT1_S7_PKS1_PKT3_PKT4_PT5_21rocsparse_index_base_b.private_seg_size, 0
	.set _ZN9rocsparseL21csrmvt_general_kernelILj256ELj16EllDF16_DF16_ffEEvbbT2_NS_24const_host_device_scalarIT6_EEPKT1_S7_PKS1_PKT3_PKT4_PT5_21rocsparse_index_base_b.uses_vcc, 1
	.set _ZN9rocsparseL21csrmvt_general_kernelILj256ELj16EllDF16_DF16_ffEEvbbT2_NS_24const_host_device_scalarIT6_EEPKT1_S7_PKS1_PKT3_PKT4_PT5_21rocsparse_index_base_b.uses_flat_scratch, 0
	.set _ZN9rocsparseL21csrmvt_general_kernelILj256ELj16EllDF16_DF16_ffEEvbbT2_NS_24const_host_device_scalarIT6_EEPKT1_S7_PKS1_PKT3_PKT4_PT5_21rocsparse_index_base_b.has_dyn_sized_stack, 0
	.set _ZN9rocsparseL21csrmvt_general_kernelILj256ELj16EllDF16_DF16_ffEEvbbT2_NS_24const_host_device_scalarIT6_EEPKT1_S7_PKS1_PKT3_PKT4_PT5_21rocsparse_index_base_b.has_recursion, 0
	.set _ZN9rocsparseL21csrmvt_general_kernelILj256ELj16EllDF16_DF16_ffEEvbbT2_NS_24const_host_device_scalarIT6_EEPKT1_S7_PKS1_PKT3_PKT4_PT5_21rocsparse_index_base_b.has_indirect_call, 0
	.section	.AMDGPU.csdata,"",@progbits
; Kernel info:
; codeLenInByte = 920
; TotalNumSgprs: 26
; NumVgprs: 19
; ScratchSize: 0
; MemoryBound: 0
; FloatMode: 240
; IeeeMode: 1
; LDSByteSize: 0 bytes/workgroup (compile time only)
; SGPRBlocks: 0
; VGPRBlocks: 1
; NumSGPRsForWavesPerEU: 26
; NumVGPRsForWavesPerEU: 19
; NamedBarCnt: 0
; Occupancy: 16
; WaveLimiterHint : 1
; COMPUTE_PGM_RSRC2:SCRATCH_EN: 0
; COMPUTE_PGM_RSRC2:USER_SGPR: 2
; COMPUTE_PGM_RSRC2:TRAP_HANDLER: 0
; COMPUTE_PGM_RSRC2:TGID_X_EN: 1
; COMPUTE_PGM_RSRC2:TGID_Y_EN: 0
; COMPUTE_PGM_RSRC2:TGID_Z_EN: 0
; COMPUTE_PGM_RSRC2:TIDIG_COMP_CNT: 0
	.section	.text._ZN9rocsparseL21csrmvt_general_kernelILj256ELj32EllDF16_DF16_ffEEvbbT2_NS_24const_host_device_scalarIT6_EEPKT1_S7_PKS1_PKT3_PKT4_PT5_21rocsparse_index_base_b,"axG",@progbits,_ZN9rocsparseL21csrmvt_general_kernelILj256ELj32EllDF16_DF16_ffEEvbbT2_NS_24const_host_device_scalarIT6_EEPKT1_S7_PKS1_PKT3_PKT4_PT5_21rocsparse_index_base_b,comdat
	.globl	_ZN9rocsparseL21csrmvt_general_kernelILj256ELj32EllDF16_DF16_ffEEvbbT2_NS_24const_host_device_scalarIT6_EEPKT1_S7_PKS1_PKT3_PKT4_PT5_21rocsparse_index_base_b ; -- Begin function _ZN9rocsparseL21csrmvt_general_kernelILj256ELj32EllDF16_DF16_ffEEvbbT2_NS_24const_host_device_scalarIT6_EEPKT1_S7_PKS1_PKT3_PKT4_PT5_21rocsparse_index_base_b
	.p2align	8
	.type	_ZN9rocsparseL21csrmvt_general_kernelILj256ELj32EllDF16_DF16_ffEEvbbT2_NS_24const_host_device_scalarIT6_EEPKT1_S7_PKS1_PKT3_PKT4_PT5_21rocsparse_index_base_b,@function
_ZN9rocsparseL21csrmvt_general_kernelILj256ELj32EllDF16_DF16_ffEEvbbT2_NS_24const_host_device_scalarIT6_EEPKT1_S7_PKS1_PKT3_PKT4_PT5_21rocsparse_index_base_b: ; @_ZN9rocsparseL21csrmvt_general_kernelILj256ELj32EllDF16_DF16_ffEEvbbT2_NS_24const_host_device_scalarIT6_EEPKT1_S7_PKS1_PKT3_PKT4_PT5_21rocsparse_index_base_b
; %bb.0:
	s_clause 0x1
	s_load_b64 s[2:3], s[0:1], 0x48
	s_load_b256 s[4:11], s[0:1], 0x8
	s_wait_kmcnt 0x0
	s_bitcmp1_b32 s3, 0
	s_cselect_b32 s3, -1, 0
	s_delay_alu instid0(SALU_CYCLE_1)
	s_and_b32 vcc_lo, exec_lo, s3
	s_cbranch_vccnz .LBB229_2
; %bb.1:
	s_load_b32 s6, s[6:7], 0x0
.LBB229_2:
	s_wait_kmcnt 0x0
	s_cmp_eq_f32 s6, 0
	s_mov_b32 s21, 0
	s_cbranch_scc1 .LBB229_20
; %bb.3:
	s_clause 0x1
	s_load_b32 s3, s[0:1], 0x0
	s_load_b32 s7, s[0:1], 0x50
	s_bfe_u32 s12, ttmp6, 0x4000c
	s_and_b32 s13, ttmp6, 15
	s_add_co_i32 s12, s12, 1
	s_getreg_b32 s14, hwreg(HW_REG_IB_STS2, 6, 4)
	s_mul_i32 s12, ttmp9, s12
	v_mov_b32_e32 v3, 0
	s_add_co_i32 s22, s13, s12
	s_wait_kmcnt 0x0
	s_and_b32 s3, s3, 1
	s_lshl_b32 s20, s7, 3
	s_cmp_eq_u32 s14, 0
	s_load_b256 s[12:19], s[0:1], 0x28
	s_wait_xcnt 0x0
	s_cselect_b32 s0, ttmp9, s22
	s_cmp_eq_u32 s3, 0
	v_lshl_or_b32 v1, s0, 8, v0
	v_and_b32_e32 v0, 31, v0
	s_mov_b32 s1, -1
	s_delay_alu instid0(VALU_DEP_2) | instskip(NEXT) | instid1(VALU_DEP_1)
	v_lshrrev_b32_e32 v2, 5, v1
	v_cmp_gt_i64_e64 s0, s[4:5], v[2:3]
	s_cbranch_scc0 .LBB229_11
; %bb.4:
	s_and_saveexec_b32 s1, s0
	s_cbranch_execz .LBB229_10
; %bb.5:
	v_mov_b32_e32 v1, 0
	s_mov_b32 s3, 0
	v_mov_b64_e32 v[6:7], v[2:3]
	s_mov_b32 s7, s3
	s_delay_alu instid0(VALU_DEP_2)
	v_sub_nc_u64_e64 v[4:5], v[0:1], s[2:3]
	s_branch .LBB229_7
.LBB229_6:                              ;   in Loop: Header=BB229_7 Depth=1
	s_or_b32 exec_lo, exec_lo, s22
	v_add_nc_u64_e32 v[6:7], s[20:21], v[6:7]
	s_delay_alu instid0(VALU_DEP_1) | instskip(SKIP_1) | instid1(SALU_CYCLE_1)
	v_cmp_le_i64_e32 vcc_lo, s[4:5], v[6:7]
	s_or_b32 s7, vcc_lo, s7
	s_and_not1_b32 exec_lo, exec_lo, s7
	s_cbranch_execz .LBB229_10
.LBB229_7:                              ; =>This Loop Header: Depth=1
                                        ;     Child Loop BB229_9 Depth 2
	s_delay_alu instid0(VALU_DEP_2) | instskip(SKIP_1) | instid1(VALU_DEP_1)
	v_lshlrev_b64_e32 v[8:9], 3, v[6:7]
	s_mov_b32 s22, exec_lo
	v_add_nc_u64_e32 v[10:11], s[10:11], v[8:9]
	v_add_nc_u64_e32 v[8:9], s[8:9], v[8:9]
	global_load_b64 v[12:13], v[10:11], off
	global_load_b64 v[14:15], v[8:9], off
	s_wait_loadcnt 0x1
	s_wait_xcnt 0x0
	v_sub_nc_u64_e64 v[8:9], v[12:13], s[2:3]
	s_wait_loadcnt 0x0
	v_add_nc_u64_e32 v[10:11], v[14:15], v[4:5]
	s_delay_alu instid0(VALU_DEP_1)
	v_cmpx_lt_i64_e64 v[10:11], v[8:9]
	s_cbranch_execz .LBB229_6
; %bb.8:                                ;   in Loop: Header=BB229_7 Depth=1
	s_wait_kmcnt 0x0
	v_lshl_add_u64 v[12:13], v[6:7], 1, s[16:17]
	v_lshl_add_u64 v[14:15], v[10:11], 1, s[14:15]
	s_mov_b32 s23, 0
	global_load_u16 v1, v[12:13], off
	s_wait_xcnt 0x0
	v_lshl_add_u64 v[12:13], v[10:11], 3, s[12:13]
	s_wait_loadcnt 0x0
	v_cvt_f32_f16_e32 v1, v1
	s_delay_alu instid0(VALU_DEP_1)
	v_mul_f32_e32 v1, s6, v1
.LBB229_9:                              ;   Parent Loop BB229_7 Depth=1
                                        ; =>  This Inner Loop Header: Depth=2
	global_load_b64 v[16:17], v[12:13], off
	global_load_u16 v18, v[14:15], off
	v_add_nc_u64_e32 v[10:11], 32, v[10:11]
	s_wait_xcnt 0x1
	v_add_nc_u64_e32 v[12:13], 0x100, v[12:13]
	s_wait_xcnt 0x0
	v_add_nc_u64_e32 v[14:15], 64, v[14:15]
	s_delay_alu instid0(VALU_DEP_3)
	v_cmp_ge_i64_e32 vcc_lo, v[10:11], v[8:9]
	s_or_b32 s23, vcc_lo, s23
	s_wait_loadcnt 0x1
	v_sub_nc_u64_e64 v[16:17], v[16:17], s[2:3]
	s_wait_loadcnt 0x0
	v_cvt_f32_f16_e32 v18, v18
	s_delay_alu instid0(VALU_DEP_1) | instskip(NEXT) | instid1(VALU_DEP_3)
	v_mul_f32_e32 v18, v1, v18
	v_lshl_add_u64 v[16:17], v[16:17], 2, s[18:19]
	global_atomic_add_f32 v[16:17], v18, off scope:SCOPE_DEV
	s_wait_xcnt 0x0
	s_and_not1_b32 exec_lo, exec_lo, s23
	s_cbranch_execnz .LBB229_9
	s_branch .LBB229_6
.LBB229_10:
	s_or_b32 exec_lo, exec_lo, s1
	s_mov_b32 s1, 0
.LBB229_11:
	s_delay_alu instid0(SALU_CYCLE_1)
	s_and_not1_b32 vcc_lo, exec_lo, s1
	s_cbranch_vccnz .LBB229_20
; %bb.12:
	s_and_saveexec_b32 s1, s0
	s_cbranch_execz .LBB229_20
; %bb.13:
	v_mov_b32_e32 v1, 0
	s_mov_b32 s3, 0
	s_delay_alu instid0(SALU_CYCLE_1) | instskip(NEXT) | instid1(VALU_DEP_1)
	s_mov_b32 s0, s3
	v_sub_nc_u64_e64 v[0:1], v[0:1], s[2:3]
	s_branch .LBB229_15
.LBB229_14:                             ;   in Loop: Header=BB229_15 Depth=1
	s_or_b32 exec_lo, exec_lo, s1
	v_add_nc_u64_e32 v[2:3], s[20:21], v[2:3]
	s_delay_alu instid0(VALU_DEP_1) | instskip(SKIP_1) | instid1(SALU_CYCLE_1)
	v_cmp_le_i64_e32 vcc_lo, s[4:5], v[2:3]
	s_or_b32 s0, vcc_lo, s0
	s_and_not1_b32 exec_lo, exec_lo, s0
	s_cbranch_execz .LBB229_20
.LBB229_15:                             ; =>This Loop Header: Depth=1
                                        ;     Child Loop BB229_18 Depth 2
	v_lshlrev_b64_e32 v[4:5], 3, v[2:3]
	s_mov_b32 s1, exec_lo
	s_delay_alu instid0(VALU_DEP_1)
	v_add_nc_u64_e32 v[6:7], s[10:11], v[4:5]
	v_add_nc_u64_e32 v[4:5], s[8:9], v[4:5]
	global_load_b64 v[8:9], v[6:7], off
	global_load_b64 v[10:11], v[4:5], off
	s_wait_loadcnt 0x1
	s_wait_xcnt 0x0
	v_sub_nc_u64_e64 v[4:5], v[8:9], s[2:3]
	s_wait_loadcnt 0x0
	v_add_nc_u64_e32 v[6:7], v[10:11], v[0:1]
	s_delay_alu instid0(VALU_DEP_1)
	v_cmpx_lt_i64_e64 v[6:7], v[4:5]
	s_cbranch_execz .LBB229_14
; %bb.16:                               ;   in Loop: Header=BB229_15 Depth=1
	s_wait_kmcnt 0x0
	v_lshl_add_u64 v[8:9], v[2:3], 1, s[16:17]
	s_mov_b32 s7, 0
	global_load_u16 v8, v[8:9], off
	s_wait_loadcnt 0x0
	v_cvt_f32_f16_e32 v10, v8
	s_wait_xcnt 0x0
	v_lshl_add_u64 v[8:9], v[6:7], 3, s[12:13]
	s_delay_alu instid0(VALU_DEP_2)
	v_mul_f32_e32 v14, s6, v10
	v_lshl_add_u64 v[10:11], v[6:7], 1, s[14:15]
	s_branch .LBB229_18
.LBB229_17:                             ;   in Loop: Header=BB229_18 Depth=2
	s_wait_xcnt 0x0
	s_or_b32 exec_lo, exec_lo, s22
	v_add_nc_u64_e32 v[6:7], 32, v[6:7]
	v_add_nc_u64_e32 v[8:9], 0x100, v[8:9]
	;; [unrolled: 1-line block ×3, first 2 shown]
	s_delay_alu instid0(VALU_DEP_3) | instskip(SKIP_1) | instid1(SALU_CYCLE_1)
	v_cmp_ge_i64_e32 vcc_lo, v[6:7], v[4:5]
	s_or_b32 s7, vcc_lo, s7
	s_and_not1_b32 exec_lo, exec_lo, s7
	s_cbranch_execz .LBB229_14
.LBB229_18:                             ;   Parent Loop BB229_15 Depth=1
                                        ; =>  This Inner Loop Header: Depth=2
	global_load_b64 v[12:13], v[8:9], off
	s_mov_b32 s22, exec_lo
	s_wait_loadcnt 0x0
	v_sub_nc_u64_e64 v[12:13], v[12:13], s[2:3]
	s_wait_xcnt 0x0
	s_delay_alu instid0(VALU_DEP_1)
	v_cmpx_ne_u64_e64 v[12:13], v[2:3]
	s_cbranch_execz .LBB229_17
; %bb.19:                               ;   in Loop: Header=BB229_18 Depth=2
	global_load_u16 v15, v[10:11], off
	v_lshl_add_u64 v[12:13], v[12:13], 2, s[18:19]
	s_wait_loadcnt 0x0
	v_cvt_f32_f16_e32 v15, v15
	s_delay_alu instid0(VALU_DEP_1)
	v_mul_f32_e32 v15, v14, v15
	s_wait_xcnt 0x0
	global_atomic_add_f32 v[12:13], v15, off scope:SCOPE_DEV
	s_branch .LBB229_17
.LBB229_20:
	s_endpgm
	.section	.rodata,"a",@progbits
	.p2align	6, 0x0
	.amdhsa_kernel _ZN9rocsparseL21csrmvt_general_kernelILj256ELj32EllDF16_DF16_ffEEvbbT2_NS_24const_host_device_scalarIT6_EEPKT1_S7_PKS1_PKT3_PKT4_PT5_21rocsparse_index_base_b
		.amdhsa_group_segment_fixed_size 0
		.amdhsa_private_segment_fixed_size 0
		.amdhsa_kernarg_size 336
		.amdhsa_user_sgpr_count 2
		.amdhsa_user_sgpr_dispatch_ptr 0
		.amdhsa_user_sgpr_queue_ptr 0
		.amdhsa_user_sgpr_kernarg_segment_ptr 1
		.amdhsa_user_sgpr_dispatch_id 0
		.amdhsa_user_sgpr_kernarg_preload_length 0
		.amdhsa_user_sgpr_kernarg_preload_offset 0
		.amdhsa_user_sgpr_private_segment_size 0
		.amdhsa_wavefront_size32 1
		.amdhsa_uses_dynamic_stack 0
		.amdhsa_enable_private_segment 0
		.amdhsa_system_sgpr_workgroup_id_x 1
		.amdhsa_system_sgpr_workgroup_id_y 0
		.amdhsa_system_sgpr_workgroup_id_z 0
		.amdhsa_system_sgpr_workgroup_info 0
		.amdhsa_system_vgpr_workitem_id 0
		.amdhsa_next_free_vgpr 19
		.amdhsa_next_free_sgpr 24
		.amdhsa_named_barrier_count 0
		.amdhsa_reserve_vcc 1
		.amdhsa_float_round_mode_32 0
		.amdhsa_float_round_mode_16_64 0
		.amdhsa_float_denorm_mode_32 3
		.amdhsa_float_denorm_mode_16_64 3
		.amdhsa_fp16_overflow 0
		.amdhsa_memory_ordered 1
		.amdhsa_forward_progress 1
		.amdhsa_inst_pref_size 8
		.amdhsa_round_robin_scheduling 0
		.amdhsa_exception_fp_ieee_invalid_op 0
		.amdhsa_exception_fp_denorm_src 0
		.amdhsa_exception_fp_ieee_div_zero 0
		.amdhsa_exception_fp_ieee_overflow 0
		.amdhsa_exception_fp_ieee_underflow 0
		.amdhsa_exception_fp_ieee_inexact 0
		.amdhsa_exception_int_div_zero 0
	.end_amdhsa_kernel
	.section	.text._ZN9rocsparseL21csrmvt_general_kernelILj256ELj32EllDF16_DF16_ffEEvbbT2_NS_24const_host_device_scalarIT6_EEPKT1_S7_PKS1_PKT3_PKT4_PT5_21rocsparse_index_base_b,"axG",@progbits,_ZN9rocsparseL21csrmvt_general_kernelILj256ELj32EllDF16_DF16_ffEEvbbT2_NS_24const_host_device_scalarIT6_EEPKT1_S7_PKS1_PKT3_PKT4_PT5_21rocsparse_index_base_b,comdat
.Lfunc_end229:
	.size	_ZN9rocsparseL21csrmvt_general_kernelILj256ELj32EllDF16_DF16_ffEEvbbT2_NS_24const_host_device_scalarIT6_EEPKT1_S7_PKS1_PKT3_PKT4_PT5_21rocsparse_index_base_b, .Lfunc_end229-_ZN9rocsparseL21csrmvt_general_kernelILj256ELj32EllDF16_DF16_ffEEvbbT2_NS_24const_host_device_scalarIT6_EEPKT1_S7_PKS1_PKT3_PKT4_PT5_21rocsparse_index_base_b
                                        ; -- End function
	.set _ZN9rocsparseL21csrmvt_general_kernelILj256ELj32EllDF16_DF16_ffEEvbbT2_NS_24const_host_device_scalarIT6_EEPKT1_S7_PKS1_PKT3_PKT4_PT5_21rocsparse_index_base_b.num_vgpr, 19
	.set _ZN9rocsparseL21csrmvt_general_kernelILj256ELj32EllDF16_DF16_ffEEvbbT2_NS_24const_host_device_scalarIT6_EEPKT1_S7_PKS1_PKT3_PKT4_PT5_21rocsparse_index_base_b.num_agpr, 0
	.set _ZN9rocsparseL21csrmvt_general_kernelILj256ELj32EllDF16_DF16_ffEEvbbT2_NS_24const_host_device_scalarIT6_EEPKT1_S7_PKS1_PKT3_PKT4_PT5_21rocsparse_index_base_b.numbered_sgpr, 24
	.set _ZN9rocsparseL21csrmvt_general_kernelILj256ELj32EllDF16_DF16_ffEEvbbT2_NS_24const_host_device_scalarIT6_EEPKT1_S7_PKS1_PKT3_PKT4_PT5_21rocsparse_index_base_b.num_named_barrier, 0
	.set _ZN9rocsparseL21csrmvt_general_kernelILj256ELj32EllDF16_DF16_ffEEvbbT2_NS_24const_host_device_scalarIT6_EEPKT1_S7_PKS1_PKT3_PKT4_PT5_21rocsparse_index_base_b.private_seg_size, 0
	.set _ZN9rocsparseL21csrmvt_general_kernelILj256ELj32EllDF16_DF16_ffEEvbbT2_NS_24const_host_device_scalarIT6_EEPKT1_S7_PKS1_PKT3_PKT4_PT5_21rocsparse_index_base_b.uses_vcc, 1
	.set _ZN9rocsparseL21csrmvt_general_kernelILj256ELj32EllDF16_DF16_ffEEvbbT2_NS_24const_host_device_scalarIT6_EEPKT1_S7_PKS1_PKT3_PKT4_PT5_21rocsparse_index_base_b.uses_flat_scratch, 0
	.set _ZN9rocsparseL21csrmvt_general_kernelILj256ELj32EllDF16_DF16_ffEEvbbT2_NS_24const_host_device_scalarIT6_EEPKT1_S7_PKS1_PKT3_PKT4_PT5_21rocsparse_index_base_b.has_dyn_sized_stack, 0
	.set _ZN9rocsparseL21csrmvt_general_kernelILj256ELj32EllDF16_DF16_ffEEvbbT2_NS_24const_host_device_scalarIT6_EEPKT1_S7_PKS1_PKT3_PKT4_PT5_21rocsparse_index_base_b.has_recursion, 0
	.set _ZN9rocsparseL21csrmvt_general_kernelILj256ELj32EllDF16_DF16_ffEEvbbT2_NS_24const_host_device_scalarIT6_EEPKT1_S7_PKS1_PKT3_PKT4_PT5_21rocsparse_index_base_b.has_indirect_call, 0
	.section	.AMDGPU.csdata,"",@progbits
; Kernel info:
; codeLenInByte = 920
; TotalNumSgprs: 26
; NumVgprs: 19
; ScratchSize: 0
; MemoryBound: 0
; FloatMode: 240
; IeeeMode: 1
; LDSByteSize: 0 bytes/workgroup (compile time only)
; SGPRBlocks: 0
; VGPRBlocks: 1
; NumSGPRsForWavesPerEU: 26
; NumVGPRsForWavesPerEU: 19
; NamedBarCnt: 0
; Occupancy: 16
; WaveLimiterHint : 1
; COMPUTE_PGM_RSRC2:SCRATCH_EN: 0
; COMPUTE_PGM_RSRC2:USER_SGPR: 2
; COMPUTE_PGM_RSRC2:TRAP_HANDLER: 0
; COMPUTE_PGM_RSRC2:TGID_X_EN: 1
; COMPUTE_PGM_RSRC2:TGID_Y_EN: 0
; COMPUTE_PGM_RSRC2:TGID_Z_EN: 0
; COMPUTE_PGM_RSRC2:TIDIG_COMP_CNT: 0
	.section	.text._ZN9rocsparseL21csrmvt_general_kernelILj256ELj64EllDF16_DF16_ffEEvbbT2_NS_24const_host_device_scalarIT6_EEPKT1_S7_PKS1_PKT3_PKT4_PT5_21rocsparse_index_base_b,"axG",@progbits,_ZN9rocsparseL21csrmvt_general_kernelILj256ELj64EllDF16_DF16_ffEEvbbT2_NS_24const_host_device_scalarIT6_EEPKT1_S7_PKS1_PKT3_PKT4_PT5_21rocsparse_index_base_b,comdat
	.globl	_ZN9rocsparseL21csrmvt_general_kernelILj256ELj64EllDF16_DF16_ffEEvbbT2_NS_24const_host_device_scalarIT6_EEPKT1_S7_PKS1_PKT3_PKT4_PT5_21rocsparse_index_base_b ; -- Begin function _ZN9rocsparseL21csrmvt_general_kernelILj256ELj64EllDF16_DF16_ffEEvbbT2_NS_24const_host_device_scalarIT6_EEPKT1_S7_PKS1_PKT3_PKT4_PT5_21rocsparse_index_base_b
	.p2align	8
	.type	_ZN9rocsparseL21csrmvt_general_kernelILj256ELj64EllDF16_DF16_ffEEvbbT2_NS_24const_host_device_scalarIT6_EEPKT1_S7_PKS1_PKT3_PKT4_PT5_21rocsparse_index_base_b,@function
_ZN9rocsparseL21csrmvt_general_kernelILj256ELj64EllDF16_DF16_ffEEvbbT2_NS_24const_host_device_scalarIT6_EEPKT1_S7_PKS1_PKT3_PKT4_PT5_21rocsparse_index_base_b: ; @_ZN9rocsparseL21csrmvt_general_kernelILj256ELj64EllDF16_DF16_ffEEvbbT2_NS_24const_host_device_scalarIT6_EEPKT1_S7_PKS1_PKT3_PKT4_PT5_21rocsparse_index_base_b
; %bb.0:
	s_clause 0x1
	s_load_b64 s[2:3], s[0:1], 0x48
	s_load_b256 s[4:11], s[0:1], 0x8
	s_wait_kmcnt 0x0
	s_bitcmp1_b32 s3, 0
	s_cselect_b32 s3, -1, 0
	s_delay_alu instid0(SALU_CYCLE_1)
	s_and_b32 vcc_lo, exec_lo, s3
	s_cbranch_vccnz .LBB230_2
; %bb.1:
	s_load_b32 s6, s[6:7], 0x0
.LBB230_2:
	s_wait_kmcnt 0x0
	s_cmp_eq_f32 s6, 0
	s_mov_b32 s21, 0
	s_cbranch_scc1 .LBB230_20
; %bb.3:
	s_clause 0x1
	s_load_b32 s3, s[0:1], 0x0
	s_load_b32 s7, s[0:1], 0x50
	s_bfe_u32 s12, ttmp6, 0x4000c
	s_and_b32 s13, ttmp6, 15
	s_add_co_i32 s12, s12, 1
	s_getreg_b32 s14, hwreg(HW_REG_IB_STS2, 6, 4)
	s_mul_i32 s12, ttmp9, s12
	v_mov_b32_e32 v3, 0
	s_add_co_i32 s22, s13, s12
	s_wait_kmcnt 0x0
	s_and_b32 s3, s3, 1
	s_lshl_b32 s20, s7, 2
	s_cmp_eq_u32 s14, 0
	s_load_b256 s[12:19], s[0:1], 0x28
	s_wait_xcnt 0x0
	s_cselect_b32 s0, ttmp9, s22
	s_cmp_eq_u32 s3, 0
	v_lshl_or_b32 v1, s0, 8, v0
	v_and_b32_e32 v0, 63, v0
	s_mov_b32 s1, -1
	s_delay_alu instid0(VALU_DEP_2) | instskip(NEXT) | instid1(VALU_DEP_1)
	v_lshrrev_b32_e32 v2, 6, v1
	v_cmp_gt_i64_e64 s0, s[4:5], v[2:3]
	s_cbranch_scc0 .LBB230_11
; %bb.4:
	s_and_saveexec_b32 s1, s0
	s_cbranch_execz .LBB230_10
; %bb.5:
	v_mov_b32_e32 v1, 0
	s_mov_b32 s3, 0
	v_mov_b64_e32 v[6:7], v[2:3]
	s_mov_b32 s7, s3
	s_delay_alu instid0(VALU_DEP_2)
	v_sub_nc_u64_e64 v[4:5], v[0:1], s[2:3]
	s_branch .LBB230_7
.LBB230_6:                              ;   in Loop: Header=BB230_7 Depth=1
	s_or_b32 exec_lo, exec_lo, s22
	v_add_nc_u64_e32 v[6:7], s[20:21], v[6:7]
	s_delay_alu instid0(VALU_DEP_1) | instskip(SKIP_1) | instid1(SALU_CYCLE_1)
	v_cmp_le_i64_e32 vcc_lo, s[4:5], v[6:7]
	s_or_b32 s7, vcc_lo, s7
	s_and_not1_b32 exec_lo, exec_lo, s7
	s_cbranch_execz .LBB230_10
.LBB230_7:                              ; =>This Loop Header: Depth=1
                                        ;     Child Loop BB230_9 Depth 2
	s_delay_alu instid0(VALU_DEP_2) | instskip(SKIP_1) | instid1(VALU_DEP_1)
	v_lshlrev_b64_e32 v[8:9], 3, v[6:7]
	s_mov_b32 s22, exec_lo
	v_add_nc_u64_e32 v[10:11], s[10:11], v[8:9]
	v_add_nc_u64_e32 v[8:9], s[8:9], v[8:9]
	global_load_b64 v[12:13], v[10:11], off
	global_load_b64 v[14:15], v[8:9], off
	s_wait_loadcnt 0x1
	s_wait_xcnt 0x0
	v_sub_nc_u64_e64 v[8:9], v[12:13], s[2:3]
	s_wait_loadcnt 0x0
	v_add_nc_u64_e32 v[10:11], v[14:15], v[4:5]
	s_delay_alu instid0(VALU_DEP_1)
	v_cmpx_lt_i64_e64 v[10:11], v[8:9]
	s_cbranch_execz .LBB230_6
; %bb.8:                                ;   in Loop: Header=BB230_7 Depth=1
	s_wait_kmcnt 0x0
	v_lshl_add_u64 v[12:13], v[6:7], 1, s[16:17]
	v_lshl_add_u64 v[14:15], v[10:11], 1, s[14:15]
	s_mov_b32 s23, 0
	global_load_u16 v1, v[12:13], off
	s_wait_xcnt 0x0
	v_lshl_add_u64 v[12:13], v[10:11], 3, s[12:13]
	s_wait_loadcnt 0x0
	v_cvt_f32_f16_e32 v1, v1
	s_delay_alu instid0(VALU_DEP_1)
	v_mul_f32_e32 v1, s6, v1
.LBB230_9:                              ;   Parent Loop BB230_7 Depth=1
                                        ; =>  This Inner Loop Header: Depth=2
	global_load_b64 v[16:17], v[12:13], off
	global_load_u16 v18, v[14:15], off
	v_add_nc_u64_e32 v[10:11], 64, v[10:11]
	s_wait_xcnt 0x1
	v_add_nc_u64_e32 v[12:13], 0x200, v[12:13]
	s_wait_xcnt 0x0
	v_add_nc_u64_e32 v[14:15], 0x80, v[14:15]
	s_delay_alu instid0(VALU_DEP_3)
	v_cmp_ge_i64_e32 vcc_lo, v[10:11], v[8:9]
	s_or_b32 s23, vcc_lo, s23
	s_wait_loadcnt 0x1
	v_sub_nc_u64_e64 v[16:17], v[16:17], s[2:3]
	s_wait_loadcnt 0x0
	v_cvt_f32_f16_e32 v18, v18
	s_delay_alu instid0(VALU_DEP_1) | instskip(NEXT) | instid1(VALU_DEP_3)
	v_mul_f32_e32 v18, v1, v18
	v_lshl_add_u64 v[16:17], v[16:17], 2, s[18:19]
	global_atomic_add_f32 v[16:17], v18, off scope:SCOPE_DEV
	s_wait_xcnt 0x0
	s_and_not1_b32 exec_lo, exec_lo, s23
	s_cbranch_execnz .LBB230_9
	s_branch .LBB230_6
.LBB230_10:
	s_or_b32 exec_lo, exec_lo, s1
	s_mov_b32 s1, 0
.LBB230_11:
	s_delay_alu instid0(SALU_CYCLE_1)
	s_and_not1_b32 vcc_lo, exec_lo, s1
	s_cbranch_vccnz .LBB230_20
; %bb.12:
	s_and_saveexec_b32 s1, s0
	s_cbranch_execz .LBB230_20
; %bb.13:
	v_mov_b32_e32 v1, 0
	s_mov_b32 s3, 0
	s_delay_alu instid0(SALU_CYCLE_1) | instskip(NEXT) | instid1(VALU_DEP_1)
	s_mov_b32 s0, s3
	v_sub_nc_u64_e64 v[0:1], v[0:1], s[2:3]
	s_branch .LBB230_15
.LBB230_14:                             ;   in Loop: Header=BB230_15 Depth=1
	s_or_b32 exec_lo, exec_lo, s1
	v_add_nc_u64_e32 v[2:3], s[20:21], v[2:3]
	s_delay_alu instid0(VALU_DEP_1) | instskip(SKIP_1) | instid1(SALU_CYCLE_1)
	v_cmp_le_i64_e32 vcc_lo, s[4:5], v[2:3]
	s_or_b32 s0, vcc_lo, s0
	s_and_not1_b32 exec_lo, exec_lo, s0
	s_cbranch_execz .LBB230_20
.LBB230_15:                             ; =>This Loop Header: Depth=1
                                        ;     Child Loop BB230_18 Depth 2
	v_lshlrev_b64_e32 v[4:5], 3, v[2:3]
	s_mov_b32 s1, exec_lo
	s_delay_alu instid0(VALU_DEP_1)
	v_add_nc_u64_e32 v[6:7], s[10:11], v[4:5]
	v_add_nc_u64_e32 v[4:5], s[8:9], v[4:5]
	global_load_b64 v[8:9], v[6:7], off
	global_load_b64 v[10:11], v[4:5], off
	s_wait_loadcnt 0x1
	s_wait_xcnt 0x0
	v_sub_nc_u64_e64 v[4:5], v[8:9], s[2:3]
	s_wait_loadcnt 0x0
	v_add_nc_u64_e32 v[6:7], v[10:11], v[0:1]
	s_delay_alu instid0(VALU_DEP_1)
	v_cmpx_lt_i64_e64 v[6:7], v[4:5]
	s_cbranch_execz .LBB230_14
; %bb.16:                               ;   in Loop: Header=BB230_15 Depth=1
	s_wait_kmcnt 0x0
	v_lshl_add_u64 v[8:9], v[2:3], 1, s[16:17]
	s_mov_b32 s7, 0
	global_load_u16 v8, v[8:9], off
	s_wait_loadcnt 0x0
	v_cvt_f32_f16_e32 v10, v8
	s_wait_xcnt 0x0
	v_lshl_add_u64 v[8:9], v[6:7], 3, s[12:13]
	s_delay_alu instid0(VALU_DEP_2)
	v_mul_f32_e32 v14, s6, v10
	v_lshl_add_u64 v[10:11], v[6:7], 1, s[14:15]
	s_branch .LBB230_18
.LBB230_17:                             ;   in Loop: Header=BB230_18 Depth=2
	s_wait_xcnt 0x0
	s_or_b32 exec_lo, exec_lo, s22
	v_add_nc_u64_e32 v[6:7], 64, v[6:7]
	v_add_nc_u64_e32 v[8:9], 0x200, v[8:9]
	;; [unrolled: 1-line block ×3, first 2 shown]
	s_delay_alu instid0(VALU_DEP_3) | instskip(SKIP_1) | instid1(SALU_CYCLE_1)
	v_cmp_ge_i64_e32 vcc_lo, v[6:7], v[4:5]
	s_or_b32 s7, vcc_lo, s7
	s_and_not1_b32 exec_lo, exec_lo, s7
	s_cbranch_execz .LBB230_14
.LBB230_18:                             ;   Parent Loop BB230_15 Depth=1
                                        ; =>  This Inner Loop Header: Depth=2
	global_load_b64 v[12:13], v[8:9], off
	s_mov_b32 s22, exec_lo
	s_wait_loadcnt 0x0
	v_sub_nc_u64_e64 v[12:13], v[12:13], s[2:3]
	s_wait_xcnt 0x0
	s_delay_alu instid0(VALU_DEP_1)
	v_cmpx_ne_u64_e64 v[12:13], v[2:3]
	s_cbranch_execz .LBB230_17
; %bb.19:                               ;   in Loop: Header=BB230_18 Depth=2
	global_load_u16 v15, v[10:11], off
	v_lshl_add_u64 v[12:13], v[12:13], 2, s[18:19]
	s_wait_loadcnt 0x0
	v_cvt_f32_f16_e32 v15, v15
	s_delay_alu instid0(VALU_DEP_1)
	v_mul_f32_e32 v15, v14, v15
	s_wait_xcnt 0x0
	global_atomic_add_f32 v[12:13], v15, off scope:SCOPE_DEV
	s_branch .LBB230_17
.LBB230_20:
	s_endpgm
	.section	.rodata,"a",@progbits
	.p2align	6, 0x0
	.amdhsa_kernel _ZN9rocsparseL21csrmvt_general_kernelILj256ELj64EllDF16_DF16_ffEEvbbT2_NS_24const_host_device_scalarIT6_EEPKT1_S7_PKS1_PKT3_PKT4_PT5_21rocsparse_index_base_b
		.amdhsa_group_segment_fixed_size 0
		.amdhsa_private_segment_fixed_size 0
		.amdhsa_kernarg_size 336
		.amdhsa_user_sgpr_count 2
		.amdhsa_user_sgpr_dispatch_ptr 0
		.amdhsa_user_sgpr_queue_ptr 0
		.amdhsa_user_sgpr_kernarg_segment_ptr 1
		.amdhsa_user_sgpr_dispatch_id 0
		.amdhsa_user_sgpr_kernarg_preload_length 0
		.amdhsa_user_sgpr_kernarg_preload_offset 0
		.amdhsa_user_sgpr_private_segment_size 0
		.amdhsa_wavefront_size32 1
		.amdhsa_uses_dynamic_stack 0
		.amdhsa_enable_private_segment 0
		.amdhsa_system_sgpr_workgroup_id_x 1
		.amdhsa_system_sgpr_workgroup_id_y 0
		.amdhsa_system_sgpr_workgroup_id_z 0
		.amdhsa_system_sgpr_workgroup_info 0
		.amdhsa_system_vgpr_workitem_id 0
		.amdhsa_next_free_vgpr 19
		.amdhsa_next_free_sgpr 24
		.amdhsa_named_barrier_count 0
		.amdhsa_reserve_vcc 1
		.amdhsa_float_round_mode_32 0
		.amdhsa_float_round_mode_16_64 0
		.amdhsa_float_denorm_mode_32 3
		.amdhsa_float_denorm_mode_16_64 3
		.amdhsa_fp16_overflow 0
		.amdhsa_memory_ordered 1
		.amdhsa_forward_progress 1
		.amdhsa_inst_pref_size 8
		.amdhsa_round_robin_scheduling 0
		.amdhsa_exception_fp_ieee_invalid_op 0
		.amdhsa_exception_fp_denorm_src 0
		.amdhsa_exception_fp_ieee_div_zero 0
		.amdhsa_exception_fp_ieee_overflow 0
		.amdhsa_exception_fp_ieee_underflow 0
		.amdhsa_exception_fp_ieee_inexact 0
		.amdhsa_exception_int_div_zero 0
	.end_amdhsa_kernel
	.section	.text._ZN9rocsparseL21csrmvt_general_kernelILj256ELj64EllDF16_DF16_ffEEvbbT2_NS_24const_host_device_scalarIT6_EEPKT1_S7_PKS1_PKT3_PKT4_PT5_21rocsparse_index_base_b,"axG",@progbits,_ZN9rocsparseL21csrmvt_general_kernelILj256ELj64EllDF16_DF16_ffEEvbbT2_NS_24const_host_device_scalarIT6_EEPKT1_S7_PKS1_PKT3_PKT4_PT5_21rocsparse_index_base_b,comdat
.Lfunc_end230:
	.size	_ZN9rocsparseL21csrmvt_general_kernelILj256ELj64EllDF16_DF16_ffEEvbbT2_NS_24const_host_device_scalarIT6_EEPKT1_S7_PKS1_PKT3_PKT4_PT5_21rocsparse_index_base_b, .Lfunc_end230-_ZN9rocsparseL21csrmvt_general_kernelILj256ELj64EllDF16_DF16_ffEEvbbT2_NS_24const_host_device_scalarIT6_EEPKT1_S7_PKS1_PKT3_PKT4_PT5_21rocsparse_index_base_b
                                        ; -- End function
	.set _ZN9rocsparseL21csrmvt_general_kernelILj256ELj64EllDF16_DF16_ffEEvbbT2_NS_24const_host_device_scalarIT6_EEPKT1_S7_PKS1_PKT3_PKT4_PT5_21rocsparse_index_base_b.num_vgpr, 19
	.set _ZN9rocsparseL21csrmvt_general_kernelILj256ELj64EllDF16_DF16_ffEEvbbT2_NS_24const_host_device_scalarIT6_EEPKT1_S7_PKS1_PKT3_PKT4_PT5_21rocsparse_index_base_b.num_agpr, 0
	.set _ZN9rocsparseL21csrmvt_general_kernelILj256ELj64EllDF16_DF16_ffEEvbbT2_NS_24const_host_device_scalarIT6_EEPKT1_S7_PKS1_PKT3_PKT4_PT5_21rocsparse_index_base_b.numbered_sgpr, 24
	.set _ZN9rocsparseL21csrmvt_general_kernelILj256ELj64EllDF16_DF16_ffEEvbbT2_NS_24const_host_device_scalarIT6_EEPKT1_S7_PKS1_PKT3_PKT4_PT5_21rocsparse_index_base_b.num_named_barrier, 0
	.set _ZN9rocsparseL21csrmvt_general_kernelILj256ELj64EllDF16_DF16_ffEEvbbT2_NS_24const_host_device_scalarIT6_EEPKT1_S7_PKS1_PKT3_PKT4_PT5_21rocsparse_index_base_b.private_seg_size, 0
	.set _ZN9rocsparseL21csrmvt_general_kernelILj256ELj64EllDF16_DF16_ffEEvbbT2_NS_24const_host_device_scalarIT6_EEPKT1_S7_PKS1_PKT3_PKT4_PT5_21rocsparse_index_base_b.uses_vcc, 1
	.set _ZN9rocsparseL21csrmvt_general_kernelILj256ELj64EllDF16_DF16_ffEEvbbT2_NS_24const_host_device_scalarIT6_EEPKT1_S7_PKS1_PKT3_PKT4_PT5_21rocsparse_index_base_b.uses_flat_scratch, 0
	.set _ZN9rocsparseL21csrmvt_general_kernelILj256ELj64EllDF16_DF16_ffEEvbbT2_NS_24const_host_device_scalarIT6_EEPKT1_S7_PKS1_PKT3_PKT4_PT5_21rocsparse_index_base_b.has_dyn_sized_stack, 0
	.set _ZN9rocsparseL21csrmvt_general_kernelILj256ELj64EllDF16_DF16_ffEEvbbT2_NS_24const_host_device_scalarIT6_EEPKT1_S7_PKS1_PKT3_PKT4_PT5_21rocsparse_index_base_b.has_recursion, 0
	.set _ZN9rocsparseL21csrmvt_general_kernelILj256ELj64EllDF16_DF16_ffEEvbbT2_NS_24const_host_device_scalarIT6_EEPKT1_S7_PKS1_PKT3_PKT4_PT5_21rocsparse_index_base_b.has_indirect_call, 0
	.section	.AMDGPU.csdata,"",@progbits
; Kernel info:
; codeLenInByte = 928
; TotalNumSgprs: 26
; NumVgprs: 19
; ScratchSize: 0
; MemoryBound: 0
; FloatMode: 240
; IeeeMode: 1
; LDSByteSize: 0 bytes/workgroup (compile time only)
; SGPRBlocks: 0
; VGPRBlocks: 1
; NumSGPRsForWavesPerEU: 26
; NumVGPRsForWavesPerEU: 19
; NamedBarCnt: 0
; Occupancy: 16
; WaveLimiterHint : 1
; COMPUTE_PGM_RSRC2:SCRATCH_EN: 0
; COMPUTE_PGM_RSRC2:USER_SGPR: 2
; COMPUTE_PGM_RSRC2:TRAP_HANDLER: 0
; COMPUTE_PGM_RSRC2:TGID_X_EN: 1
; COMPUTE_PGM_RSRC2:TGID_Y_EN: 0
; COMPUTE_PGM_RSRC2:TGID_Z_EN: 0
; COMPUTE_PGM_RSRC2:TIDIG_COMP_CNT: 0
	.section	.text._ZN9rocsparseL21csrmvn_general_kernelILj256ELj2Eii18rocsparse_bfloat16S1_ffEEvbT2_NS_24const_host_device_scalarIT6_EEPKT1_S8_PKS2_PKT3_PKT4_S5_PT5_21rocsparse_index_base_b,"axG",@progbits,_ZN9rocsparseL21csrmvn_general_kernelILj256ELj2Eii18rocsparse_bfloat16S1_ffEEvbT2_NS_24const_host_device_scalarIT6_EEPKT1_S8_PKS2_PKT3_PKT4_S5_PT5_21rocsparse_index_base_b,comdat
	.globl	_ZN9rocsparseL21csrmvn_general_kernelILj256ELj2Eii18rocsparse_bfloat16S1_ffEEvbT2_NS_24const_host_device_scalarIT6_EEPKT1_S8_PKS2_PKT3_PKT4_S5_PT5_21rocsparse_index_base_b ; -- Begin function _ZN9rocsparseL21csrmvn_general_kernelILj256ELj2Eii18rocsparse_bfloat16S1_ffEEvbT2_NS_24const_host_device_scalarIT6_EEPKT1_S8_PKS2_PKT3_PKT4_S5_PT5_21rocsparse_index_base_b
	.p2align	8
	.type	_ZN9rocsparseL21csrmvn_general_kernelILj256ELj2Eii18rocsparse_bfloat16S1_ffEEvbT2_NS_24const_host_device_scalarIT6_EEPKT1_S8_PKS2_PKT3_PKT4_S5_PT5_21rocsparse_index_base_b,@function
_ZN9rocsparseL21csrmvn_general_kernelILj256ELj2Eii18rocsparse_bfloat16S1_ffEEvbT2_NS_24const_host_device_scalarIT6_EEPKT1_S8_PKS2_PKT3_PKT4_S5_PT5_21rocsparse_index_base_b: ; @_ZN9rocsparseL21csrmvn_general_kernelILj256ELj2Eii18rocsparse_bfloat16S1_ffEEvbT2_NS_24const_host_device_scalarIT6_EEPKT1_S8_PKS2_PKT3_PKT4_S5_PT5_21rocsparse_index_base_b
; %bb.0:
	s_clause 0x2
	s_load_b64 s[2:3], s[0:1], 0x48
	s_load_b128 s[12:15], s[0:1], 0x8
	s_load_b64 s[16:17], s[0:1], 0x38
	s_wait_kmcnt 0x0
	s_bitcmp1_b32 s3, 0
	s_cselect_b32 s3, -1, 0
	s_delay_alu instid0(SALU_CYCLE_1)
	s_and_b32 vcc_lo, exec_lo, s3
	s_xor_b32 s3, s3, -1
	s_cbranch_vccnz .LBB231_2
; %bb.1:
	s_load_b32 s12, s[12:13], 0x0
.LBB231_2:
	s_and_not1_b32 vcc_lo, exec_lo, s3
	s_cbranch_vccnz .LBB231_4
; %bb.3:
	s_load_b32 s16, s[16:17], 0x0
.LBB231_4:
	s_wait_kmcnt 0x0
	s_cmp_neq_f32 s12, 0
	s_cselect_b32 s3, -1, 0
	s_cmp_neq_f32 s16, 1.0
	s_cselect_b32 s4, -1, 0
	s_delay_alu instid0(SALU_CYCLE_1) | instskip(NEXT) | instid1(SALU_CYCLE_1)
	s_or_b32 s3, s3, s4
	s_and_not1_b32 vcc_lo, exec_lo, s3
	s_cbranch_vccnz .LBB231_16
; %bb.5:
	s_bfe_u32 s3, ttmp6, 0x4000c
	s_load_b32 s13, s[0:1], 0x4
	s_add_co_i32 s3, s3, 1
	s_and_b32 s4, ttmp6, 15
	s_mul_i32 s3, ttmp9, s3
	s_getreg_b32 s5, hwreg(HW_REG_IB_STS2, 6, 4)
	s_add_co_i32 s4, s4, s3
	s_cmp_eq_u32 s5, 0
	s_cselect_b32 s3, ttmp9, s4
	s_delay_alu instid0(SALU_CYCLE_1) | instskip(SKIP_1) | instid1(VALU_DEP_1)
	v_lshl_or_b32 v1, s3, 8, v0
	s_mov_b32 s3, exec_lo
	v_lshrrev_b32_e32 v2, 1, v1
	s_wait_kmcnt 0x0
	s_delay_alu instid0(VALU_DEP_1)
	v_cmpx_gt_i32_e64 s13, v2
	s_cbranch_execz .LBB231_16
; %bb.6:
	s_clause 0x1
	s_load_b32 s17, s[0:1], 0x50
	s_load_b256 s[4:11], s[0:1], 0x18
	v_mbcnt_lo_u32_b32 v1, -1, 0
	s_load_b64 s[18:19], s[0:1], 0x40
	s_ashr_i32 s3, s2, 31
	s_delay_alu instid0(SALU_CYCLE_1) | instskip(NEXT) | instid1(VALU_DEP_1)
	s_lshl_b64 s[20:21], s[2:3], 1
	v_xor_b32_e32 v3, 1, v1
	s_delay_alu instid0(VALU_DEP_1) | instskip(SKIP_1) | instid1(VALU_DEP_1)
	v_cmp_gt_i32_e32 vcc_lo, 32, v3
	v_dual_cndmask_b32 v1, v1, v3, vcc_lo :: v_dual_bitop2_b32 v0, 1, v0 bitop3:0x40
	v_subrev_nc_u32_e32 v4, s2, v0
	s_wait_xcnt 0x0
	v_cmp_eq_u32_e64 s0, 1, v0
	s_wait_kmcnt 0x0
	s_lshl_b32 s1, s17, 7
	s_cmp_neq_f32 s16, 0
	v_lshlrev_b32_e32 v5, 2, v1
	s_sub_nc_u64 s[10:11], s[10:11], s[20:21]
	s_mov_b32 s17, 0
	s_cselect_b32 s3, -1, 0
	s_branch .LBB231_9
.LBB231_7:                              ;   in Loop: Header=BB231_9 Depth=1
	global_store_b32 v[0:1], v6, off
.LBB231_8:                              ;   in Loop: Header=BB231_9 Depth=1
	s_wait_xcnt 0x0
	s_or_b32 exec_lo, exec_lo, s20
	v_add_nc_u32_e32 v2, s1, v2
	s_delay_alu instid0(VALU_DEP_1) | instskip(SKIP_1) | instid1(SALU_CYCLE_1)
	v_cmp_le_i32_e32 vcc_lo, s13, v2
	s_or_b32 s17, vcc_lo, s17
	s_and_not1_b32 exec_lo, exec_lo, s17
	s_cbranch_execz .LBB231_16
.LBB231_9:                              ; =>This Loop Header: Depth=1
                                        ;     Child Loop BB231_11 Depth 2
	s_clause 0x1
	global_load_b32 v0, v2, s[4:5] scale_offset
	global_load_b32 v3, v2, s[14:15] scale_offset
	s_mov_b32 s20, exec_lo
	s_wait_loadcnt_dscnt 0x100
	v_subrev_nc_u32_e32 v1, s2, v0
	s_wait_loadcnt 0x0
	v_dual_mov_b32 v0, 0 :: v_dual_add_nc_u32 v3, v3, v4
	s_wait_xcnt 0x0
	s_delay_alu instid0(VALU_DEP_1)
	v_cmpx_lt_i32_e64 v3, v1
	s_cbranch_execz .LBB231_13
; %bb.10:                               ;   in Loop: Header=BB231_9 Depth=1
	v_mov_b32_e32 v0, 0
	s_mov_b32 s21, 0
.LBB231_11:                             ;   Parent Loop BB231_9 Depth=1
                                        ; =>  This Inner Loop Header: Depth=2
	s_clause 0x1
	global_load_b32 v6, v3, s[6:7] scale_offset
	global_load_u16 v7, v3, s[8:9] scale_offset
	s_wait_xcnt 0x0
	v_add_nc_u32_e32 v3, 2, v3
	s_delay_alu instid0(VALU_DEP_1)
	v_cmp_ge_i32_e32 vcc_lo, v3, v1
	s_or_b32 s21, vcc_lo, s21
	s_wait_loadcnt 0x1
	global_load_u16 v6, v6, s[10:11] scale_offset
	s_wait_loadcnt 0x1
	v_lshlrev_b32_e32 v7, 16, v7
	s_delay_alu instid0(VALU_DEP_1) | instskip(SKIP_1) | instid1(VALU_DEP_1)
	v_mul_f32_e32 v7, s12, v7
	s_wait_loadcnt 0x0
	v_fma_mix_f32_bf16 v0, v7, v6, v0 op_sel_hi:[0,1,0]
	s_wait_xcnt 0x0
	s_and_not1_b32 exec_lo, exec_lo, s21
	s_cbranch_execnz .LBB231_11
; %bb.12:                               ;   in Loop: Header=BB231_9 Depth=1
	s_or_b32 exec_lo, exec_lo, s21
.LBB231_13:                             ;   in Loop: Header=BB231_9 Depth=1
	s_delay_alu instid0(SALU_CYCLE_1)
	s_or_b32 exec_lo, exec_lo, s20
	ds_bpermute_b32 v1, v5, v0
	v_ashrrev_i32_e32 v3, 31, v2
	s_and_saveexec_b32 s20, s0
	s_cbranch_execz .LBB231_8
; %bb.14:                               ;   in Loop: Header=BB231_9 Depth=1
	s_wait_dscnt 0x0
	v_add_f32_e32 v6, v0, v1
	v_lshl_add_u64 v[0:1], v[2:3], 2, s[18:19]
	s_and_not1_b32 vcc_lo, exec_lo, s3
	s_cbranch_vccnz .LBB231_7
; %bb.15:                               ;   in Loop: Header=BB231_9 Depth=1
	global_load_b32 v3, v[0:1], off
	s_wait_loadcnt 0x0
	v_fmac_f32_e32 v6, s16, v3
	s_branch .LBB231_7
.LBB231_16:
	s_endpgm
	.section	.rodata,"a",@progbits
	.p2align	6, 0x0
	.amdhsa_kernel _ZN9rocsparseL21csrmvn_general_kernelILj256ELj2Eii18rocsparse_bfloat16S1_ffEEvbT2_NS_24const_host_device_scalarIT6_EEPKT1_S8_PKS2_PKT3_PKT4_S5_PT5_21rocsparse_index_base_b
		.amdhsa_group_segment_fixed_size 0
		.amdhsa_private_segment_fixed_size 0
		.amdhsa_kernarg_size 336
		.amdhsa_user_sgpr_count 2
		.amdhsa_user_sgpr_dispatch_ptr 0
		.amdhsa_user_sgpr_queue_ptr 0
		.amdhsa_user_sgpr_kernarg_segment_ptr 1
		.amdhsa_user_sgpr_dispatch_id 0
		.amdhsa_user_sgpr_kernarg_preload_length 0
		.amdhsa_user_sgpr_kernarg_preload_offset 0
		.amdhsa_user_sgpr_private_segment_size 0
		.amdhsa_wavefront_size32 1
		.amdhsa_uses_dynamic_stack 0
		.amdhsa_enable_private_segment 0
		.amdhsa_system_sgpr_workgroup_id_x 1
		.amdhsa_system_sgpr_workgroup_id_y 0
		.amdhsa_system_sgpr_workgroup_id_z 0
		.amdhsa_system_sgpr_workgroup_info 0
		.amdhsa_system_vgpr_workitem_id 0
		.amdhsa_next_free_vgpr 8
		.amdhsa_next_free_sgpr 22
		.amdhsa_named_barrier_count 0
		.amdhsa_reserve_vcc 1
		.amdhsa_float_round_mode_32 0
		.amdhsa_float_round_mode_16_64 0
		.amdhsa_float_denorm_mode_32 3
		.amdhsa_float_denorm_mode_16_64 3
		.amdhsa_fp16_overflow 0
		.amdhsa_memory_ordered 1
		.amdhsa_forward_progress 1
		.amdhsa_inst_pref_size 5
		.amdhsa_round_robin_scheduling 0
		.amdhsa_exception_fp_ieee_invalid_op 0
		.amdhsa_exception_fp_denorm_src 0
		.amdhsa_exception_fp_ieee_div_zero 0
		.amdhsa_exception_fp_ieee_overflow 0
		.amdhsa_exception_fp_ieee_underflow 0
		.amdhsa_exception_fp_ieee_inexact 0
		.amdhsa_exception_int_div_zero 0
	.end_amdhsa_kernel
	.section	.text._ZN9rocsparseL21csrmvn_general_kernelILj256ELj2Eii18rocsparse_bfloat16S1_ffEEvbT2_NS_24const_host_device_scalarIT6_EEPKT1_S8_PKS2_PKT3_PKT4_S5_PT5_21rocsparse_index_base_b,"axG",@progbits,_ZN9rocsparseL21csrmvn_general_kernelILj256ELj2Eii18rocsparse_bfloat16S1_ffEEvbT2_NS_24const_host_device_scalarIT6_EEPKT1_S8_PKS2_PKT3_PKT4_S5_PT5_21rocsparse_index_base_b,comdat
.Lfunc_end231:
	.size	_ZN9rocsparseL21csrmvn_general_kernelILj256ELj2Eii18rocsparse_bfloat16S1_ffEEvbT2_NS_24const_host_device_scalarIT6_EEPKT1_S8_PKS2_PKT3_PKT4_S5_PT5_21rocsparse_index_base_b, .Lfunc_end231-_ZN9rocsparseL21csrmvn_general_kernelILj256ELj2Eii18rocsparse_bfloat16S1_ffEEvbT2_NS_24const_host_device_scalarIT6_EEPKT1_S8_PKS2_PKT3_PKT4_S5_PT5_21rocsparse_index_base_b
                                        ; -- End function
	.set _ZN9rocsparseL21csrmvn_general_kernelILj256ELj2Eii18rocsparse_bfloat16S1_ffEEvbT2_NS_24const_host_device_scalarIT6_EEPKT1_S8_PKS2_PKT3_PKT4_S5_PT5_21rocsparse_index_base_b.num_vgpr, 8
	.set _ZN9rocsparseL21csrmvn_general_kernelILj256ELj2Eii18rocsparse_bfloat16S1_ffEEvbT2_NS_24const_host_device_scalarIT6_EEPKT1_S8_PKS2_PKT3_PKT4_S5_PT5_21rocsparse_index_base_b.num_agpr, 0
	.set _ZN9rocsparseL21csrmvn_general_kernelILj256ELj2Eii18rocsparse_bfloat16S1_ffEEvbT2_NS_24const_host_device_scalarIT6_EEPKT1_S8_PKS2_PKT3_PKT4_S5_PT5_21rocsparse_index_base_b.numbered_sgpr, 22
	.set _ZN9rocsparseL21csrmvn_general_kernelILj256ELj2Eii18rocsparse_bfloat16S1_ffEEvbT2_NS_24const_host_device_scalarIT6_EEPKT1_S8_PKS2_PKT3_PKT4_S5_PT5_21rocsparse_index_base_b.num_named_barrier, 0
	.set _ZN9rocsparseL21csrmvn_general_kernelILj256ELj2Eii18rocsparse_bfloat16S1_ffEEvbT2_NS_24const_host_device_scalarIT6_EEPKT1_S8_PKS2_PKT3_PKT4_S5_PT5_21rocsparse_index_base_b.private_seg_size, 0
	.set _ZN9rocsparseL21csrmvn_general_kernelILj256ELj2Eii18rocsparse_bfloat16S1_ffEEvbT2_NS_24const_host_device_scalarIT6_EEPKT1_S8_PKS2_PKT3_PKT4_S5_PT5_21rocsparse_index_base_b.uses_vcc, 1
	.set _ZN9rocsparseL21csrmvn_general_kernelILj256ELj2Eii18rocsparse_bfloat16S1_ffEEvbT2_NS_24const_host_device_scalarIT6_EEPKT1_S8_PKS2_PKT3_PKT4_S5_PT5_21rocsparse_index_base_b.uses_flat_scratch, 0
	.set _ZN9rocsparseL21csrmvn_general_kernelILj256ELj2Eii18rocsparse_bfloat16S1_ffEEvbT2_NS_24const_host_device_scalarIT6_EEPKT1_S8_PKS2_PKT3_PKT4_S5_PT5_21rocsparse_index_base_b.has_dyn_sized_stack, 0
	.set _ZN9rocsparseL21csrmvn_general_kernelILj256ELj2Eii18rocsparse_bfloat16S1_ffEEvbT2_NS_24const_host_device_scalarIT6_EEPKT1_S8_PKS2_PKT3_PKT4_S5_PT5_21rocsparse_index_base_b.has_recursion, 0
	.set _ZN9rocsparseL21csrmvn_general_kernelILj256ELj2Eii18rocsparse_bfloat16S1_ffEEvbT2_NS_24const_host_device_scalarIT6_EEPKT1_S8_PKS2_PKT3_PKT4_S5_PT5_21rocsparse_index_base_b.has_indirect_call, 0
	.section	.AMDGPU.csdata,"",@progbits
; Kernel info:
; codeLenInByte = 632
; TotalNumSgprs: 24
; NumVgprs: 8
; ScratchSize: 0
; MemoryBound: 0
; FloatMode: 240
; IeeeMode: 1
; LDSByteSize: 0 bytes/workgroup (compile time only)
; SGPRBlocks: 0
; VGPRBlocks: 0
; NumSGPRsForWavesPerEU: 24
; NumVGPRsForWavesPerEU: 8
; NamedBarCnt: 0
; Occupancy: 16
; WaveLimiterHint : 1
; COMPUTE_PGM_RSRC2:SCRATCH_EN: 0
; COMPUTE_PGM_RSRC2:USER_SGPR: 2
; COMPUTE_PGM_RSRC2:TRAP_HANDLER: 0
; COMPUTE_PGM_RSRC2:TGID_X_EN: 1
; COMPUTE_PGM_RSRC2:TGID_Y_EN: 0
; COMPUTE_PGM_RSRC2:TGID_Z_EN: 0
; COMPUTE_PGM_RSRC2:TIDIG_COMP_CNT: 0
	.section	.text._ZN9rocsparseL21csrmvn_general_kernelILj256ELj4Eii18rocsparse_bfloat16S1_ffEEvbT2_NS_24const_host_device_scalarIT6_EEPKT1_S8_PKS2_PKT3_PKT4_S5_PT5_21rocsparse_index_base_b,"axG",@progbits,_ZN9rocsparseL21csrmvn_general_kernelILj256ELj4Eii18rocsparse_bfloat16S1_ffEEvbT2_NS_24const_host_device_scalarIT6_EEPKT1_S8_PKS2_PKT3_PKT4_S5_PT5_21rocsparse_index_base_b,comdat
	.globl	_ZN9rocsparseL21csrmvn_general_kernelILj256ELj4Eii18rocsparse_bfloat16S1_ffEEvbT2_NS_24const_host_device_scalarIT6_EEPKT1_S8_PKS2_PKT3_PKT4_S5_PT5_21rocsparse_index_base_b ; -- Begin function _ZN9rocsparseL21csrmvn_general_kernelILj256ELj4Eii18rocsparse_bfloat16S1_ffEEvbT2_NS_24const_host_device_scalarIT6_EEPKT1_S8_PKS2_PKT3_PKT4_S5_PT5_21rocsparse_index_base_b
	.p2align	8
	.type	_ZN9rocsparseL21csrmvn_general_kernelILj256ELj4Eii18rocsparse_bfloat16S1_ffEEvbT2_NS_24const_host_device_scalarIT6_EEPKT1_S8_PKS2_PKT3_PKT4_S5_PT5_21rocsparse_index_base_b,@function
_ZN9rocsparseL21csrmvn_general_kernelILj256ELj4Eii18rocsparse_bfloat16S1_ffEEvbT2_NS_24const_host_device_scalarIT6_EEPKT1_S8_PKS2_PKT3_PKT4_S5_PT5_21rocsparse_index_base_b: ; @_ZN9rocsparseL21csrmvn_general_kernelILj256ELj4Eii18rocsparse_bfloat16S1_ffEEvbT2_NS_24const_host_device_scalarIT6_EEPKT1_S8_PKS2_PKT3_PKT4_S5_PT5_21rocsparse_index_base_b
; %bb.0:
	s_clause 0x2
	s_load_b64 s[2:3], s[0:1], 0x48
	s_load_b128 s[12:15], s[0:1], 0x8
	s_load_b64 s[16:17], s[0:1], 0x38
	s_wait_kmcnt 0x0
	s_bitcmp1_b32 s3, 0
	s_cselect_b32 s3, -1, 0
	s_delay_alu instid0(SALU_CYCLE_1)
	s_and_b32 vcc_lo, exec_lo, s3
	s_xor_b32 s3, s3, -1
	s_cbranch_vccnz .LBB232_2
; %bb.1:
	s_load_b32 s12, s[12:13], 0x0
.LBB232_2:
	s_and_not1_b32 vcc_lo, exec_lo, s3
	s_cbranch_vccnz .LBB232_4
; %bb.3:
	s_load_b32 s16, s[16:17], 0x0
.LBB232_4:
	s_wait_kmcnt 0x0
	s_cmp_neq_f32 s12, 0
	s_cselect_b32 s3, -1, 0
	s_cmp_neq_f32 s16, 1.0
	s_cselect_b32 s4, -1, 0
	s_delay_alu instid0(SALU_CYCLE_1) | instskip(NEXT) | instid1(SALU_CYCLE_1)
	s_or_b32 s3, s3, s4
	s_and_not1_b32 vcc_lo, exec_lo, s3
	s_cbranch_vccnz .LBB232_16
; %bb.5:
	s_bfe_u32 s3, ttmp6, 0x4000c
	s_load_b32 s13, s[0:1], 0x4
	s_add_co_i32 s3, s3, 1
	s_and_b32 s4, ttmp6, 15
	s_mul_i32 s3, ttmp9, s3
	s_getreg_b32 s5, hwreg(HW_REG_IB_STS2, 6, 4)
	s_add_co_i32 s4, s4, s3
	s_cmp_eq_u32 s5, 0
	s_cselect_b32 s3, ttmp9, s4
	s_delay_alu instid0(SALU_CYCLE_1) | instskip(SKIP_1) | instid1(VALU_DEP_1)
	v_lshl_or_b32 v1, s3, 8, v0
	s_mov_b32 s3, exec_lo
	v_lshrrev_b32_e32 v2, 2, v1
	s_wait_kmcnt 0x0
	s_delay_alu instid0(VALU_DEP_1)
	v_cmpx_gt_i32_e64 s13, v2
	s_cbranch_execz .LBB232_16
; %bb.6:
	v_mbcnt_lo_u32_b32 v1, -1, 0
	s_clause 0x2
	s_load_b32 s17, s[0:1], 0x50
	s_load_b256 s[4:11], s[0:1], 0x18
	s_load_b64 s[18:19], s[0:1], 0x40
	s_ashr_i32 s3, s2, 31
	s_delay_alu instid0(SALU_CYCLE_1) | instskip(SKIP_2) | instid1(VALU_DEP_2)
	s_lshl_b64 s[20:21], s[2:3], 1
	v_xor_b32_e32 v3, 2, v1
	v_xor_b32_e32 v5, 1, v1
	v_cmp_gt_i32_e32 vcc_lo, 32, v3
	v_dual_cndmask_b32 v3, v1, v3, vcc_lo :: v_dual_bitop2_b32 v0, 3, v0 bitop3:0x40
	s_delay_alu instid0(VALU_DEP_3) | instskip(NEXT) | instid1(VALU_DEP_2)
	v_cmp_gt_i32_e32 vcc_lo, 32, v5
	v_subrev_nc_u32_e32 v4, s2, v0
	s_wait_xcnt 0x0
	v_cmp_eq_u32_e64 s0, 3, v0
	s_wait_kmcnt 0x0
	s_lshl_b32 s1, s17, 6
	v_dual_cndmask_b32 v1, v1, v5, vcc_lo :: v_dual_lshlrev_b32 v5, 2, v3
	s_cmp_neq_f32 s16, 0
	s_sub_nc_u64 s[10:11], s[10:11], s[20:21]
	s_mov_b32 s17, 0
	s_delay_alu instid0(VALU_DEP_1)
	v_lshlrev_b32_e32 v6, 2, v1
	s_cselect_b32 s3, -1, 0
	s_branch .LBB232_9
.LBB232_7:                              ;   in Loop: Header=BB232_9 Depth=1
	global_store_b32 v[0:1], v7, off
.LBB232_8:                              ;   in Loop: Header=BB232_9 Depth=1
	s_wait_xcnt 0x0
	s_or_b32 exec_lo, exec_lo, s20
	v_add_nc_u32_e32 v2, s1, v2
	s_delay_alu instid0(VALU_DEP_1) | instskip(SKIP_1) | instid1(SALU_CYCLE_1)
	v_cmp_le_i32_e32 vcc_lo, s13, v2
	s_or_b32 s17, vcc_lo, s17
	s_and_not1_b32 exec_lo, exec_lo, s17
	s_cbranch_execz .LBB232_16
.LBB232_9:                              ; =>This Loop Header: Depth=1
                                        ;     Child Loop BB232_11 Depth 2
	s_clause 0x1
	global_load_b32 v0, v2, s[4:5] scale_offset
	global_load_b32 v3, v2, s[14:15] scale_offset
	s_mov_b32 s20, exec_lo
	s_wait_loadcnt_dscnt 0x100
	v_subrev_nc_u32_e32 v1, s2, v0
	s_wait_loadcnt 0x0
	v_dual_mov_b32 v0, 0 :: v_dual_add_nc_u32 v3, v3, v4
	s_wait_xcnt 0x0
	s_delay_alu instid0(VALU_DEP_1)
	v_cmpx_lt_i32_e64 v3, v1
	s_cbranch_execz .LBB232_13
; %bb.10:                               ;   in Loop: Header=BB232_9 Depth=1
	v_mov_b32_e32 v0, 0
	s_mov_b32 s21, 0
.LBB232_11:                             ;   Parent Loop BB232_9 Depth=1
                                        ; =>  This Inner Loop Header: Depth=2
	s_clause 0x1
	global_load_b32 v7, v3, s[6:7] scale_offset
	global_load_u16 v8, v3, s[8:9] scale_offset
	s_wait_xcnt 0x0
	v_add_nc_u32_e32 v3, 4, v3
	s_delay_alu instid0(VALU_DEP_1)
	v_cmp_ge_i32_e32 vcc_lo, v3, v1
	s_or_b32 s21, vcc_lo, s21
	s_wait_loadcnt 0x1
	global_load_u16 v7, v7, s[10:11] scale_offset
	s_wait_loadcnt 0x1
	v_lshlrev_b32_e32 v8, 16, v8
	s_delay_alu instid0(VALU_DEP_1) | instskip(SKIP_1) | instid1(VALU_DEP_1)
	v_mul_f32_e32 v8, s12, v8
	s_wait_loadcnt 0x0
	v_fma_mix_f32_bf16 v0, v8, v7, v0 op_sel_hi:[0,1,0]
	s_wait_xcnt 0x0
	s_and_not1_b32 exec_lo, exec_lo, s21
	s_cbranch_execnz .LBB232_11
; %bb.12:                               ;   in Loop: Header=BB232_9 Depth=1
	s_or_b32 exec_lo, exec_lo, s21
.LBB232_13:                             ;   in Loop: Header=BB232_9 Depth=1
	s_delay_alu instid0(SALU_CYCLE_1)
	s_or_b32 exec_lo, exec_lo, s20
	ds_bpermute_b32 v1, v5, v0
	s_wait_dscnt 0x0
	v_dual_add_f32 v0, v0, v1 :: v_dual_ashrrev_i32 v3, 31, v2
	ds_bpermute_b32 v1, v6, v0
	s_and_saveexec_b32 s20, s0
	s_cbranch_execz .LBB232_8
; %bb.14:                               ;   in Loop: Header=BB232_9 Depth=1
	s_wait_dscnt 0x0
	v_add_f32_e32 v7, v0, v1
	v_lshl_add_u64 v[0:1], v[2:3], 2, s[18:19]
	s_and_not1_b32 vcc_lo, exec_lo, s3
	s_cbranch_vccnz .LBB232_7
; %bb.15:                               ;   in Loop: Header=BB232_9 Depth=1
	global_load_b32 v3, v[0:1], off
	s_wait_loadcnt 0x0
	v_fmac_f32_e32 v7, s16, v3
	s_branch .LBB232_7
.LBB232_16:
	s_endpgm
	.section	.rodata,"a",@progbits
	.p2align	6, 0x0
	.amdhsa_kernel _ZN9rocsparseL21csrmvn_general_kernelILj256ELj4Eii18rocsparse_bfloat16S1_ffEEvbT2_NS_24const_host_device_scalarIT6_EEPKT1_S8_PKS2_PKT3_PKT4_S5_PT5_21rocsparse_index_base_b
		.amdhsa_group_segment_fixed_size 0
		.amdhsa_private_segment_fixed_size 0
		.amdhsa_kernarg_size 336
		.amdhsa_user_sgpr_count 2
		.amdhsa_user_sgpr_dispatch_ptr 0
		.amdhsa_user_sgpr_queue_ptr 0
		.amdhsa_user_sgpr_kernarg_segment_ptr 1
		.amdhsa_user_sgpr_dispatch_id 0
		.amdhsa_user_sgpr_kernarg_preload_length 0
		.amdhsa_user_sgpr_kernarg_preload_offset 0
		.amdhsa_user_sgpr_private_segment_size 0
		.amdhsa_wavefront_size32 1
		.amdhsa_uses_dynamic_stack 0
		.amdhsa_enable_private_segment 0
		.amdhsa_system_sgpr_workgroup_id_x 1
		.amdhsa_system_sgpr_workgroup_id_y 0
		.amdhsa_system_sgpr_workgroup_id_z 0
		.amdhsa_system_sgpr_workgroup_info 0
		.amdhsa_system_vgpr_workitem_id 0
		.amdhsa_next_free_vgpr 9
		.amdhsa_next_free_sgpr 22
		.amdhsa_named_barrier_count 0
		.amdhsa_reserve_vcc 1
		.amdhsa_float_round_mode_32 0
		.amdhsa_float_round_mode_16_64 0
		.amdhsa_float_denorm_mode_32 3
		.amdhsa_float_denorm_mode_16_64 3
		.amdhsa_fp16_overflow 0
		.amdhsa_memory_ordered 1
		.amdhsa_forward_progress 1
		.amdhsa_inst_pref_size 6
		.amdhsa_round_robin_scheduling 0
		.amdhsa_exception_fp_ieee_invalid_op 0
		.amdhsa_exception_fp_denorm_src 0
		.amdhsa_exception_fp_ieee_div_zero 0
		.amdhsa_exception_fp_ieee_overflow 0
		.amdhsa_exception_fp_ieee_underflow 0
		.amdhsa_exception_fp_ieee_inexact 0
		.amdhsa_exception_int_div_zero 0
	.end_amdhsa_kernel
	.section	.text._ZN9rocsparseL21csrmvn_general_kernelILj256ELj4Eii18rocsparse_bfloat16S1_ffEEvbT2_NS_24const_host_device_scalarIT6_EEPKT1_S8_PKS2_PKT3_PKT4_S5_PT5_21rocsparse_index_base_b,"axG",@progbits,_ZN9rocsparseL21csrmvn_general_kernelILj256ELj4Eii18rocsparse_bfloat16S1_ffEEvbT2_NS_24const_host_device_scalarIT6_EEPKT1_S8_PKS2_PKT3_PKT4_S5_PT5_21rocsparse_index_base_b,comdat
.Lfunc_end232:
	.size	_ZN9rocsparseL21csrmvn_general_kernelILj256ELj4Eii18rocsparse_bfloat16S1_ffEEvbT2_NS_24const_host_device_scalarIT6_EEPKT1_S8_PKS2_PKT3_PKT4_S5_PT5_21rocsparse_index_base_b, .Lfunc_end232-_ZN9rocsparseL21csrmvn_general_kernelILj256ELj4Eii18rocsparse_bfloat16S1_ffEEvbT2_NS_24const_host_device_scalarIT6_EEPKT1_S8_PKS2_PKT3_PKT4_S5_PT5_21rocsparse_index_base_b
                                        ; -- End function
	.set _ZN9rocsparseL21csrmvn_general_kernelILj256ELj4Eii18rocsparse_bfloat16S1_ffEEvbT2_NS_24const_host_device_scalarIT6_EEPKT1_S8_PKS2_PKT3_PKT4_S5_PT5_21rocsparse_index_base_b.num_vgpr, 9
	.set _ZN9rocsparseL21csrmvn_general_kernelILj256ELj4Eii18rocsparse_bfloat16S1_ffEEvbT2_NS_24const_host_device_scalarIT6_EEPKT1_S8_PKS2_PKT3_PKT4_S5_PT5_21rocsparse_index_base_b.num_agpr, 0
	.set _ZN9rocsparseL21csrmvn_general_kernelILj256ELj4Eii18rocsparse_bfloat16S1_ffEEvbT2_NS_24const_host_device_scalarIT6_EEPKT1_S8_PKS2_PKT3_PKT4_S5_PT5_21rocsparse_index_base_b.numbered_sgpr, 22
	.set _ZN9rocsparseL21csrmvn_general_kernelILj256ELj4Eii18rocsparse_bfloat16S1_ffEEvbT2_NS_24const_host_device_scalarIT6_EEPKT1_S8_PKS2_PKT3_PKT4_S5_PT5_21rocsparse_index_base_b.num_named_barrier, 0
	.set _ZN9rocsparseL21csrmvn_general_kernelILj256ELj4Eii18rocsparse_bfloat16S1_ffEEvbT2_NS_24const_host_device_scalarIT6_EEPKT1_S8_PKS2_PKT3_PKT4_S5_PT5_21rocsparse_index_base_b.private_seg_size, 0
	.set _ZN9rocsparseL21csrmvn_general_kernelILj256ELj4Eii18rocsparse_bfloat16S1_ffEEvbT2_NS_24const_host_device_scalarIT6_EEPKT1_S8_PKS2_PKT3_PKT4_S5_PT5_21rocsparse_index_base_b.uses_vcc, 1
	.set _ZN9rocsparseL21csrmvn_general_kernelILj256ELj4Eii18rocsparse_bfloat16S1_ffEEvbT2_NS_24const_host_device_scalarIT6_EEPKT1_S8_PKS2_PKT3_PKT4_S5_PT5_21rocsparse_index_base_b.uses_flat_scratch, 0
	.set _ZN9rocsparseL21csrmvn_general_kernelILj256ELj4Eii18rocsparse_bfloat16S1_ffEEvbT2_NS_24const_host_device_scalarIT6_EEPKT1_S8_PKS2_PKT3_PKT4_S5_PT5_21rocsparse_index_base_b.has_dyn_sized_stack, 0
	.set _ZN9rocsparseL21csrmvn_general_kernelILj256ELj4Eii18rocsparse_bfloat16S1_ffEEvbT2_NS_24const_host_device_scalarIT6_EEPKT1_S8_PKS2_PKT3_PKT4_S5_PT5_21rocsparse_index_base_b.has_recursion, 0
	.set _ZN9rocsparseL21csrmvn_general_kernelILj256ELj4Eii18rocsparse_bfloat16S1_ffEEvbT2_NS_24const_host_device_scalarIT6_EEPKT1_S8_PKS2_PKT3_PKT4_S5_PT5_21rocsparse_index_base_b.has_indirect_call, 0
	.section	.AMDGPU.csdata,"",@progbits
; Kernel info:
; codeLenInByte = 672
; TotalNumSgprs: 24
; NumVgprs: 9
; ScratchSize: 0
; MemoryBound: 0
; FloatMode: 240
; IeeeMode: 1
; LDSByteSize: 0 bytes/workgroup (compile time only)
; SGPRBlocks: 0
; VGPRBlocks: 0
; NumSGPRsForWavesPerEU: 24
; NumVGPRsForWavesPerEU: 9
; NamedBarCnt: 0
; Occupancy: 16
; WaveLimiterHint : 1
; COMPUTE_PGM_RSRC2:SCRATCH_EN: 0
; COMPUTE_PGM_RSRC2:USER_SGPR: 2
; COMPUTE_PGM_RSRC2:TRAP_HANDLER: 0
; COMPUTE_PGM_RSRC2:TGID_X_EN: 1
; COMPUTE_PGM_RSRC2:TGID_Y_EN: 0
; COMPUTE_PGM_RSRC2:TGID_Z_EN: 0
; COMPUTE_PGM_RSRC2:TIDIG_COMP_CNT: 0
	.section	.text._ZN9rocsparseL21csrmvn_general_kernelILj256ELj8Eii18rocsparse_bfloat16S1_ffEEvbT2_NS_24const_host_device_scalarIT6_EEPKT1_S8_PKS2_PKT3_PKT4_S5_PT5_21rocsparse_index_base_b,"axG",@progbits,_ZN9rocsparseL21csrmvn_general_kernelILj256ELj8Eii18rocsparse_bfloat16S1_ffEEvbT2_NS_24const_host_device_scalarIT6_EEPKT1_S8_PKS2_PKT3_PKT4_S5_PT5_21rocsparse_index_base_b,comdat
	.globl	_ZN9rocsparseL21csrmvn_general_kernelILj256ELj8Eii18rocsparse_bfloat16S1_ffEEvbT2_NS_24const_host_device_scalarIT6_EEPKT1_S8_PKS2_PKT3_PKT4_S5_PT5_21rocsparse_index_base_b ; -- Begin function _ZN9rocsparseL21csrmvn_general_kernelILj256ELj8Eii18rocsparse_bfloat16S1_ffEEvbT2_NS_24const_host_device_scalarIT6_EEPKT1_S8_PKS2_PKT3_PKT4_S5_PT5_21rocsparse_index_base_b
	.p2align	8
	.type	_ZN9rocsparseL21csrmvn_general_kernelILj256ELj8Eii18rocsparse_bfloat16S1_ffEEvbT2_NS_24const_host_device_scalarIT6_EEPKT1_S8_PKS2_PKT3_PKT4_S5_PT5_21rocsparse_index_base_b,@function
_ZN9rocsparseL21csrmvn_general_kernelILj256ELj8Eii18rocsparse_bfloat16S1_ffEEvbT2_NS_24const_host_device_scalarIT6_EEPKT1_S8_PKS2_PKT3_PKT4_S5_PT5_21rocsparse_index_base_b: ; @_ZN9rocsparseL21csrmvn_general_kernelILj256ELj8Eii18rocsparse_bfloat16S1_ffEEvbT2_NS_24const_host_device_scalarIT6_EEPKT1_S8_PKS2_PKT3_PKT4_S5_PT5_21rocsparse_index_base_b
; %bb.0:
	s_clause 0x2
	s_load_b64 s[2:3], s[0:1], 0x48
	s_load_b128 s[12:15], s[0:1], 0x8
	s_load_b64 s[16:17], s[0:1], 0x38
	s_wait_kmcnt 0x0
	s_bitcmp1_b32 s3, 0
	s_cselect_b32 s3, -1, 0
	s_delay_alu instid0(SALU_CYCLE_1)
	s_and_b32 vcc_lo, exec_lo, s3
	s_xor_b32 s3, s3, -1
	s_cbranch_vccnz .LBB233_2
; %bb.1:
	s_load_b32 s12, s[12:13], 0x0
.LBB233_2:
	s_and_not1_b32 vcc_lo, exec_lo, s3
	s_cbranch_vccnz .LBB233_4
; %bb.3:
	s_load_b32 s16, s[16:17], 0x0
.LBB233_4:
	s_wait_kmcnt 0x0
	s_cmp_neq_f32 s12, 0
	s_cselect_b32 s3, -1, 0
	s_cmp_neq_f32 s16, 1.0
	s_cselect_b32 s4, -1, 0
	s_delay_alu instid0(SALU_CYCLE_1) | instskip(NEXT) | instid1(SALU_CYCLE_1)
	s_or_b32 s3, s3, s4
	s_and_not1_b32 vcc_lo, exec_lo, s3
	s_cbranch_vccnz .LBB233_16
; %bb.5:
	s_bfe_u32 s3, ttmp6, 0x4000c
	s_load_b32 s13, s[0:1], 0x4
	s_add_co_i32 s3, s3, 1
	s_and_b32 s4, ttmp6, 15
	s_mul_i32 s3, ttmp9, s3
	s_getreg_b32 s5, hwreg(HW_REG_IB_STS2, 6, 4)
	s_add_co_i32 s4, s4, s3
	s_cmp_eq_u32 s5, 0
	s_cselect_b32 s3, ttmp9, s4
	s_delay_alu instid0(SALU_CYCLE_1) | instskip(SKIP_1) | instid1(VALU_DEP_1)
	v_lshl_or_b32 v1, s3, 8, v0
	s_mov_b32 s3, exec_lo
	v_lshrrev_b32_e32 v2, 3, v1
	s_wait_kmcnt 0x0
	s_delay_alu instid0(VALU_DEP_1)
	v_cmpx_gt_i32_e64 s13, v2
	s_cbranch_execz .LBB233_16
; %bb.6:
	v_mbcnt_lo_u32_b32 v1, -1, 0
	s_clause 0x2
	s_load_b32 s17, s[0:1], 0x50
	s_load_b64 s[18:19], s[0:1], 0x40
	s_load_b256 s[4:11], s[0:1], 0x18
	s_ashr_i32 s3, s2, 31
	s_delay_alu instid0(SALU_CYCLE_1) | instskip(SKIP_2) | instid1(VALU_DEP_1)
	s_lshl_b64 s[20:21], s[2:3], 1
	v_xor_b32_e32 v6, 1, v1
	v_xor_b32_e32 v3, 4, v1
	v_cmp_gt_i32_e32 vcc_lo, 32, v3
	v_xor_b32_e32 v5, 2, v1
	v_and_b32_e32 v0, 7, v0
	s_delay_alu instid0(VALU_DEP_1)
	v_subrev_nc_u32_e32 v4, s2, v0
	s_wait_xcnt 0x0
	v_cmp_eq_u32_e64 s0, 7, v0
	v_cndmask_b32_e32 v0, v1, v3, vcc_lo
	v_cmp_gt_i32_e32 vcc_lo, 32, v5
	s_wait_kmcnt 0x0
	s_lshl_b32 s1, s17, 5
	s_cmp_neq_f32 s16, 0
	s_sub_nc_u64 s[10:11], s[10:11], s[20:21]
	s_mov_b32 s17, 0
	v_dual_cndmask_b32 v3, v1, v5, vcc_lo :: v_dual_lshlrev_b32 v5, 2, v0
	v_cmp_gt_i32_e32 vcc_lo, 32, v6
	s_cselect_b32 s3, -1, 0
	s_delay_alu instid0(VALU_DEP_2) | instskip(NEXT) | instid1(VALU_DEP_1)
	v_dual_cndmask_b32 v1, v1, v6 :: v_dual_lshlrev_b32 v6, 2, v3
	v_lshlrev_b32_e32 v7, 2, v1
	s_branch .LBB233_9
.LBB233_7:                              ;   in Loop: Header=BB233_9 Depth=1
	global_store_b32 v[0:1], v8, off
.LBB233_8:                              ;   in Loop: Header=BB233_9 Depth=1
	s_wait_xcnt 0x0
	s_or_b32 exec_lo, exec_lo, s20
	v_add_nc_u32_e32 v2, s1, v2
	s_delay_alu instid0(VALU_DEP_1) | instskip(SKIP_1) | instid1(SALU_CYCLE_1)
	v_cmp_le_i32_e32 vcc_lo, s13, v2
	s_or_b32 s17, vcc_lo, s17
	s_and_not1_b32 exec_lo, exec_lo, s17
	s_cbranch_execz .LBB233_16
.LBB233_9:                              ; =>This Loop Header: Depth=1
                                        ;     Child Loop BB233_11 Depth 2
	s_clause 0x1
	global_load_b32 v0, v2, s[4:5] scale_offset
	global_load_b32 v3, v2, s[14:15] scale_offset
	s_mov_b32 s20, exec_lo
	s_wait_loadcnt_dscnt 0x100
	v_subrev_nc_u32_e32 v1, s2, v0
	s_wait_loadcnt 0x0
	v_dual_mov_b32 v0, 0 :: v_dual_add_nc_u32 v3, v3, v4
	s_wait_xcnt 0x0
	s_delay_alu instid0(VALU_DEP_1)
	v_cmpx_lt_i32_e64 v3, v1
	s_cbranch_execz .LBB233_13
; %bb.10:                               ;   in Loop: Header=BB233_9 Depth=1
	v_mov_b32_e32 v0, 0
	s_mov_b32 s21, 0
.LBB233_11:                             ;   Parent Loop BB233_9 Depth=1
                                        ; =>  This Inner Loop Header: Depth=2
	s_clause 0x1
	global_load_b32 v8, v3, s[6:7] scale_offset
	global_load_u16 v9, v3, s[8:9] scale_offset
	s_wait_xcnt 0x0
	v_add_nc_u32_e32 v3, 8, v3
	s_delay_alu instid0(VALU_DEP_1)
	v_cmp_ge_i32_e32 vcc_lo, v3, v1
	s_or_b32 s21, vcc_lo, s21
	s_wait_loadcnt 0x1
	global_load_u16 v8, v8, s[10:11] scale_offset
	s_wait_loadcnt 0x1
	v_lshlrev_b32_e32 v9, 16, v9
	s_delay_alu instid0(VALU_DEP_1) | instskip(SKIP_1) | instid1(VALU_DEP_1)
	v_mul_f32_e32 v9, s12, v9
	s_wait_loadcnt 0x0
	v_fma_mix_f32_bf16 v0, v9, v8, v0 op_sel_hi:[0,1,0]
	s_wait_xcnt 0x0
	s_and_not1_b32 exec_lo, exec_lo, s21
	s_cbranch_execnz .LBB233_11
; %bb.12:                               ;   in Loop: Header=BB233_9 Depth=1
	s_or_b32 exec_lo, exec_lo, s21
.LBB233_13:                             ;   in Loop: Header=BB233_9 Depth=1
	s_delay_alu instid0(SALU_CYCLE_1)
	s_or_b32 exec_lo, exec_lo, s20
	ds_bpermute_b32 v1, v5, v0
	s_wait_dscnt 0x0
	v_dual_add_f32 v0, v0, v1 :: v_dual_ashrrev_i32 v3, 31, v2
	ds_bpermute_b32 v1, v6, v0
	s_wait_dscnt 0x0
	v_add_f32_e32 v0, v0, v1
	ds_bpermute_b32 v1, v7, v0
	s_and_saveexec_b32 s20, s0
	s_cbranch_execz .LBB233_8
; %bb.14:                               ;   in Loop: Header=BB233_9 Depth=1
	s_wait_dscnt 0x0
	v_add_f32_e32 v8, v0, v1
	v_lshl_add_u64 v[0:1], v[2:3], 2, s[18:19]
	s_and_not1_b32 vcc_lo, exec_lo, s3
	s_cbranch_vccnz .LBB233_7
; %bb.15:                               ;   in Loop: Header=BB233_9 Depth=1
	global_load_b32 v3, v[0:1], off
	s_wait_loadcnt 0x0
	v_fmac_f32_e32 v8, s16, v3
	s_branch .LBB233_7
.LBB233_16:
	s_endpgm
	.section	.rodata,"a",@progbits
	.p2align	6, 0x0
	.amdhsa_kernel _ZN9rocsparseL21csrmvn_general_kernelILj256ELj8Eii18rocsparse_bfloat16S1_ffEEvbT2_NS_24const_host_device_scalarIT6_EEPKT1_S8_PKS2_PKT3_PKT4_S5_PT5_21rocsparse_index_base_b
		.amdhsa_group_segment_fixed_size 0
		.amdhsa_private_segment_fixed_size 0
		.amdhsa_kernarg_size 336
		.amdhsa_user_sgpr_count 2
		.amdhsa_user_sgpr_dispatch_ptr 0
		.amdhsa_user_sgpr_queue_ptr 0
		.amdhsa_user_sgpr_kernarg_segment_ptr 1
		.amdhsa_user_sgpr_dispatch_id 0
		.amdhsa_user_sgpr_kernarg_preload_length 0
		.amdhsa_user_sgpr_kernarg_preload_offset 0
		.amdhsa_user_sgpr_private_segment_size 0
		.amdhsa_wavefront_size32 1
		.amdhsa_uses_dynamic_stack 0
		.amdhsa_enable_private_segment 0
		.amdhsa_system_sgpr_workgroup_id_x 1
		.amdhsa_system_sgpr_workgroup_id_y 0
		.amdhsa_system_sgpr_workgroup_id_z 0
		.amdhsa_system_sgpr_workgroup_info 0
		.amdhsa_system_vgpr_workitem_id 0
		.amdhsa_next_free_vgpr 10
		.amdhsa_next_free_sgpr 22
		.amdhsa_named_barrier_count 0
		.amdhsa_reserve_vcc 1
		.amdhsa_float_round_mode_32 0
		.amdhsa_float_round_mode_16_64 0
		.amdhsa_float_denorm_mode_32 3
		.amdhsa_float_denorm_mode_16_64 3
		.amdhsa_fp16_overflow 0
		.amdhsa_memory_ordered 1
		.amdhsa_forward_progress 1
		.amdhsa_inst_pref_size 6
		.amdhsa_round_robin_scheduling 0
		.amdhsa_exception_fp_ieee_invalid_op 0
		.amdhsa_exception_fp_denorm_src 0
		.amdhsa_exception_fp_ieee_div_zero 0
		.amdhsa_exception_fp_ieee_overflow 0
		.amdhsa_exception_fp_ieee_underflow 0
		.amdhsa_exception_fp_ieee_inexact 0
		.amdhsa_exception_int_div_zero 0
	.end_amdhsa_kernel
	.section	.text._ZN9rocsparseL21csrmvn_general_kernelILj256ELj8Eii18rocsparse_bfloat16S1_ffEEvbT2_NS_24const_host_device_scalarIT6_EEPKT1_S8_PKS2_PKT3_PKT4_S5_PT5_21rocsparse_index_base_b,"axG",@progbits,_ZN9rocsparseL21csrmvn_general_kernelILj256ELj8Eii18rocsparse_bfloat16S1_ffEEvbT2_NS_24const_host_device_scalarIT6_EEPKT1_S8_PKS2_PKT3_PKT4_S5_PT5_21rocsparse_index_base_b,comdat
.Lfunc_end233:
	.size	_ZN9rocsparseL21csrmvn_general_kernelILj256ELj8Eii18rocsparse_bfloat16S1_ffEEvbT2_NS_24const_host_device_scalarIT6_EEPKT1_S8_PKS2_PKT3_PKT4_S5_PT5_21rocsparse_index_base_b, .Lfunc_end233-_ZN9rocsparseL21csrmvn_general_kernelILj256ELj8Eii18rocsparse_bfloat16S1_ffEEvbT2_NS_24const_host_device_scalarIT6_EEPKT1_S8_PKS2_PKT3_PKT4_S5_PT5_21rocsparse_index_base_b
                                        ; -- End function
	.set _ZN9rocsparseL21csrmvn_general_kernelILj256ELj8Eii18rocsparse_bfloat16S1_ffEEvbT2_NS_24const_host_device_scalarIT6_EEPKT1_S8_PKS2_PKT3_PKT4_S5_PT5_21rocsparse_index_base_b.num_vgpr, 10
	.set _ZN9rocsparseL21csrmvn_general_kernelILj256ELj8Eii18rocsparse_bfloat16S1_ffEEvbT2_NS_24const_host_device_scalarIT6_EEPKT1_S8_PKS2_PKT3_PKT4_S5_PT5_21rocsparse_index_base_b.num_agpr, 0
	.set _ZN9rocsparseL21csrmvn_general_kernelILj256ELj8Eii18rocsparse_bfloat16S1_ffEEvbT2_NS_24const_host_device_scalarIT6_EEPKT1_S8_PKS2_PKT3_PKT4_S5_PT5_21rocsparse_index_base_b.numbered_sgpr, 22
	.set _ZN9rocsparseL21csrmvn_general_kernelILj256ELj8Eii18rocsparse_bfloat16S1_ffEEvbT2_NS_24const_host_device_scalarIT6_EEPKT1_S8_PKS2_PKT3_PKT4_S5_PT5_21rocsparse_index_base_b.num_named_barrier, 0
	.set _ZN9rocsparseL21csrmvn_general_kernelILj256ELj8Eii18rocsparse_bfloat16S1_ffEEvbT2_NS_24const_host_device_scalarIT6_EEPKT1_S8_PKS2_PKT3_PKT4_S5_PT5_21rocsparse_index_base_b.private_seg_size, 0
	.set _ZN9rocsparseL21csrmvn_general_kernelILj256ELj8Eii18rocsparse_bfloat16S1_ffEEvbT2_NS_24const_host_device_scalarIT6_EEPKT1_S8_PKS2_PKT3_PKT4_S5_PT5_21rocsparse_index_base_b.uses_vcc, 1
	.set _ZN9rocsparseL21csrmvn_general_kernelILj256ELj8Eii18rocsparse_bfloat16S1_ffEEvbT2_NS_24const_host_device_scalarIT6_EEPKT1_S8_PKS2_PKT3_PKT4_S5_PT5_21rocsparse_index_base_b.uses_flat_scratch, 0
	.set _ZN9rocsparseL21csrmvn_general_kernelILj256ELj8Eii18rocsparse_bfloat16S1_ffEEvbT2_NS_24const_host_device_scalarIT6_EEPKT1_S8_PKS2_PKT3_PKT4_S5_PT5_21rocsparse_index_base_b.has_dyn_sized_stack, 0
	.set _ZN9rocsparseL21csrmvn_general_kernelILj256ELj8Eii18rocsparse_bfloat16S1_ffEEvbT2_NS_24const_host_device_scalarIT6_EEPKT1_S8_PKS2_PKT3_PKT4_S5_PT5_21rocsparse_index_base_b.has_recursion, 0
	.set _ZN9rocsparseL21csrmvn_general_kernelILj256ELj8Eii18rocsparse_bfloat16S1_ffEEvbT2_NS_24const_host_device_scalarIT6_EEPKT1_S8_PKS2_PKT3_PKT4_S5_PT5_21rocsparse_index_base_b.has_indirect_call, 0
	.section	.AMDGPU.csdata,"",@progbits
; Kernel info:
; codeLenInByte = 700
; TotalNumSgprs: 24
; NumVgprs: 10
; ScratchSize: 0
; MemoryBound: 0
; FloatMode: 240
; IeeeMode: 1
; LDSByteSize: 0 bytes/workgroup (compile time only)
; SGPRBlocks: 0
; VGPRBlocks: 0
; NumSGPRsForWavesPerEU: 24
; NumVGPRsForWavesPerEU: 10
; NamedBarCnt: 0
; Occupancy: 16
; WaveLimiterHint : 1
; COMPUTE_PGM_RSRC2:SCRATCH_EN: 0
; COMPUTE_PGM_RSRC2:USER_SGPR: 2
; COMPUTE_PGM_RSRC2:TRAP_HANDLER: 0
; COMPUTE_PGM_RSRC2:TGID_X_EN: 1
; COMPUTE_PGM_RSRC2:TGID_Y_EN: 0
; COMPUTE_PGM_RSRC2:TGID_Z_EN: 0
; COMPUTE_PGM_RSRC2:TIDIG_COMP_CNT: 0
	.section	.text._ZN9rocsparseL21csrmvn_general_kernelILj256ELj16Eii18rocsparse_bfloat16S1_ffEEvbT2_NS_24const_host_device_scalarIT6_EEPKT1_S8_PKS2_PKT3_PKT4_S5_PT5_21rocsparse_index_base_b,"axG",@progbits,_ZN9rocsparseL21csrmvn_general_kernelILj256ELj16Eii18rocsparse_bfloat16S1_ffEEvbT2_NS_24const_host_device_scalarIT6_EEPKT1_S8_PKS2_PKT3_PKT4_S5_PT5_21rocsparse_index_base_b,comdat
	.globl	_ZN9rocsparseL21csrmvn_general_kernelILj256ELj16Eii18rocsparse_bfloat16S1_ffEEvbT2_NS_24const_host_device_scalarIT6_EEPKT1_S8_PKS2_PKT3_PKT4_S5_PT5_21rocsparse_index_base_b ; -- Begin function _ZN9rocsparseL21csrmvn_general_kernelILj256ELj16Eii18rocsparse_bfloat16S1_ffEEvbT2_NS_24const_host_device_scalarIT6_EEPKT1_S8_PKS2_PKT3_PKT4_S5_PT5_21rocsparse_index_base_b
	.p2align	8
	.type	_ZN9rocsparseL21csrmvn_general_kernelILj256ELj16Eii18rocsparse_bfloat16S1_ffEEvbT2_NS_24const_host_device_scalarIT6_EEPKT1_S8_PKS2_PKT3_PKT4_S5_PT5_21rocsparse_index_base_b,@function
_ZN9rocsparseL21csrmvn_general_kernelILj256ELj16Eii18rocsparse_bfloat16S1_ffEEvbT2_NS_24const_host_device_scalarIT6_EEPKT1_S8_PKS2_PKT3_PKT4_S5_PT5_21rocsparse_index_base_b: ; @_ZN9rocsparseL21csrmvn_general_kernelILj256ELj16Eii18rocsparse_bfloat16S1_ffEEvbT2_NS_24const_host_device_scalarIT6_EEPKT1_S8_PKS2_PKT3_PKT4_S5_PT5_21rocsparse_index_base_b
; %bb.0:
	s_clause 0x2
	s_load_b64 s[2:3], s[0:1], 0x48
	s_load_b128 s[12:15], s[0:1], 0x8
	s_load_b64 s[16:17], s[0:1], 0x38
	s_wait_kmcnt 0x0
	s_bitcmp1_b32 s3, 0
	s_cselect_b32 s3, -1, 0
	s_delay_alu instid0(SALU_CYCLE_1)
	s_and_b32 vcc_lo, exec_lo, s3
	s_xor_b32 s3, s3, -1
	s_cbranch_vccnz .LBB234_2
; %bb.1:
	s_load_b32 s12, s[12:13], 0x0
.LBB234_2:
	s_and_not1_b32 vcc_lo, exec_lo, s3
	s_cbranch_vccnz .LBB234_4
; %bb.3:
	s_load_b32 s16, s[16:17], 0x0
.LBB234_4:
	s_wait_kmcnt 0x0
	s_cmp_neq_f32 s12, 0
	s_cselect_b32 s3, -1, 0
	s_cmp_neq_f32 s16, 1.0
	s_cselect_b32 s4, -1, 0
	s_delay_alu instid0(SALU_CYCLE_1) | instskip(NEXT) | instid1(SALU_CYCLE_1)
	s_or_b32 s3, s3, s4
	s_and_not1_b32 vcc_lo, exec_lo, s3
	s_cbranch_vccnz .LBB234_16
; %bb.5:
	s_bfe_u32 s3, ttmp6, 0x4000c
	s_load_b32 s13, s[0:1], 0x4
	s_add_co_i32 s3, s3, 1
	s_and_b32 s4, ttmp6, 15
	s_mul_i32 s3, ttmp9, s3
	s_getreg_b32 s5, hwreg(HW_REG_IB_STS2, 6, 4)
	s_add_co_i32 s4, s4, s3
	s_cmp_eq_u32 s5, 0
	s_cselect_b32 s3, ttmp9, s4
	s_delay_alu instid0(SALU_CYCLE_1) | instskip(SKIP_1) | instid1(VALU_DEP_1)
	v_lshl_or_b32 v1, s3, 8, v0
	s_mov_b32 s3, exec_lo
	v_lshrrev_b32_e32 v2, 4, v1
	s_wait_kmcnt 0x0
	s_delay_alu instid0(VALU_DEP_1)
	v_cmpx_gt_i32_e64 s13, v2
	s_cbranch_execz .LBB234_16
; %bb.6:
	v_mbcnt_lo_u32_b32 v1, -1, 0
	s_clause 0x2
	s_load_b32 s17, s[0:1], 0x50
	s_load_b64 s[18:19], s[0:1], 0x40
	s_load_b256 s[4:11], s[0:1], 0x18
	s_ashr_i32 s3, s2, 31
	s_delay_alu instid0(SALU_CYCLE_1) | instskip(SKIP_4) | instid1(VALU_DEP_3)
	s_lshl_b64 s[20:21], s[2:3], 1
	v_xor_b32_e32 v6, 2, v1
	v_xor_b32_e32 v3, 8, v1
	;; [unrolled: 1-line block ×4, first 2 shown]
	v_cmp_gt_i32_e32 vcc_lo, 32, v3
	v_dual_cndmask_b32 v3, v1, v3, vcc_lo :: v_dual_bitop2_b32 v0, 15, v0 bitop3:0x40
	s_delay_alu instid0(VALU_DEP_3) | instskip(NEXT) | instid1(VALU_DEP_2)
	v_cmp_gt_i32_e32 vcc_lo, 32, v5
	v_subrev_nc_u32_e32 v4, s2, v0
	s_wait_kmcnt 0x0
	s_lshl_b32 s1, s17, 4
	s_cmp_neq_f32 s16, 0
	v_cmp_eq_u32_e64 s0, 15, v0
	v_dual_cndmask_b32 v8, v1, v5 :: v_dual_lshlrev_b32 v5, 2, v3
	v_cmp_gt_i32_e32 vcc_lo, 32, v6
	s_cselect_b32 s3, -1, 0
	s_sub_nc_u64 s[10:11], s[10:11], s[20:21]
	s_mov_b32 s17, 0
	v_dual_cndmask_b32 v9, v1, v6 :: v_dual_lshlrev_b32 v6, 2, v8
	v_cmp_gt_i32_e32 vcc_lo, 32, v7
	s_delay_alu instid0(VALU_DEP_2) | instskip(NEXT) | instid1(VALU_DEP_1)
	v_dual_cndmask_b32 v1, v1, v7, vcc_lo :: v_dual_lshlrev_b32 v7, 2, v9
	v_lshlrev_b32_e32 v8, 2, v1
	s_branch .LBB234_9
.LBB234_7:                              ;   in Loop: Header=BB234_9 Depth=1
	global_store_b32 v[0:1], v9, off
.LBB234_8:                              ;   in Loop: Header=BB234_9 Depth=1
	s_wait_xcnt 0x0
	s_or_b32 exec_lo, exec_lo, s20
	v_add_nc_u32_e32 v2, s1, v2
	s_delay_alu instid0(VALU_DEP_1) | instskip(SKIP_1) | instid1(SALU_CYCLE_1)
	v_cmp_le_i32_e32 vcc_lo, s13, v2
	s_or_b32 s17, vcc_lo, s17
	s_and_not1_b32 exec_lo, exec_lo, s17
	s_cbranch_execz .LBB234_16
.LBB234_9:                              ; =>This Loop Header: Depth=1
                                        ;     Child Loop BB234_11 Depth 2
	s_clause 0x1
	global_load_b32 v0, v2, s[4:5] scale_offset
	global_load_b32 v3, v2, s[14:15] scale_offset
	s_mov_b32 s20, exec_lo
	s_wait_loadcnt_dscnt 0x100
	v_subrev_nc_u32_e32 v1, s2, v0
	s_wait_loadcnt 0x0
	v_dual_mov_b32 v0, 0 :: v_dual_add_nc_u32 v3, v3, v4
	s_wait_xcnt 0x0
	s_delay_alu instid0(VALU_DEP_1)
	v_cmpx_lt_i32_e64 v3, v1
	s_cbranch_execz .LBB234_13
; %bb.10:                               ;   in Loop: Header=BB234_9 Depth=1
	v_mov_b32_e32 v0, 0
	s_mov_b32 s21, 0
.LBB234_11:                             ;   Parent Loop BB234_9 Depth=1
                                        ; =>  This Inner Loop Header: Depth=2
	s_clause 0x1
	global_load_b32 v9, v3, s[6:7] scale_offset
	global_load_u16 v10, v3, s[8:9] scale_offset
	s_wait_xcnt 0x0
	v_add_nc_u32_e32 v3, 16, v3
	s_delay_alu instid0(VALU_DEP_1)
	v_cmp_ge_i32_e32 vcc_lo, v3, v1
	s_or_b32 s21, vcc_lo, s21
	s_wait_loadcnt 0x1
	global_load_u16 v9, v9, s[10:11] scale_offset
	s_wait_loadcnt 0x1
	v_lshlrev_b32_e32 v10, 16, v10
	s_delay_alu instid0(VALU_DEP_1) | instskip(SKIP_1) | instid1(VALU_DEP_1)
	v_mul_f32_e32 v10, s12, v10
	s_wait_loadcnt 0x0
	v_fma_mix_f32_bf16 v0, v10, v9, v0 op_sel_hi:[0,1,0]
	s_wait_xcnt 0x0
	s_and_not1_b32 exec_lo, exec_lo, s21
	s_cbranch_execnz .LBB234_11
; %bb.12:                               ;   in Loop: Header=BB234_9 Depth=1
	s_or_b32 exec_lo, exec_lo, s21
.LBB234_13:                             ;   in Loop: Header=BB234_9 Depth=1
	s_delay_alu instid0(SALU_CYCLE_1)
	s_or_b32 exec_lo, exec_lo, s20
	ds_bpermute_b32 v1, v5, v0
	s_wait_dscnt 0x0
	v_dual_add_f32 v0, v0, v1 :: v_dual_ashrrev_i32 v3, 31, v2
	ds_bpermute_b32 v1, v6, v0
	s_wait_dscnt 0x0
	v_add_f32_e32 v0, v0, v1
	ds_bpermute_b32 v1, v7, v0
	s_wait_dscnt 0x0
	v_add_f32_e32 v0, v0, v1
	ds_bpermute_b32 v1, v8, v0
	s_and_saveexec_b32 s20, s0
	s_cbranch_execz .LBB234_8
; %bb.14:                               ;   in Loop: Header=BB234_9 Depth=1
	s_wait_dscnt 0x0
	v_add_f32_e32 v9, v0, v1
	v_lshl_add_u64 v[0:1], v[2:3], 2, s[18:19]
	s_and_not1_b32 vcc_lo, exec_lo, s3
	s_cbranch_vccnz .LBB234_7
; %bb.15:                               ;   in Loop: Header=BB234_9 Depth=1
	global_load_b32 v3, v[0:1], off
	s_wait_loadcnt 0x0
	v_fmac_f32_e32 v9, s16, v3
	s_branch .LBB234_7
.LBB234_16:
	s_endpgm
	.section	.rodata,"a",@progbits
	.p2align	6, 0x0
	.amdhsa_kernel _ZN9rocsparseL21csrmvn_general_kernelILj256ELj16Eii18rocsparse_bfloat16S1_ffEEvbT2_NS_24const_host_device_scalarIT6_EEPKT1_S8_PKS2_PKT3_PKT4_S5_PT5_21rocsparse_index_base_b
		.amdhsa_group_segment_fixed_size 0
		.amdhsa_private_segment_fixed_size 0
		.amdhsa_kernarg_size 336
		.amdhsa_user_sgpr_count 2
		.amdhsa_user_sgpr_dispatch_ptr 0
		.amdhsa_user_sgpr_queue_ptr 0
		.amdhsa_user_sgpr_kernarg_segment_ptr 1
		.amdhsa_user_sgpr_dispatch_id 0
		.amdhsa_user_sgpr_kernarg_preload_length 0
		.amdhsa_user_sgpr_kernarg_preload_offset 0
		.amdhsa_user_sgpr_private_segment_size 0
		.amdhsa_wavefront_size32 1
		.amdhsa_uses_dynamic_stack 0
		.amdhsa_enable_private_segment 0
		.amdhsa_system_sgpr_workgroup_id_x 1
		.amdhsa_system_sgpr_workgroup_id_y 0
		.amdhsa_system_sgpr_workgroup_id_z 0
		.amdhsa_system_sgpr_workgroup_info 0
		.amdhsa_system_vgpr_workitem_id 0
		.amdhsa_next_free_vgpr 11
		.amdhsa_next_free_sgpr 22
		.amdhsa_named_barrier_count 0
		.amdhsa_reserve_vcc 1
		.amdhsa_float_round_mode_32 0
		.amdhsa_float_round_mode_16_64 0
		.amdhsa_float_denorm_mode_32 3
		.amdhsa_float_denorm_mode_16_64 3
		.amdhsa_fp16_overflow 0
		.amdhsa_memory_ordered 1
		.amdhsa_forward_progress 1
		.amdhsa_inst_pref_size 6
		.amdhsa_round_robin_scheduling 0
		.amdhsa_exception_fp_ieee_invalid_op 0
		.amdhsa_exception_fp_denorm_src 0
		.amdhsa_exception_fp_ieee_div_zero 0
		.amdhsa_exception_fp_ieee_overflow 0
		.amdhsa_exception_fp_ieee_underflow 0
		.amdhsa_exception_fp_ieee_inexact 0
		.amdhsa_exception_int_div_zero 0
	.end_amdhsa_kernel
	.section	.text._ZN9rocsparseL21csrmvn_general_kernelILj256ELj16Eii18rocsparse_bfloat16S1_ffEEvbT2_NS_24const_host_device_scalarIT6_EEPKT1_S8_PKS2_PKT3_PKT4_S5_PT5_21rocsparse_index_base_b,"axG",@progbits,_ZN9rocsparseL21csrmvn_general_kernelILj256ELj16Eii18rocsparse_bfloat16S1_ffEEvbT2_NS_24const_host_device_scalarIT6_EEPKT1_S8_PKS2_PKT3_PKT4_S5_PT5_21rocsparse_index_base_b,comdat
.Lfunc_end234:
	.size	_ZN9rocsparseL21csrmvn_general_kernelILj256ELj16Eii18rocsparse_bfloat16S1_ffEEvbT2_NS_24const_host_device_scalarIT6_EEPKT1_S8_PKS2_PKT3_PKT4_S5_PT5_21rocsparse_index_base_b, .Lfunc_end234-_ZN9rocsparseL21csrmvn_general_kernelILj256ELj16Eii18rocsparse_bfloat16S1_ffEEvbT2_NS_24const_host_device_scalarIT6_EEPKT1_S8_PKS2_PKT3_PKT4_S5_PT5_21rocsparse_index_base_b
                                        ; -- End function
	.set _ZN9rocsparseL21csrmvn_general_kernelILj256ELj16Eii18rocsparse_bfloat16S1_ffEEvbT2_NS_24const_host_device_scalarIT6_EEPKT1_S8_PKS2_PKT3_PKT4_S5_PT5_21rocsparse_index_base_b.num_vgpr, 11
	.set _ZN9rocsparseL21csrmvn_general_kernelILj256ELj16Eii18rocsparse_bfloat16S1_ffEEvbT2_NS_24const_host_device_scalarIT6_EEPKT1_S8_PKS2_PKT3_PKT4_S5_PT5_21rocsparse_index_base_b.num_agpr, 0
	.set _ZN9rocsparseL21csrmvn_general_kernelILj256ELj16Eii18rocsparse_bfloat16S1_ffEEvbT2_NS_24const_host_device_scalarIT6_EEPKT1_S8_PKS2_PKT3_PKT4_S5_PT5_21rocsparse_index_base_b.numbered_sgpr, 22
	.set _ZN9rocsparseL21csrmvn_general_kernelILj256ELj16Eii18rocsparse_bfloat16S1_ffEEvbT2_NS_24const_host_device_scalarIT6_EEPKT1_S8_PKS2_PKT3_PKT4_S5_PT5_21rocsparse_index_base_b.num_named_barrier, 0
	.set _ZN9rocsparseL21csrmvn_general_kernelILj256ELj16Eii18rocsparse_bfloat16S1_ffEEvbT2_NS_24const_host_device_scalarIT6_EEPKT1_S8_PKS2_PKT3_PKT4_S5_PT5_21rocsparse_index_base_b.private_seg_size, 0
	.set _ZN9rocsparseL21csrmvn_general_kernelILj256ELj16Eii18rocsparse_bfloat16S1_ffEEvbT2_NS_24const_host_device_scalarIT6_EEPKT1_S8_PKS2_PKT3_PKT4_S5_PT5_21rocsparse_index_base_b.uses_vcc, 1
	.set _ZN9rocsparseL21csrmvn_general_kernelILj256ELj16Eii18rocsparse_bfloat16S1_ffEEvbT2_NS_24const_host_device_scalarIT6_EEPKT1_S8_PKS2_PKT3_PKT4_S5_PT5_21rocsparse_index_base_b.uses_flat_scratch, 0
	.set _ZN9rocsparseL21csrmvn_general_kernelILj256ELj16Eii18rocsparse_bfloat16S1_ffEEvbT2_NS_24const_host_device_scalarIT6_EEPKT1_S8_PKS2_PKT3_PKT4_S5_PT5_21rocsparse_index_base_b.has_dyn_sized_stack, 0
	.set _ZN9rocsparseL21csrmvn_general_kernelILj256ELj16Eii18rocsparse_bfloat16S1_ffEEvbT2_NS_24const_host_device_scalarIT6_EEPKT1_S8_PKS2_PKT3_PKT4_S5_PT5_21rocsparse_index_base_b.has_recursion, 0
	.set _ZN9rocsparseL21csrmvn_general_kernelILj256ELj16Eii18rocsparse_bfloat16S1_ffEEvbT2_NS_24const_host_device_scalarIT6_EEPKT1_S8_PKS2_PKT3_PKT4_S5_PT5_21rocsparse_index_base_b.has_indirect_call, 0
	.section	.AMDGPU.csdata,"",@progbits
; Kernel info:
; codeLenInByte = 732
; TotalNumSgprs: 24
; NumVgprs: 11
; ScratchSize: 0
; MemoryBound: 0
; FloatMode: 240
; IeeeMode: 1
; LDSByteSize: 0 bytes/workgroup (compile time only)
; SGPRBlocks: 0
; VGPRBlocks: 0
; NumSGPRsForWavesPerEU: 24
; NumVGPRsForWavesPerEU: 11
; NamedBarCnt: 0
; Occupancy: 16
; WaveLimiterHint : 1
; COMPUTE_PGM_RSRC2:SCRATCH_EN: 0
; COMPUTE_PGM_RSRC2:USER_SGPR: 2
; COMPUTE_PGM_RSRC2:TRAP_HANDLER: 0
; COMPUTE_PGM_RSRC2:TGID_X_EN: 1
; COMPUTE_PGM_RSRC2:TGID_Y_EN: 0
; COMPUTE_PGM_RSRC2:TGID_Z_EN: 0
; COMPUTE_PGM_RSRC2:TIDIG_COMP_CNT: 0
	.section	.text._ZN9rocsparseL21csrmvn_general_kernelILj256ELj32Eii18rocsparse_bfloat16S1_ffEEvbT2_NS_24const_host_device_scalarIT6_EEPKT1_S8_PKS2_PKT3_PKT4_S5_PT5_21rocsparse_index_base_b,"axG",@progbits,_ZN9rocsparseL21csrmvn_general_kernelILj256ELj32Eii18rocsparse_bfloat16S1_ffEEvbT2_NS_24const_host_device_scalarIT6_EEPKT1_S8_PKS2_PKT3_PKT4_S5_PT5_21rocsparse_index_base_b,comdat
	.globl	_ZN9rocsparseL21csrmvn_general_kernelILj256ELj32Eii18rocsparse_bfloat16S1_ffEEvbT2_NS_24const_host_device_scalarIT6_EEPKT1_S8_PKS2_PKT3_PKT4_S5_PT5_21rocsparse_index_base_b ; -- Begin function _ZN9rocsparseL21csrmvn_general_kernelILj256ELj32Eii18rocsparse_bfloat16S1_ffEEvbT2_NS_24const_host_device_scalarIT6_EEPKT1_S8_PKS2_PKT3_PKT4_S5_PT5_21rocsparse_index_base_b
	.p2align	8
	.type	_ZN9rocsparseL21csrmvn_general_kernelILj256ELj32Eii18rocsparse_bfloat16S1_ffEEvbT2_NS_24const_host_device_scalarIT6_EEPKT1_S8_PKS2_PKT3_PKT4_S5_PT5_21rocsparse_index_base_b,@function
_ZN9rocsparseL21csrmvn_general_kernelILj256ELj32Eii18rocsparse_bfloat16S1_ffEEvbT2_NS_24const_host_device_scalarIT6_EEPKT1_S8_PKS2_PKT3_PKT4_S5_PT5_21rocsparse_index_base_b: ; @_ZN9rocsparseL21csrmvn_general_kernelILj256ELj32Eii18rocsparse_bfloat16S1_ffEEvbT2_NS_24const_host_device_scalarIT6_EEPKT1_S8_PKS2_PKT3_PKT4_S5_PT5_21rocsparse_index_base_b
; %bb.0:
	s_clause 0x2
	s_load_b64 s[2:3], s[0:1], 0x48
	s_load_b128 s[12:15], s[0:1], 0x8
	s_load_b64 s[16:17], s[0:1], 0x38
	s_wait_kmcnt 0x0
	s_bitcmp1_b32 s3, 0
	s_cselect_b32 s3, -1, 0
	s_delay_alu instid0(SALU_CYCLE_1)
	s_and_b32 vcc_lo, exec_lo, s3
	s_xor_b32 s3, s3, -1
	s_cbranch_vccnz .LBB235_2
; %bb.1:
	s_load_b32 s12, s[12:13], 0x0
.LBB235_2:
	s_and_not1_b32 vcc_lo, exec_lo, s3
	s_cbranch_vccnz .LBB235_4
; %bb.3:
	s_load_b32 s16, s[16:17], 0x0
.LBB235_4:
	s_wait_kmcnt 0x0
	s_cmp_neq_f32 s12, 0
	s_cselect_b32 s3, -1, 0
	s_cmp_neq_f32 s16, 1.0
	s_cselect_b32 s4, -1, 0
	s_delay_alu instid0(SALU_CYCLE_1) | instskip(NEXT) | instid1(SALU_CYCLE_1)
	s_or_b32 s3, s3, s4
	s_and_not1_b32 vcc_lo, exec_lo, s3
	s_cbranch_vccnz .LBB235_16
; %bb.5:
	s_bfe_u32 s3, ttmp6, 0x4000c
	s_load_b32 s13, s[0:1], 0x4
	s_add_co_i32 s3, s3, 1
	s_and_b32 s4, ttmp6, 15
	s_mul_i32 s3, ttmp9, s3
	s_getreg_b32 s5, hwreg(HW_REG_IB_STS2, 6, 4)
	s_add_co_i32 s4, s4, s3
	s_cmp_eq_u32 s5, 0
	s_cselect_b32 s3, ttmp9, s4
	s_delay_alu instid0(SALU_CYCLE_1) | instskip(SKIP_1) | instid1(VALU_DEP_1)
	v_lshl_or_b32 v1, s3, 8, v0
	s_mov_b32 s3, exec_lo
	v_lshrrev_b32_e32 v2, 5, v1
	s_wait_kmcnt 0x0
	s_delay_alu instid0(VALU_DEP_1)
	v_cmpx_gt_i32_e64 s13, v2
	s_cbranch_execz .LBB235_16
; %bb.6:
	v_mbcnt_lo_u32_b32 v1, -1, 0
	s_clause 0x2
	s_load_b32 s17, s[0:1], 0x50
	s_load_b64 s[18:19], s[0:1], 0x40
	s_load_b256 s[4:11], s[0:1], 0x18
	s_ashr_i32 s3, s2, 31
	s_delay_alu instid0(SALU_CYCLE_1)
	s_lshl_b64 s[20:21], s[2:3], 1
	v_xor_b32_e32 v6, 4, v1
	v_xor_b32_e32 v3, 16, v1
	;; [unrolled: 1-line block ×5, first 2 shown]
	s_delay_alu instid0(VALU_DEP_4) | instskip(SKIP_1) | instid1(VALU_DEP_3)
	v_cmp_gt_i32_e32 vcc_lo, 32, v3
	v_dual_cndmask_b32 v3, v1, v3, vcc_lo :: v_dual_bitop2_b32 v0, 31, v0 bitop3:0x40
	v_cmp_gt_i32_e32 vcc_lo, 32, v5
	s_delay_alu instid0(VALU_DEP_2)
	v_subrev_nc_u32_e32 v4, s2, v0
	s_wait_kmcnt 0x0
	s_lshl_b32 s1, s17, 3
	s_cmp_neq_f32 s16, 0
	v_cmp_eq_u32_e64 s0, 31, v0
	v_dual_cndmask_b32 v9, v1, v5, vcc_lo :: v_dual_lshlrev_b32 v5, 2, v3
	v_cmp_gt_i32_e32 vcc_lo, 32, v6
	s_cselect_b32 s3, -1, 0
	s_sub_nc_u64 s[10:11], s[10:11], s[20:21]
	s_mov_b32 s17, 0
	v_cndmask_b32_e32 v10, v1, v6, vcc_lo
	v_cmp_gt_i32_e32 vcc_lo, 32, v7
	s_delay_alu instid0(VALU_DEP_2) | instskip(SKIP_1) | instid1(VALU_DEP_2)
	v_dual_cndmask_b32 v3, v1, v7, vcc_lo :: v_dual_lshlrev_b32 v7, 2, v10
	v_cmp_gt_i32_e32 vcc_lo, 32, v8
	v_dual_cndmask_b32 v1, v1, v8 :: v_dual_lshlrev_b32 v8, 2, v3
	v_lshlrev_b32_e32 v6, 2, v9
	s_delay_alu instid0(VALU_DEP_2)
	v_lshlrev_b32_e32 v9, 2, v1
	s_branch .LBB235_9
.LBB235_7:                              ;   in Loop: Header=BB235_9 Depth=1
	global_store_b32 v[0:1], v10, off
.LBB235_8:                              ;   in Loop: Header=BB235_9 Depth=1
	s_wait_xcnt 0x0
	s_or_b32 exec_lo, exec_lo, s20
	v_add_nc_u32_e32 v2, s1, v2
	s_delay_alu instid0(VALU_DEP_1) | instskip(SKIP_1) | instid1(SALU_CYCLE_1)
	v_cmp_le_i32_e32 vcc_lo, s13, v2
	s_or_b32 s17, vcc_lo, s17
	s_and_not1_b32 exec_lo, exec_lo, s17
	s_cbranch_execz .LBB235_16
.LBB235_9:                              ; =>This Loop Header: Depth=1
                                        ;     Child Loop BB235_11 Depth 2
	s_clause 0x1
	global_load_b32 v0, v2, s[4:5] scale_offset
	global_load_b32 v3, v2, s[14:15] scale_offset
	s_mov_b32 s20, exec_lo
	s_wait_loadcnt_dscnt 0x100
	v_subrev_nc_u32_e32 v1, s2, v0
	s_wait_loadcnt 0x0
	v_dual_mov_b32 v0, 0 :: v_dual_add_nc_u32 v3, v3, v4
	s_wait_xcnt 0x0
	s_delay_alu instid0(VALU_DEP_1)
	v_cmpx_lt_i32_e64 v3, v1
	s_cbranch_execz .LBB235_13
; %bb.10:                               ;   in Loop: Header=BB235_9 Depth=1
	v_mov_b32_e32 v0, 0
	s_mov_b32 s21, 0
.LBB235_11:                             ;   Parent Loop BB235_9 Depth=1
                                        ; =>  This Inner Loop Header: Depth=2
	s_clause 0x1
	global_load_b32 v10, v3, s[6:7] scale_offset
	global_load_u16 v11, v3, s[8:9] scale_offset
	s_wait_xcnt 0x0
	v_add_nc_u32_e32 v3, 32, v3
	s_delay_alu instid0(VALU_DEP_1)
	v_cmp_ge_i32_e32 vcc_lo, v3, v1
	s_or_b32 s21, vcc_lo, s21
	s_wait_loadcnt 0x1
	global_load_u16 v10, v10, s[10:11] scale_offset
	s_wait_loadcnt 0x1
	v_lshlrev_b32_e32 v11, 16, v11
	s_delay_alu instid0(VALU_DEP_1) | instskip(SKIP_1) | instid1(VALU_DEP_1)
	v_mul_f32_e32 v11, s12, v11
	s_wait_loadcnt 0x0
	v_fma_mix_f32_bf16 v0, v11, v10, v0 op_sel_hi:[0,1,0]
	s_wait_xcnt 0x0
	s_and_not1_b32 exec_lo, exec_lo, s21
	s_cbranch_execnz .LBB235_11
; %bb.12:                               ;   in Loop: Header=BB235_9 Depth=1
	s_or_b32 exec_lo, exec_lo, s21
.LBB235_13:                             ;   in Loop: Header=BB235_9 Depth=1
	s_delay_alu instid0(SALU_CYCLE_1)
	s_or_b32 exec_lo, exec_lo, s20
	ds_bpermute_b32 v1, v5, v0
	s_wait_dscnt 0x0
	v_dual_add_f32 v0, v0, v1 :: v_dual_ashrrev_i32 v3, 31, v2
	ds_bpermute_b32 v1, v6, v0
	s_wait_dscnt 0x0
	v_add_f32_e32 v0, v0, v1
	ds_bpermute_b32 v1, v7, v0
	s_wait_dscnt 0x0
	v_add_f32_e32 v0, v0, v1
	;; [unrolled: 3-line block ×3, first 2 shown]
	ds_bpermute_b32 v1, v9, v0
	s_and_saveexec_b32 s20, s0
	s_cbranch_execz .LBB235_8
; %bb.14:                               ;   in Loop: Header=BB235_9 Depth=1
	s_wait_dscnt 0x0
	v_add_f32_e32 v10, v0, v1
	v_lshl_add_u64 v[0:1], v[2:3], 2, s[18:19]
	s_and_not1_b32 vcc_lo, exec_lo, s3
	s_cbranch_vccnz .LBB235_7
; %bb.15:                               ;   in Loop: Header=BB235_9 Depth=1
	global_load_b32 v3, v[0:1], off
	s_wait_loadcnt 0x0
	v_fmac_f32_e32 v10, s16, v3
	s_branch .LBB235_7
.LBB235_16:
	s_endpgm
	.section	.rodata,"a",@progbits
	.p2align	6, 0x0
	.amdhsa_kernel _ZN9rocsparseL21csrmvn_general_kernelILj256ELj32Eii18rocsparse_bfloat16S1_ffEEvbT2_NS_24const_host_device_scalarIT6_EEPKT1_S8_PKS2_PKT3_PKT4_S5_PT5_21rocsparse_index_base_b
		.amdhsa_group_segment_fixed_size 0
		.amdhsa_private_segment_fixed_size 0
		.amdhsa_kernarg_size 336
		.amdhsa_user_sgpr_count 2
		.amdhsa_user_sgpr_dispatch_ptr 0
		.amdhsa_user_sgpr_queue_ptr 0
		.amdhsa_user_sgpr_kernarg_segment_ptr 1
		.amdhsa_user_sgpr_dispatch_id 0
		.amdhsa_user_sgpr_kernarg_preload_length 0
		.amdhsa_user_sgpr_kernarg_preload_offset 0
		.amdhsa_user_sgpr_private_segment_size 0
		.amdhsa_wavefront_size32 1
		.amdhsa_uses_dynamic_stack 0
		.amdhsa_enable_private_segment 0
		.amdhsa_system_sgpr_workgroup_id_x 1
		.amdhsa_system_sgpr_workgroup_id_y 0
		.amdhsa_system_sgpr_workgroup_id_z 0
		.amdhsa_system_sgpr_workgroup_info 0
		.amdhsa_system_vgpr_workitem_id 0
		.amdhsa_next_free_vgpr 12
		.amdhsa_next_free_sgpr 22
		.amdhsa_named_barrier_count 0
		.amdhsa_reserve_vcc 1
		.amdhsa_float_round_mode_32 0
		.amdhsa_float_round_mode_16_64 0
		.amdhsa_float_denorm_mode_32 3
		.amdhsa_float_denorm_mode_16_64 3
		.amdhsa_fp16_overflow 0
		.amdhsa_memory_ordered 1
		.amdhsa_forward_progress 1
		.amdhsa_inst_pref_size 7
		.amdhsa_round_robin_scheduling 0
		.amdhsa_exception_fp_ieee_invalid_op 0
		.amdhsa_exception_fp_denorm_src 0
		.amdhsa_exception_fp_ieee_div_zero 0
		.amdhsa_exception_fp_ieee_overflow 0
		.amdhsa_exception_fp_ieee_underflow 0
		.amdhsa_exception_fp_ieee_inexact 0
		.amdhsa_exception_int_div_zero 0
	.end_amdhsa_kernel
	.section	.text._ZN9rocsparseL21csrmvn_general_kernelILj256ELj32Eii18rocsparse_bfloat16S1_ffEEvbT2_NS_24const_host_device_scalarIT6_EEPKT1_S8_PKS2_PKT3_PKT4_S5_PT5_21rocsparse_index_base_b,"axG",@progbits,_ZN9rocsparseL21csrmvn_general_kernelILj256ELj32Eii18rocsparse_bfloat16S1_ffEEvbT2_NS_24const_host_device_scalarIT6_EEPKT1_S8_PKS2_PKT3_PKT4_S5_PT5_21rocsparse_index_base_b,comdat
.Lfunc_end235:
	.size	_ZN9rocsparseL21csrmvn_general_kernelILj256ELj32Eii18rocsparse_bfloat16S1_ffEEvbT2_NS_24const_host_device_scalarIT6_EEPKT1_S8_PKS2_PKT3_PKT4_S5_PT5_21rocsparse_index_base_b, .Lfunc_end235-_ZN9rocsparseL21csrmvn_general_kernelILj256ELj32Eii18rocsparse_bfloat16S1_ffEEvbT2_NS_24const_host_device_scalarIT6_EEPKT1_S8_PKS2_PKT3_PKT4_S5_PT5_21rocsparse_index_base_b
                                        ; -- End function
	.set _ZN9rocsparseL21csrmvn_general_kernelILj256ELj32Eii18rocsparse_bfloat16S1_ffEEvbT2_NS_24const_host_device_scalarIT6_EEPKT1_S8_PKS2_PKT3_PKT4_S5_PT5_21rocsparse_index_base_b.num_vgpr, 12
	.set _ZN9rocsparseL21csrmvn_general_kernelILj256ELj32Eii18rocsparse_bfloat16S1_ffEEvbT2_NS_24const_host_device_scalarIT6_EEPKT1_S8_PKS2_PKT3_PKT4_S5_PT5_21rocsparse_index_base_b.num_agpr, 0
	.set _ZN9rocsparseL21csrmvn_general_kernelILj256ELj32Eii18rocsparse_bfloat16S1_ffEEvbT2_NS_24const_host_device_scalarIT6_EEPKT1_S8_PKS2_PKT3_PKT4_S5_PT5_21rocsparse_index_base_b.numbered_sgpr, 22
	.set _ZN9rocsparseL21csrmvn_general_kernelILj256ELj32Eii18rocsparse_bfloat16S1_ffEEvbT2_NS_24const_host_device_scalarIT6_EEPKT1_S8_PKS2_PKT3_PKT4_S5_PT5_21rocsparse_index_base_b.num_named_barrier, 0
	.set _ZN9rocsparseL21csrmvn_general_kernelILj256ELj32Eii18rocsparse_bfloat16S1_ffEEvbT2_NS_24const_host_device_scalarIT6_EEPKT1_S8_PKS2_PKT3_PKT4_S5_PT5_21rocsparse_index_base_b.private_seg_size, 0
	.set _ZN9rocsparseL21csrmvn_general_kernelILj256ELj32Eii18rocsparse_bfloat16S1_ffEEvbT2_NS_24const_host_device_scalarIT6_EEPKT1_S8_PKS2_PKT3_PKT4_S5_PT5_21rocsparse_index_base_b.uses_vcc, 1
	.set _ZN9rocsparseL21csrmvn_general_kernelILj256ELj32Eii18rocsparse_bfloat16S1_ffEEvbT2_NS_24const_host_device_scalarIT6_EEPKT1_S8_PKS2_PKT3_PKT4_S5_PT5_21rocsparse_index_base_b.uses_flat_scratch, 0
	.set _ZN9rocsparseL21csrmvn_general_kernelILj256ELj32Eii18rocsparse_bfloat16S1_ffEEvbT2_NS_24const_host_device_scalarIT6_EEPKT1_S8_PKS2_PKT3_PKT4_S5_PT5_21rocsparse_index_base_b.has_dyn_sized_stack, 0
	.set _ZN9rocsparseL21csrmvn_general_kernelILj256ELj32Eii18rocsparse_bfloat16S1_ffEEvbT2_NS_24const_host_device_scalarIT6_EEPKT1_S8_PKS2_PKT3_PKT4_S5_PT5_21rocsparse_index_base_b.has_recursion, 0
	.set _ZN9rocsparseL21csrmvn_general_kernelILj256ELj32Eii18rocsparse_bfloat16S1_ffEEvbT2_NS_24const_host_device_scalarIT6_EEPKT1_S8_PKS2_PKT3_PKT4_S5_PT5_21rocsparse_index_base_b.has_indirect_call, 0
	.section	.AMDGPU.csdata,"",@progbits
; Kernel info:
; codeLenInByte = 776
; TotalNumSgprs: 24
; NumVgprs: 12
; ScratchSize: 0
; MemoryBound: 0
; FloatMode: 240
; IeeeMode: 1
; LDSByteSize: 0 bytes/workgroup (compile time only)
; SGPRBlocks: 0
; VGPRBlocks: 0
; NumSGPRsForWavesPerEU: 24
; NumVGPRsForWavesPerEU: 12
; NamedBarCnt: 0
; Occupancy: 16
; WaveLimiterHint : 1
; COMPUTE_PGM_RSRC2:SCRATCH_EN: 0
; COMPUTE_PGM_RSRC2:USER_SGPR: 2
; COMPUTE_PGM_RSRC2:TRAP_HANDLER: 0
; COMPUTE_PGM_RSRC2:TGID_X_EN: 1
; COMPUTE_PGM_RSRC2:TGID_Y_EN: 0
; COMPUTE_PGM_RSRC2:TGID_Z_EN: 0
; COMPUTE_PGM_RSRC2:TIDIG_COMP_CNT: 0
	.section	.text._ZN9rocsparseL21csrmvn_general_kernelILj256ELj64Eii18rocsparse_bfloat16S1_ffEEvbT2_NS_24const_host_device_scalarIT6_EEPKT1_S8_PKS2_PKT3_PKT4_S5_PT5_21rocsparse_index_base_b,"axG",@progbits,_ZN9rocsparseL21csrmvn_general_kernelILj256ELj64Eii18rocsparse_bfloat16S1_ffEEvbT2_NS_24const_host_device_scalarIT6_EEPKT1_S8_PKS2_PKT3_PKT4_S5_PT5_21rocsparse_index_base_b,comdat
	.globl	_ZN9rocsparseL21csrmvn_general_kernelILj256ELj64Eii18rocsparse_bfloat16S1_ffEEvbT2_NS_24const_host_device_scalarIT6_EEPKT1_S8_PKS2_PKT3_PKT4_S5_PT5_21rocsparse_index_base_b ; -- Begin function _ZN9rocsparseL21csrmvn_general_kernelILj256ELj64Eii18rocsparse_bfloat16S1_ffEEvbT2_NS_24const_host_device_scalarIT6_EEPKT1_S8_PKS2_PKT3_PKT4_S5_PT5_21rocsparse_index_base_b
	.p2align	8
	.type	_ZN9rocsparseL21csrmvn_general_kernelILj256ELj64Eii18rocsparse_bfloat16S1_ffEEvbT2_NS_24const_host_device_scalarIT6_EEPKT1_S8_PKS2_PKT3_PKT4_S5_PT5_21rocsparse_index_base_b,@function
_ZN9rocsparseL21csrmvn_general_kernelILj256ELj64Eii18rocsparse_bfloat16S1_ffEEvbT2_NS_24const_host_device_scalarIT6_EEPKT1_S8_PKS2_PKT3_PKT4_S5_PT5_21rocsparse_index_base_b: ; @_ZN9rocsparseL21csrmvn_general_kernelILj256ELj64Eii18rocsparse_bfloat16S1_ffEEvbT2_NS_24const_host_device_scalarIT6_EEPKT1_S8_PKS2_PKT3_PKT4_S5_PT5_21rocsparse_index_base_b
; %bb.0:
	s_clause 0x2
	s_load_b64 s[2:3], s[0:1], 0x48
	s_load_b128 s[12:15], s[0:1], 0x8
	s_load_b64 s[16:17], s[0:1], 0x38
	s_wait_kmcnt 0x0
	s_bitcmp1_b32 s3, 0
	s_cselect_b32 s3, -1, 0
	s_delay_alu instid0(SALU_CYCLE_1)
	s_and_b32 vcc_lo, exec_lo, s3
	s_xor_b32 s3, s3, -1
	s_cbranch_vccnz .LBB236_2
; %bb.1:
	s_load_b32 s12, s[12:13], 0x0
.LBB236_2:
	s_and_not1_b32 vcc_lo, exec_lo, s3
	s_cbranch_vccnz .LBB236_4
; %bb.3:
	s_load_b32 s16, s[16:17], 0x0
.LBB236_4:
	s_wait_kmcnt 0x0
	s_cmp_neq_f32 s12, 0
	s_cselect_b32 s3, -1, 0
	s_cmp_neq_f32 s16, 1.0
	s_cselect_b32 s4, -1, 0
	s_delay_alu instid0(SALU_CYCLE_1) | instskip(NEXT) | instid1(SALU_CYCLE_1)
	s_or_b32 s3, s3, s4
	s_and_not1_b32 vcc_lo, exec_lo, s3
	s_cbranch_vccnz .LBB236_16
; %bb.5:
	s_bfe_u32 s3, ttmp6, 0x4000c
	s_load_b32 s13, s[0:1], 0x4
	s_add_co_i32 s3, s3, 1
	s_and_b32 s4, ttmp6, 15
	s_mul_i32 s3, ttmp9, s3
	s_getreg_b32 s5, hwreg(HW_REG_IB_STS2, 6, 4)
	s_add_co_i32 s4, s4, s3
	s_cmp_eq_u32 s5, 0
	s_cselect_b32 s3, ttmp9, s4
	s_delay_alu instid0(SALU_CYCLE_1) | instskip(SKIP_1) | instid1(VALU_DEP_1)
	v_lshl_or_b32 v1, s3, 8, v0
	s_mov_b32 s3, exec_lo
	v_lshrrev_b32_e32 v2, 6, v1
	s_wait_kmcnt 0x0
	s_delay_alu instid0(VALU_DEP_1)
	v_cmpx_gt_i32_e64 s13, v2
	s_cbranch_execz .LBB236_16
; %bb.6:
	v_mbcnt_lo_u32_b32 v1, -1, 0
	s_clause 0x2
	s_load_b32 s17, s[0:1], 0x50
	s_load_b64 s[18:19], s[0:1], 0x40
	s_load_b256 s[4:11], s[0:1], 0x18
	s_ashr_i32 s3, s2, 31
	s_delay_alu instid0(SALU_CYCLE_1) | instskip(SKIP_4) | instid1(VALU_DEP_4)
	s_lshl_b64 s[20:21], s[2:3], 1
	v_or_b32_e32 v3, 32, v1
	v_xor_b32_e32 v8, 4, v1
	v_xor_b32_e32 v7, 8, v1
	v_xor_b32_e32 v5, 16, v1
	v_cmp_gt_i32_e32 vcc_lo, 32, v3
	v_dual_cndmask_b32 v3, v1, v3, vcc_lo :: v_dual_bitop2_b32 v0, 63, v0 bitop3:0x40
	s_delay_alu instid0(VALU_DEP_3) | instskip(NEXT) | instid1(VALU_DEP_2)
	v_cmp_gt_i32_e32 vcc_lo, 32, v5
	v_subrev_nc_u32_e32 v4, s2, v0
	s_wait_xcnt 0x0
	v_cmp_eq_u32_e64 s0, 63, v0
	s_wait_kmcnt 0x0
	s_lshl_b32 s1, s17, 2
	v_dual_cndmask_b32 v6, v1, v5 :: v_dual_lshlrev_b32 v5, 2, v3
	v_cmp_gt_i32_e32 vcc_lo, 32, v7
	s_cmp_neq_f32 s16, 0
	s_sub_nc_u64 s[10:11], s[10:11], s[20:21]
	s_delay_alu instid0(VALU_DEP_2)
	v_lshlrev_b32_e32 v6, 2, v6
	s_mov_b32 s17, 0
	v_dual_cndmask_b32 v3, v1, v7, vcc_lo :: v_dual_bitop2_b32 v9, 2, v1 bitop3:0x14
	v_cmp_gt_i32_e32 vcc_lo, 32, v8
	s_cselect_b32 s3, -1, 0
	v_dual_cndmask_b32 v8, v1, v8, vcc_lo :: v_dual_bitop2_b32 v7, 1, v1 bitop3:0x14
	s_delay_alu instid0(VALU_DEP_3) | instskip(NEXT) | instid1(VALU_DEP_2)
	v_cmp_gt_i32_e32 vcc_lo, 32, v9
	v_dual_cndmask_b32 v9, v1, v9 :: v_dual_lshlrev_b32 v8, 2, v8
	s_delay_alu instid0(VALU_DEP_3) | instskip(NEXT) | instid1(VALU_DEP_2)
	v_cmp_gt_i32_e32 vcc_lo, 32, v7
	v_dual_lshlrev_b32 v9, 2, v9 :: v_dual_cndmask_b32 v1, v1, v7, vcc_lo
	s_delay_alu instid0(VALU_DEP_1)
	v_dual_lshlrev_b32 v7, 2, v3 :: v_dual_lshlrev_b32 v10, 2, v1
	s_branch .LBB236_9
.LBB236_7:                              ;   in Loop: Header=BB236_9 Depth=1
	global_store_b32 v[0:1], v11, off
.LBB236_8:                              ;   in Loop: Header=BB236_9 Depth=1
	s_wait_xcnt 0x0
	s_or_b32 exec_lo, exec_lo, s20
	v_add_nc_u32_e32 v2, s1, v2
	s_delay_alu instid0(VALU_DEP_1) | instskip(SKIP_1) | instid1(SALU_CYCLE_1)
	v_cmp_le_i32_e32 vcc_lo, s13, v2
	s_or_b32 s17, vcc_lo, s17
	s_and_not1_b32 exec_lo, exec_lo, s17
	s_cbranch_execz .LBB236_16
.LBB236_9:                              ; =>This Loop Header: Depth=1
                                        ;     Child Loop BB236_11 Depth 2
	s_clause 0x1
	global_load_b32 v0, v2, s[4:5] scale_offset
	global_load_b32 v3, v2, s[14:15] scale_offset
	s_mov_b32 s20, exec_lo
	s_wait_loadcnt_dscnt 0x100
	v_subrev_nc_u32_e32 v1, s2, v0
	s_wait_loadcnt 0x0
	v_dual_mov_b32 v0, 0 :: v_dual_add_nc_u32 v3, v3, v4
	s_wait_xcnt 0x0
	s_delay_alu instid0(VALU_DEP_1)
	v_cmpx_lt_i32_e64 v3, v1
	s_cbranch_execz .LBB236_13
; %bb.10:                               ;   in Loop: Header=BB236_9 Depth=1
	v_mov_b32_e32 v0, 0
	s_mov_b32 s21, 0
.LBB236_11:                             ;   Parent Loop BB236_9 Depth=1
                                        ; =>  This Inner Loop Header: Depth=2
	s_clause 0x1
	global_load_b32 v11, v3, s[6:7] scale_offset
	global_load_u16 v12, v3, s[8:9] scale_offset
	s_wait_xcnt 0x0
	v_add_nc_u32_e32 v3, 64, v3
	s_delay_alu instid0(VALU_DEP_1)
	v_cmp_ge_i32_e32 vcc_lo, v3, v1
	s_or_b32 s21, vcc_lo, s21
	s_wait_loadcnt 0x1
	global_load_u16 v11, v11, s[10:11] scale_offset
	s_wait_loadcnt 0x1
	v_lshlrev_b32_e32 v12, 16, v12
	s_delay_alu instid0(VALU_DEP_1) | instskip(SKIP_1) | instid1(VALU_DEP_1)
	v_mul_f32_e32 v12, s12, v12
	s_wait_loadcnt 0x0
	v_fma_mix_f32_bf16 v0, v12, v11, v0 op_sel_hi:[0,1,0]
	s_wait_xcnt 0x0
	s_and_not1_b32 exec_lo, exec_lo, s21
	s_cbranch_execnz .LBB236_11
; %bb.12:                               ;   in Loop: Header=BB236_9 Depth=1
	s_or_b32 exec_lo, exec_lo, s21
.LBB236_13:                             ;   in Loop: Header=BB236_9 Depth=1
	s_delay_alu instid0(SALU_CYCLE_1)
	s_or_b32 exec_lo, exec_lo, s20
	ds_bpermute_b32 v1, v5, v0
	s_wait_dscnt 0x0
	v_dual_add_f32 v0, v0, v1 :: v_dual_ashrrev_i32 v3, 31, v2
	ds_bpermute_b32 v1, v6, v0
	s_wait_dscnt 0x0
	v_add_f32_e32 v0, v0, v1
	ds_bpermute_b32 v1, v7, v0
	s_wait_dscnt 0x0
	v_add_f32_e32 v0, v0, v1
	;; [unrolled: 3-line block ×4, first 2 shown]
	ds_bpermute_b32 v1, v10, v0
	s_and_saveexec_b32 s20, s0
	s_cbranch_execz .LBB236_8
; %bb.14:                               ;   in Loop: Header=BB236_9 Depth=1
	s_wait_dscnt 0x0
	v_add_f32_e32 v11, v0, v1
	v_lshl_add_u64 v[0:1], v[2:3], 2, s[18:19]
	s_and_not1_b32 vcc_lo, exec_lo, s3
	s_cbranch_vccnz .LBB236_7
; %bb.15:                               ;   in Loop: Header=BB236_9 Depth=1
	global_load_b32 v3, v[0:1], off
	s_wait_loadcnt 0x0
	v_fmac_f32_e32 v11, s16, v3
	s_branch .LBB236_7
.LBB236_16:
	s_endpgm
	.section	.rodata,"a",@progbits
	.p2align	6, 0x0
	.amdhsa_kernel _ZN9rocsparseL21csrmvn_general_kernelILj256ELj64Eii18rocsparse_bfloat16S1_ffEEvbT2_NS_24const_host_device_scalarIT6_EEPKT1_S8_PKS2_PKT3_PKT4_S5_PT5_21rocsparse_index_base_b
		.amdhsa_group_segment_fixed_size 0
		.amdhsa_private_segment_fixed_size 0
		.amdhsa_kernarg_size 336
		.amdhsa_user_sgpr_count 2
		.amdhsa_user_sgpr_dispatch_ptr 0
		.amdhsa_user_sgpr_queue_ptr 0
		.amdhsa_user_sgpr_kernarg_segment_ptr 1
		.amdhsa_user_sgpr_dispatch_id 0
		.amdhsa_user_sgpr_kernarg_preload_length 0
		.amdhsa_user_sgpr_kernarg_preload_offset 0
		.amdhsa_user_sgpr_private_segment_size 0
		.amdhsa_wavefront_size32 1
		.amdhsa_uses_dynamic_stack 0
		.amdhsa_enable_private_segment 0
		.amdhsa_system_sgpr_workgroup_id_x 1
		.amdhsa_system_sgpr_workgroup_id_y 0
		.amdhsa_system_sgpr_workgroup_id_z 0
		.amdhsa_system_sgpr_workgroup_info 0
		.amdhsa_system_vgpr_workitem_id 0
		.amdhsa_next_free_vgpr 13
		.amdhsa_next_free_sgpr 22
		.amdhsa_named_barrier_count 0
		.amdhsa_reserve_vcc 1
		.amdhsa_float_round_mode_32 0
		.amdhsa_float_round_mode_16_64 0
		.amdhsa_float_denorm_mode_32 3
		.amdhsa_float_denorm_mode_16_64 3
		.amdhsa_fp16_overflow 0
		.amdhsa_memory_ordered 1
		.amdhsa_forward_progress 1
		.amdhsa_inst_pref_size 7
		.amdhsa_round_robin_scheduling 0
		.amdhsa_exception_fp_ieee_invalid_op 0
		.amdhsa_exception_fp_denorm_src 0
		.amdhsa_exception_fp_ieee_div_zero 0
		.amdhsa_exception_fp_ieee_overflow 0
		.amdhsa_exception_fp_ieee_underflow 0
		.amdhsa_exception_fp_ieee_inexact 0
		.amdhsa_exception_int_div_zero 0
	.end_amdhsa_kernel
	.section	.text._ZN9rocsparseL21csrmvn_general_kernelILj256ELj64Eii18rocsparse_bfloat16S1_ffEEvbT2_NS_24const_host_device_scalarIT6_EEPKT1_S8_PKS2_PKT3_PKT4_S5_PT5_21rocsparse_index_base_b,"axG",@progbits,_ZN9rocsparseL21csrmvn_general_kernelILj256ELj64Eii18rocsparse_bfloat16S1_ffEEvbT2_NS_24const_host_device_scalarIT6_EEPKT1_S8_PKS2_PKT3_PKT4_S5_PT5_21rocsparse_index_base_b,comdat
.Lfunc_end236:
	.size	_ZN9rocsparseL21csrmvn_general_kernelILj256ELj64Eii18rocsparse_bfloat16S1_ffEEvbT2_NS_24const_host_device_scalarIT6_EEPKT1_S8_PKS2_PKT3_PKT4_S5_PT5_21rocsparse_index_base_b, .Lfunc_end236-_ZN9rocsparseL21csrmvn_general_kernelILj256ELj64Eii18rocsparse_bfloat16S1_ffEEvbT2_NS_24const_host_device_scalarIT6_EEPKT1_S8_PKS2_PKT3_PKT4_S5_PT5_21rocsparse_index_base_b
                                        ; -- End function
	.set _ZN9rocsparseL21csrmvn_general_kernelILj256ELj64Eii18rocsparse_bfloat16S1_ffEEvbT2_NS_24const_host_device_scalarIT6_EEPKT1_S8_PKS2_PKT3_PKT4_S5_PT5_21rocsparse_index_base_b.num_vgpr, 13
	.set _ZN9rocsparseL21csrmvn_general_kernelILj256ELj64Eii18rocsparse_bfloat16S1_ffEEvbT2_NS_24const_host_device_scalarIT6_EEPKT1_S8_PKS2_PKT3_PKT4_S5_PT5_21rocsparse_index_base_b.num_agpr, 0
	.set _ZN9rocsparseL21csrmvn_general_kernelILj256ELj64Eii18rocsparse_bfloat16S1_ffEEvbT2_NS_24const_host_device_scalarIT6_EEPKT1_S8_PKS2_PKT3_PKT4_S5_PT5_21rocsparse_index_base_b.numbered_sgpr, 22
	.set _ZN9rocsparseL21csrmvn_general_kernelILj256ELj64Eii18rocsparse_bfloat16S1_ffEEvbT2_NS_24const_host_device_scalarIT6_EEPKT1_S8_PKS2_PKT3_PKT4_S5_PT5_21rocsparse_index_base_b.num_named_barrier, 0
	.set _ZN9rocsparseL21csrmvn_general_kernelILj256ELj64Eii18rocsparse_bfloat16S1_ffEEvbT2_NS_24const_host_device_scalarIT6_EEPKT1_S8_PKS2_PKT3_PKT4_S5_PT5_21rocsparse_index_base_b.private_seg_size, 0
	.set _ZN9rocsparseL21csrmvn_general_kernelILj256ELj64Eii18rocsparse_bfloat16S1_ffEEvbT2_NS_24const_host_device_scalarIT6_EEPKT1_S8_PKS2_PKT3_PKT4_S5_PT5_21rocsparse_index_base_b.uses_vcc, 1
	.set _ZN9rocsparseL21csrmvn_general_kernelILj256ELj64Eii18rocsparse_bfloat16S1_ffEEvbT2_NS_24const_host_device_scalarIT6_EEPKT1_S8_PKS2_PKT3_PKT4_S5_PT5_21rocsparse_index_base_b.uses_flat_scratch, 0
	.set _ZN9rocsparseL21csrmvn_general_kernelILj256ELj64Eii18rocsparse_bfloat16S1_ffEEvbT2_NS_24const_host_device_scalarIT6_EEPKT1_S8_PKS2_PKT3_PKT4_S5_PT5_21rocsparse_index_base_b.has_dyn_sized_stack, 0
	.set _ZN9rocsparseL21csrmvn_general_kernelILj256ELj64Eii18rocsparse_bfloat16S1_ffEEvbT2_NS_24const_host_device_scalarIT6_EEPKT1_S8_PKS2_PKT3_PKT4_S5_PT5_21rocsparse_index_base_b.has_recursion, 0
	.set _ZN9rocsparseL21csrmvn_general_kernelILj256ELj64Eii18rocsparse_bfloat16S1_ffEEvbT2_NS_24const_host_device_scalarIT6_EEPKT1_S8_PKS2_PKT3_PKT4_S5_PT5_21rocsparse_index_base_b.has_indirect_call, 0
	.section	.AMDGPU.csdata,"",@progbits
; Kernel info:
; codeLenInByte = 824
; TotalNumSgprs: 24
; NumVgprs: 13
; ScratchSize: 0
; MemoryBound: 0
; FloatMode: 240
; IeeeMode: 1
; LDSByteSize: 0 bytes/workgroup (compile time only)
; SGPRBlocks: 0
; VGPRBlocks: 0
; NumSGPRsForWavesPerEU: 24
; NumVGPRsForWavesPerEU: 13
; NamedBarCnt: 0
; Occupancy: 16
; WaveLimiterHint : 1
; COMPUTE_PGM_RSRC2:SCRATCH_EN: 0
; COMPUTE_PGM_RSRC2:USER_SGPR: 2
; COMPUTE_PGM_RSRC2:TRAP_HANDLER: 0
; COMPUTE_PGM_RSRC2:TGID_X_EN: 1
; COMPUTE_PGM_RSRC2:TGID_Y_EN: 0
; COMPUTE_PGM_RSRC2:TGID_Z_EN: 0
; COMPUTE_PGM_RSRC2:TIDIG_COMP_CNT: 0
	.section	.text._ZN9rocsparseL21csrmvt_general_kernelILj256ELj4Eii18rocsparse_bfloat16S1_ffEEvbbT2_NS_24const_host_device_scalarIT6_EEPKT1_S8_PKS2_PKT3_PKT4_PT5_21rocsparse_index_base_b,"axG",@progbits,_ZN9rocsparseL21csrmvt_general_kernelILj256ELj4Eii18rocsparse_bfloat16S1_ffEEvbbT2_NS_24const_host_device_scalarIT6_EEPKT1_S8_PKS2_PKT3_PKT4_PT5_21rocsparse_index_base_b,comdat
	.globl	_ZN9rocsparseL21csrmvt_general_kernelILj256ELj4Eii18rocsparse_bfloat16S1_ffEEvbbT2_NS_24const_host_device_scalarIT6_EEPKT1_S8_PKS2_PKT3_PKT4_PT5_21rocsparse_index_base_b ; -- Begin function _ZN9rocsparseL21csrmvt_general_kernelILj256ELj4Eii18rocsparse_bfloat16S1_ffEEvbbT2_NS_24const_host_device_scalarIT6_EEPKT1_S8_PKS2_PKT3_PKT4_PT5_21rocsparse_index_base_b
	.p2align	8
	.type	_ZN9rocsparseL21csrmvt_general_kernelILj256ELj4Eii18rocsparse_bfloat16S1_ffEEvbbT2_NS_24const_host_device_scalarIT6_EEPKT1_S8_PKS2_PKT3_PKT4_PT5_21rocsparse_index_base_b,@function
_ZN9rocsparseL21csrmvt_general_kernelILj256ELj4Eii18rocsparse_bfloat16S1_ffEEvbbT2_NS_24const_host_device_scalarIT6_EEPKT1_S8_PKS2_PKT3_PKT4_PT5_21rocsparse_index_base_b: ; @_ZN9rocsparseL21csrmvt_general_kernelILj256ELj4Eii18rocsparse_bfloat16S1_ffEEvbbT2_NS_24const_host_device_scalarIT6_EEPKT1_S8_PKS2_PKT3_PKT4_PT5_21rocsparse_index_base_b
; %bb.0:
	s_clause 0x1
	s_load_b64 s[2:3], s[0:1], 0x40
	s_load_b128 s[12:15], s[0:1], 0x8
	s_wait_kmcnt 0x0
	s_bitcmp1_b32 s3, 0
	s_cselect_b32 s3, -1, 0
	s_delay_alu instid0(SALU_CYCLE_1)
	s_and_b32 vcc_lo, exec_lo, s3
	s_cbranch_vccnz .LBB237_2
; %bb.1:
	s_load_b32 s12, s[12:13], 0x0
.LBB237_2:
	s_wait_kmcnt 0x0
	s_cmp_eq_f32 s12, 0
	s_cbranch_scc1 .LBB237_20
; %bb.3:
	s_clause 0x3
	s_load_b64 s[16:17], s[0:1], 0x0
	s_load_b32 s3, s[0:1], 0x48
	s_load_b64 s[18:19], s[0:1], 0x38
	s_load_b256 s[4:11], s[0:1], 0x18
	s_wait_xcnt 0x0
	s_bfe_u32 s0, ttmp6, 0x4000c
	s_and_b32 s13, ttmp6, 15
	s_add_co_i32 s0, s0, 1
	s_getreg_b32 s20, hwreg(HW_REG_IB_STS2, 6, 4)
	s_mul_i32 s0, ttmp9, s0
	v_and_b32_e32 v3, 3, v0
	s_add_co_i32 s13, s13, s0
	s_wait_kmcnt 0x0
	s_and_b32 s16, s16, 1
	s_lshl_b32 s1, s3, 6
	s_cmp_eq_u32 s20, 0
	s_mov_b32 s3, -1
	s_cselect_b32 s0, ttmp9, s13
	s_cmp_eq_u32 s16, 0
	v_lshl_or_b32 v1, s0, 8, v0
	s_delay_alu instid0(VALU_DEP_1) | instskip(NEXT) | instid1(VALU_DEP_1)
	v_lshrrev_b32_e32 v2, 2, v1
	v_cmp_gt_i32_e64 s0, s17, v2
	s_cbranch_scc0 .LBB237_11
; %bb.4:
	s_and_saveexec_b32 s3, s0
	s_cbranch_execz .LBB237_10
; %bb.5:
	v_subrev_nc_u32_e32 v4, s2, v3
	v_mov_b32_e32 v0, v2
	s_mov_b32 s13, 0
	s_branch .LBB237_7
.LBB237_6:                              ;   in Loop: Header=BB237_7 Depth=1
	s_or_b32 exec_lo, exec_lo, s16
	v_add_nc_u32_e32 v0, s1, v0
	s_delay_alu instid0(VALU_DEP_1) | instskip(SKIP_1) | instid1(SALU_CYCLE_1)
	v_cmp_le_i32_e32 vcc_lo, s17, v0
	s_or_b32 s13, vcc_lo, s13
	s_and_not1_b32 exec_lo, exec_lo, s13
	s_cbranch_execz .LBB237_10
.LBB237_7:                              ; =>This Loop Header: Depth=1
                                        ;     Child Loop BB237_9 Depth 2
	s_clause 0x1
	global_load_b32 v1, v0, s[4:5] scale_offset
	global_load_b32 v6, v0, s[14:15] scale_offset
	s_mov_b32 s16, exec_lo
	s_wait_loadcnt 0x1
	v_subrev_nc_u32_e32 v5, s2, v1
	s_wait_loadcnt 0x0
	v_add_nc_u32_e32 v6, v6, v4
	s_wait_xcnt 0x0
	s_delay_alu instid0(VALU_DEP_1)
	v_cmpx_lt_i32_e64 v6, v5
	s_cbranch_execz .LBB237_6
; %bb.8:                                ;   in Loop: Header=BB237_7 Depth=1
	v_ashrrev_i32_e32 v1, 31, v0
	s_mov_b32 s20, 0
	s_delay_alu instid0(VALU_DEP_1) | instskip(SKIP_3) | instid1(VALU_DEP_1)
	v_lshl_add_u64 v[8:9], v[0:1], 1, s[10:11]
	global_load_u16 v1, v[8:9], off
	s_wait_loadcnt 0x0
	v_lshlrev_b32_e32 v1, 16, v1
	v_mul_f32_e32 v1, s12, v1
.LBB237_9:                              ;   Parent Loop BB237_7 Depth=1
                                        ; =>  This Inner Loop Header: Depth=2
	s_clause 0x1
	global_load_u16 v7, v6, s[8:9] scale_offset
	global_load_b32 v8, v6, s[6:7] scale_offset
	s_wait_xcnt 0x0
	v_add_nc_u32_e32 v6, 4, v6
	s_delay_alu instid0(VALU_DEP_1)
	v_cmp_ge_i32_e32 vcc_lo, v6, v5
	s_or_b32 s20, vcc_lo, s20
	s_wait_loadcnt 0x1
	v_lshlrev_b32_e32 v7, 16, v7
	s_wait_loadcnt 0x0
	v_subrev_nc_u32_e32 v8, s2, v8
	s_delay_alu instid0(VALU_DEP_2)
	v_mul_f32_e32 v7, v1, v7
	global_atomic_add_f32 v8, v7, s[18:19] scale_offset scope:SCOPE_DEV
	s_wait_xcnt 0x0
	s_and_not1_b32 exec_lo, exec_lo, s20
	s_cbranch_execnz .LBB237_9
	s_branch .LBB237_6
.LBB237_10:
	s_or_b32 exec_lo, exec_lo, s3
	s_mov_b32 s3, 0
.LBB237_11:
	s_delay_alu instid0(SALU_CYCLE_1)
	s_and_not1_b32 vcc_lo, exec_lo, s3
	s_cbranch_vccnz .LBB237_20
; %bb.12:
	s_and_saveexec_b32 s3, s0
	s_cbranch_execz .LBB237_20
; %bb.13:
	v_subrev_nc_u32_e32 v4, s2, v3
	s_mov_b32 s0, 0
	s_branch .LBB237_15
.LBB237_14:                             ;   in Loop: Header=BB237_15 Depth=1
	s_or_b32 exec_lo, exec_lo, s3
	v_add_nc_u32_e32 v2, s1, v2
	s_delay_alu instid0(VALU_DEP_1) | instskip(SKIP_1) | instid1(SALU_CYCLE_1)
	v_cmp_le_i32_e32 vcc_lo, s17, v2
	s_or_b32 s0, vcc_lo, s0
	s_and_not1_b32 exec_lo, exec_lo, s0
	s_cbranch_execz .LBB237_20
.LBB237_15:                             ; =>This Loop Header: Depth=1
                                        ;     Child Loop BB237_18 Depth 2
	s_clause 0x1
	global_load_b32 v0, v2, s[4:5] scale_offset
	global_load_b32 v1, v2, s[14:15] scale_offset
	s_mov_b32 s3, exec_lo
	s_wait_loadcnt 0x1
	v_subrev_nc_u32_e32 v5, s2, v0
	s_wait_loadcnt 0x0
	v_add_nc_u32_e32 v0, v1, v4
	s_wait_xcnt 0x0
	s_delay_alu instid0(VALU_DEP_1)
	v_cmpx_lt_i32_e64 v0, v5
	s_cbranch_execz .LBB237_14
; %bb.16:                               ;   in Loop: Header=BB237_15 Depth=1
	v_ashrrev_i32_e32 v3, 31, v2
	s_mov_b32 s13, 0
	s_delay_alu instid0(VALU_DEP_1) | instskip(SKIP_3) | instid1(VALU_DEP_1)
	v_lshl_add_u64 v[6:7], v[2:3], 1, s[10:11]
	global_load_u16 v1, v[6:7], off
	s_wait_loadcnt 0x0
	v_lshlrev_b32_e32 v1, 16, v1
	v_mul_f32_e32 v3, s12, v1
	s_branch .LBB237_18
.LBB237_17:                             ;   in Loop: Header=BB237_18 Depth=2
	s_wait_xcnt 0x0
	s_or_b32 exec_lo, exec_lo, s16
	v_add_nc_u32_e32 v0, 4, v0
	s_delay_alu instid0(VALU_DEP_1) | instskip(SKIP_1) | instid1(SALU_CYCLE_1)
	v_cmp_ge_i32_e32 vcc_lo, v0, v5
	s_or_b32 s13, vcc_lo, s13
	s_and_not1_b32 exec_lo, exec_lo, s13
	s_cbranch_execz .LBB237_14
.LBB237_18:                             ;   Parent Loop BB237_15 Depth=1
                                        ; =>  This Inner Loop Header: Depth=2
	global_load_b32 v1, v0, s[6:7] scale_offset
	s_mov_b32 s16, exec_lo
	s_wait_loadcnt 0x0
	s_wait_xcnt 0x1
	v_subrev_nc_u32_e32 v6, s2, v1
	v_ashrrev_i32_e32 v1, 31, v0
	s_wait_xcnt 0x0
	s_delay_alu instid0(VALU_DEP_2)
	v_cmpx_ne_u32_e64 v6, v2
	s_cbranch_execz .LBB237_17
; %bb.19:                               ;   in Loop: Header=BB237_18 Depth=2
	s_delay_alu instid0(VALU_DEP_2) | instskip(SKIP_3) | instid1(VALU_DEP_1)
	v_lshl_add_u64 v[8:9], v[0:1], 1, s[8:9]
	global_load_u16 v1, v[8:9], off
	s_wait_loadcnt 0x0
	v_lshlrev_b32_e32 v1, 16, v1
	v_mul_f32_e32 v1, v3, v1
	s_wait_xcnt 0x0
	global_atomic_add_f32 v6, v1, s[18:19] scale_offset scope:SCOPE_DEV
	s_branch .LBB237_17
.LBB237_20:
	s_endpgm
	.section	.rodata,"a",@progbits
	.p2align	6, 0x0
	.amdhsa_kernel _ZN9rocsparseL21csrmvt_general_kernelILj256ELj4Eii18rocsparse_bfloat16S1_ffEEvbbT2_NS_24const_host_device_scalarIT6_EEPKT1_S8_PKS2_PKT3_PKT4_PT5_21rocsparse_index_base_b
		.amdhsa_group_segment_fixed_size 0
		.amdhsa_private_segment_fixed_size 0
		.amdhsa_kernarg_size 328
		.amdhsa_user_sgpr_count 2
		.amdhsa_user_sgpr_dispatch_ptr 0
		.amdhsa_user_sgpr_queue_ptr 0
		.amdhsa_user_sgpr_kernarg_segment_ptr 1
		.amdhsa_user_sgpr_dispatch_id 0
		.amdhsa_user_sgpr_kernarg_preload_length 0
		.amdhsa_user_sgpr_kernarg_preload_offset 0
		.amdhsa_user_sgpr_private_segment_size 0
		.amdhsa_wavefront_size32 1
		.amdhsa_uses_dynamic_stack 0
		.amdhsa_enable_private_segment 0
		.amdhsa_system_sgpr_workgroup_id_x 1
		.amdhsa_system_sgpr_workgroup_id_y 0
		.amdhsa_system_sgpr_workgroup_id_z 0
		.amdhsa_system_sgpr_workgroup_info 0
		.amdhsa_system_vgpr_workitem_id 0
		.amdhsa_next_free_vgpr 10
		.amdhsa_next_free_sgpr 21
		.amdhsa_named_barrier_count 0
		.amdhsa_reserve_vcc 1
		.amdhsa_float_round_mode_32 0
		.amdhsa_float_round_mode_16_64 0
		.amdhsa_float_denorm_mode_32 3
		.amdhsa_float_denorm_mode_16_64 3
		.amdhsa_fp16_overflow 0
		.amdhsa_memory_ordered 1
		.amdhsa_forward_progress 1
		.amdhsa_inst_pref_size 7
		.amdhsa_round_robin_scheduling 0
		.amdhsa_exception_fp_ieee_invalid_op 0
		.amdhsa_exception_fp_denorm_src 0
		.amdhsa_exception_fp_ieee_div_zero 0
		.amdhsa_exception_fp_ieee_overflow 0
		.amdhsa_exception_fp_ieee_underflow 0
		.amdhsa_exception_fp_ieee_inexact 0
		.amdhsa_exception_int_div_zero 0
	.end_amdhsa_kernel
	.section	.text._ZN9rocsparseL21csrmvt_general_kernelILj256ELj4Eii18rocsparse_bfloat16S1_ffEEvbbT2_NS_24const_host_device_scalarIT6_EEPKT1_S8_PKS2_PKT3_PKT4_PT5_21rocsparse_index_base_b,"axG",@progbits,_ZN9rocsparseL21csrmvt_general_kernelILj256ELj4Eii18rocsparse_bfloat16S1_ffEEvbbT2_NS_24const_host_device_scalarIT6_EEPKT1_S8_PKS2_PKT3_PKT4_PT5_21rocsparse_index_base_b,comdat
.Lfunc_end237:
	.size	_ZN9rocsparseL21csrmvt_general_kernelILj256ELj4Eii18rocsparse_bfloat16S1_ffEEvbbT2_NS_24const_host_device_scalarIT6_EEPKT1_S8_PKS2_PKT3_PKT4_PT5_21rocsparse_index_base_b, .Lfunc_end237-_ZN9rocsparseL21csrmvt_general_kernelILj256ELj4Eii18rocsparse_bfloat16S1_ffEEvbbT2_NS_24const_host_device_scalarIT6_EEPKT1_S8_PKS2_PKT3_PKT4_PT5_21rocsparse_index_base_b
                                        ; -- End function
	.set _ZN9rocsparseL21csrmvt_general_kernelILj256ELj4Eii18rocsparse_bfloat16S1_ffEEvbbT2_NS_24const_host_device_scalarIT6_EEPKT1_S8_PKS2_PKT3_PKT4_PT5_21rocsparse_index_base_b.num_vgpr, 10
	.set _ZN9rocsparseL21csrmvt_general_kernelILj256ELj4Eii18rocsparse_bfloat16S1_ffEEvbbT2_NS_24const_host_device_scalarIT6_EEPKT1_S8_PKS2_PKT3_PKT4_PT5_21rocsparse_index_base_b.num_agpr, 0
	.set _ZN9rocsparseL21csrmvt_general_kernelILj256ELj4Eii18rocsparse_bfloat16S1_ffEEvbbT2_NS_24const_host_device_scalarIT6_EEPKT1_S8_PKS2_PKT3_PKT4_PT5_21rocsparse_index_base_b.numbered_sgpr, 21
	.set _ZN9rocsparseL21csrmvt_general_kernelILj256ELj4Eii18rocsparse_bfloat16S1_ffEEvbbT2_NS_24const_host_device_scalarIT6_EEPKT1_S8_PKS2_PKT3_PKT4_PT5_21rocsparse_index_base_b.num_named_barrier, 0
	.set _ZN9rocsparseL21csrmvt_general_kernelILj256ELj4Eii18rocsparse_bfloat16S1_ffEEvbbT2_NS_24const_host_device_scalarIT6_EEPKT1_S8_PKS2_PKT3_PKT4_PT5_21rocsparse_index_base_b.private_seg_size, 0
	.set _ZN9rocsparseL21csrmvt_general_kernelILj256ELj4Eii18rocsparse_bfloat16S1_ffEEvbbT2_NS_24const_host_device_scalarIT6_EEPKT1_S8_PKS2_PKT3_PKT4_PT5_21rocsparse_index_base_b.uses_vcc, 1
	.set _ZN9rocsparseL21csrmvt_general_kernelILj256ELj4Eii18rocsparse_bfloat16S1_ffEEvbbT2_NS_24const_host_device_scalarIT6_EEPKT1_S8_PKS2_PKT3_PKT4_PT5_21rocsparse_index_base_b.uses_flat_scratch, 0
	.set _ZN9rocsparseL21csrmvt_general_kernelILj256ELj4Eii18rocsparse_bfloat16S1_ffEEvbbT2_NS_24const_host_device_scalarIT6_EEPKT1_S8_PKS2_PKT3_PKT4_PT5_21rocsparse_index_base_b.has_dyn_sized_stack, 0
	.set _ZN9rocsparseL21csrmvt_general_kernelILj256ELj4Eii18rocsparse_bfloat16S1_ffEEvbbT2_NS_24const_host_device_scalarIT6_EEPKT1_S8_PKS2_PKT3_PKT4_PT5_21rocsparse_index_base_b.has_recursion, 0
	.set _ZN9rocsparseL21csrmvt_general_kernelILj256ELj4Eii18rocsparse_bfloat16S1_ffEEvbbT2_NS_24const_host_device_scalarIT6_EEPKT1_S8_PKS2_PKT3_PKT4_PT5_21rocsparse_index_base_b.has_indirect_call, 0
	.section	.AMDGPU.csdata,"",@progbits
; Kernel info:
; codeLenInByte = 784
; TotalNumSgprs: 23
; NumVgprs: 10
; ScratchSize: 0
; MemoryBound: 0
; FloatMode: 240
; IeeeMode: 1
; LDSByteSize: 0 bytes/workgroup (compile time only)
; SGPRBlocks: 0
; VGPRBlocks: 0
; NumSGPRsForWavesPerEU: 23
; NumVGPRsForWavesPerEU: 10
; NamedBarCnt: 0
; Occupancy: 16
; WaveLimiterHint : 1
; COMPUTE_PGM_RSRC2:SCRATCH_EN: 0
; COMPUTE_PGM_RSRC2:USER_SGPR: 2
; COMPUTE_PGM_RSRC2:TRAP_HANDLER: 0
; COMPUTE_PGM_RSRC2:TGID_X_EN: 1
; COMPUTE_PGM_RSRC2:TGID_Y_EN: 0
; COMPUTE_PGM_RSRC2:TGID_Z_EN: 0
; COMPUTE_PGM_RSRC2:TIDIG_COMP_CNT: 0
	.section	.text._ZN9rocsparseL21csrmvt_general_kernelILj256ELj8Eii18rocsparse_bfloat16S1_ffEEvbbT2_NS_24const_host_device_scalarIT6_EEPKT1_S8_PKS2_PKT3_PKT4_PT5_21rocsparse_index_base_b,"axG",@progbits,_ZN9rocsparseL21csrmvt_general_kernelILj256ELj8Eii18rocsparse_bfloat16S1_ffEEvbbT2_NS_24const_host_device_scalarIT6_EEPKT1_S8_PKS2_PKT3_PKT4_PT5_21rocsparse_index_base_b,comdat
	.globl	_ZN9rocsparseL21csrmvt_general_kernelILj256ELj8Eii18rocsparse_bfloat16S1_ffEEvbbT2_NS_24const_host_device_scalarIT6_EEPKT1_S8_PKS2_PKT3_PKT4_PT5_21rocsparse_index_base_b ; -- Begin function _ZN9rocsparseL21csrmvt_general_kernelILj256ELj8Eii18rocsparse_bfloat16S1_ffEEvbbT2_NS_24const_host_device_scalarIT6_EEPKT1_S8_PKS2_PKT3_PKT4_PT5_21rocsparse_index_base_b
	.p2align	8
	.type	_ZN9rocsparseL21csrmvt_general_kernelILj256ELj8Eii18rocsparse_bfloat16S1_ffEEvbbT2_NS_24const_host_device_scalarIT6_EEPKT1_S8_PKS2_PKT3_PKT4_PT5_21rocsparse_index_base_b,@function
_ZN9rocsparseL21csrmvt_general_kernelILj256ELj8Eii18rocsparse_bfloat16S1_ffEEvbbT2_NS_24const_host_device_scalarIT6_EEPKT1_S8_PKS2_PKT3_PKT4_PT5_21rocsparse_index_base_b: ; @_ZN9rocsparseL21csrmvt_general_kernelILj256ELj8Eii18rocsparse_bfloat16S1_ffEEvbbT2_NS_24const_host_device_scalarIT6_EEPKT1_S8_PKS2_PKT3_PKT4_PT5_21rocsparse_index_base_b
; %bb.0:
	s_clause 0x1
	s_load_b64 s[2:3], s[0:1], 0x40
	s_load_b128 s[12:15], s[0:1], 0x8
	s_wait_kmcnt 0x0
	s_bitcmp1_b32 s3, 0
	s_cselect_b32 s3, -1, 0
	s_delay_alu instid0(SALU_CYCLE_1)
	s_and_b32 vcc_lo, exec_lo, s3
	s_cbranch_vccnz .LBB238_2
; %bb.1:
	s_load_b32 s12, s[12:13], 0x0
.LBB238_2:
	s_wait_kmcnt 0x0
	s_cmp_eq_f32 s12, 0
	s_cbranch_scc1 .LBB238_20
; %bb.3:
	s_clause 0x3
	s_load_b64 s[16:17], s[0:1], 0x0
	s_load_b32 s3, s[0:1], 0x48
	s_load_b64 s[18:19], s[0:1], 0x38
	s_load_b256 s[4:11], s[0:1], 0x18
	s_wait_xcnt 0x0
	s_bfe_u32 s0, ttmp6, 0x4000c
	s_and_b32 s13, ttmp6, 15
	s_add_co_i32 s0, s0, 1
	s_getreg_b32 s20, hwreg(HW_REG_IB_STS2, 6, 4)
	s_mul_i32 s0, ttmp9, s0
	v_and_b32_e32 v3, 7, v0
	s_add_co_i32 s13, s13, s0
	s_wait_kmcnt 0x0
	s_and_b32 s16, s16, 1
	s_lshl_b32 s1, s3, 5
	s_cmp_eq_u32 s20, 0
	s_mov_b32 s3, -1
	s_cselect_b32 s0, ttmp9, s13
	s_cmp_eq_u32 s16, 0
	v_lshl_or_b32 v1, s0, 8, v0
	s_delay_alu instid0(VALU_DEP_1) | instskip(NEXT) | instid1(VALU_DEP_1)
	v_lshrrev_b32_e32 v2, 3, v1
	v_cmp_gt_i32_e64 s0, s17, v2
	s_cbranch_scc0 .LBB238_11
; %bb.4:
	s_and_saveexec_b32 s3, s0
	s_cbranch_execz .LBB238_10
; %bb.5:
	v_subrev_nc_u32_e32 v4, s2, v3
	v_mov_b32_e32 v0, v2
	s_mov_b32 s13, 0
	s_branch .LBB238_7
.LBB238_6:                              ;   in Loop: Header=BB238_7 Depth=1
	s_or_b32 exec_lo, exec_lo, s16
	v_add_nc_u32_e32 v0, s1, v0
	s_delay_alu instid0(VALU_DEP_1) | instskip(SKIP_1) | instid1(SALU_CYCLE_1)
	v_cmp_le_i32_e32 vcc_lo, s17, v0
	s_or_b32 s13, vcc_lo, s13
	s_and_not1_b32 exec_lo, exec_lo, s13
	s_cbranch_execz .LBB238_10
.LBB238_7:                              ; =>This Loop Header: Depth=1
                                        ;     Child Loop BB238_9 Depth 2
	s_clause 0x1
	global_load_b32 v1, v0, s[4:5] scale_offset
	global_load_b32 v6, v0, s[14:15] scale_offset
	s_mov_b32 s16, exec_lo
	s_wait_loadcnt 0x1
	v_subrev_nc_u32_e32 v5, s2, v1
	s_wait_loadcnt 0x0
	v_add_nc_u32_e32 v6, v6, v4
	s_wait_xcnt 0x0
	s_delay_alu instid0(VALU_DEP_1)
	v_cmpx_lt_i32_e64 v6, v5
	s_cbranch_execz .LBB238_6
; %bb.8:                                ;   in Loop: Header=BB238_7 Depth=1
	v_ashrrev_i32_e32 v1, 31, v0
	s_mov_b32 s20, 0
	s_delay_alu instid0(VALU_DEP_1) | instskip(SKIP_3) | instid1(VALU_DEP_1)
	v_lshl_add_u64 v[8:9], v[0:1], 1, s[10:11]
	global_load_u16 v1, v[8:9], off
	s_wait_loadcnt 0x0
	v_lshlrev_b32_e32 v1, 16, v1
	v_mul_f32_e32 v1, s12, v1
.LBB238_9:                              ;   Parent Loop BB238_7 Depth=1
                                        ; =>  This Inner Loop Header: Depth=2
	s_clause 0x1
	global_load_u16 v7, v6, s[8:9] scale_offset
	global_load_b32 v8, v6, s[6:7] scale_offset
	s_wait_xcnt 0x0
	v_add_nc_u32_e32 v6, 8, v6
	s_delay_alu instid0(VALU_DEP_1)
	v_cmp_ge_i32_e32 vcc_lo, v6, v5
	s_or_b32 s20, vcc_lo, s20
	s_wait_loadcnt 0x1
	v_lshlrev_b32_e32 v7, 16, v7
	s_wait_loadcnt 0x0
	v_subrev_nc_u32_e32 v8, s2, v8
	s_delay_alu instid0(VALU_DEP_2)
	v_mul_f32_e32 v7, v1, v7
	global_atomic_add_f32 v8, v7, s[18:19] scale_offset scope:SCOPE_DEV
	s_wait_xcnt 0x0
	s_and_not1_b32 exec_lo, exec_lo, s20
	s_cbranch_execnz .LBB238_9
	s_branch .LBB238_6
.LBB238_10:
	s_or_b32 exec_lo, exec_lo, s3
	s_mov_b32 s3, 0
.LBB238_11:
	s_delay_alu instid0(SALU_CYCLE_1)
	s_and_not1_b32 vcc_lo, exec_lo, s3
	s_cbranch_vccnz .LBB238_20
; %bb.12:
	s_and_saveexec_b32 s3, s0
	s_cbranch_execz .LBB238_20
; %bb.13:
	v_subrev_nc_u32_e32 v4, s2, v3
	s_mov_b32 s0, 0
	s_branch .LBB238_15
.LBB238_14:                             ;   in Loop: Header=BB238_15 Depth=1
	s_or_b32 exec_lo, exec_lo, s3
	v_add_nc_u32_e32 v2, s1, v2
	s_delay_alu instid0(VALU_DEP_1) | instskip(SKIP_1) | instid1(SALU_CYCLE_1)
	v_cmp_le_i32_e32 vcc_lo, s17, v2
	s_or_b32 s0, vcc_lo, s0
	s_and_not1_b32 exec_lo, exec_lo, s0
	s_cbranch_execz .LBB238_20
.LBB238_15:                             ; =>This Loop Header: Depth=1
                                        ;     Child Loop BB238_18 Depth 2
	s_clause 0x1
	global_load_b32 v0, v2, s[4:5] scale_offset
	global_load_b32 v1, v2, s[14:15] scale_offset
	s_mov_b32 s3, exec_lo
	s_wait_loadcnt 0x1
	v_subrev_nc_u32_e32 v5, s2, v0
	s_wait_loadcnt 0x0
	v_add_nc_u32_e32 v0, v1, v4
	s_wait_xcnt 0x0
	s_delay_alu instid0(VALU_DEP_1)
	v_cmpx_lt_i32_e64 v0, v5
	s_cbranch_execz .LBB238_14
; %bb.16:                               ;   in Loop: Header=BB238_15 Depth=1
	v_ashrrev_i32_e32 v3, 31, v2
	s_mov_b32 s13, 0
	s_delay_alu instid0(VALU_DEP_1) | instskip(SKIP_3) | instid1(VALU_DEP_1)
	v_lshl_add_u64 v[6:7], v[2:3], 1, s[10:11]
	global_load_u16 v1, v[6:7], off
	s_wait_loadcnt 0x0
	v_lshlrev_b32_e32 v1, 16, v1
	v_mul_f32_e32 v3, s12, v1
	s_branch .LBB238_18
.LBB238_17:                             ;   in Loop: Header=BB238_18 Depth=2
	s_wait_xcnt 0x0
	s_or_b32 exec_lo, exec_lo, s16
	v_add_nc_u32_e32 v0, 8, v0
	s_delay_alu instid0(VALU_DEP_1) | instskip(SKIP_1) | instid1(SALU_CYCLE_1)
	v_cmp_ge_i32_e32 vcc_lo, v0, v5
	s_or_b32 s13, vcc_lo, s13
	s_and_not1_b32 exec_lo, exec_lo, s13
	s_cbranch_execz .LBB238_14
.LBB238_18:                             ;   Parent Loop BB238_15 Depth=1
                                        ; =>  This Inner Loop Header: Depth=2
	global_load_b32 v1, v0, s[6:7] scale_offset
	s_mov_b32 s16, exec_lo
	s_wait_loadcnt 0x0
	s_wait_xcnt 0x1
	v_subrev_nc_u32_e32 v6, s2, v1
	v_ashrrev_i32_e32 v1, 31, v0
	s_wait_xcnt 0x0
	s_delay_alu instid0(VALU_DEP_2)
	v_cmpx_ne_u32_e64 v6, v2
	s_cbranch_execz .LBB238_17
; %bb.19:                               ;   in Loop: Header=BB238_18 Depth=2
	s_delay_alu instid0(VALU_DEP_2) | instskip(SKIP_3) | instid1(VALU_DEP_1)
	v_lshl_add_u64 v[8:9], v[0:1], 1, s[8:9]
	global_load_u16 v1, v[8:9], off
	s_wait_loadcnt 0x0
	v_lshlrev_b32_e32 v1, 16, v1
	v_mul_f32_e32 v1, v3, v1
	s_wait_xcnt 0x0
	global_atomic_add_f32 v6, v1, s[18:19] scale_offset scope:SCOPE_DEV
	s_branch .LBB238_17
.LBB238_20:
	s_endpgm
	.section	.rodata,"a",@progbits
	.p2align	6, 0x0
	.amdhsa_kernel _ZN9rocsparseL21csrmvt_general_kernelILj256ELj8Eii18rocsparse_bfloat16S1_ffEEvbbT2_NS_24const_host_device_scalarIT6_EEPKT1_S8_PKS2_PKT3_PKT4_PT5_21rocsparse_index_base_b
		.amdhsa_group_segment_fixed_size 0
		.amdhsa_private_segment_fixed_size 0
		.amdhsa_kernarg_size 328
		.amdhsa_user_sgpr_count 2
		.amdhsa_user_sgpr_dispatch_ptr 0
		.amdhsa_user_sgpr_queue_ptr 0
		.amdhsa_user_sgpr_kernarg_segment_ptr 1
		.amdhsa_user_sgpr_dispatch_id 0
		.amdhsa_user_sgpr_kernarg_preload_length 0
		.amdhsa_user_sgpr_kernarg_preload_offset 0
		.amdhsa_user_sgpr_private_segment_size 0
		.amdhsa_wavefront_size32 1
		.amdhsa_uses_dynamic_stack 0
		.amdhsa_enable_private_segment 0
		.amdhsa_system_sgpr_workgroup_id_x 1
		.amdhsa_system_sgpr_workgroup_id_y 0
		.amdhsa_system_sgpr_workgroup_id_z 0
		.amdhsa_system_sgpr_workgroup_info 0
		.amdhsa_system_vgpr_workitem_id 0
		.amdhsa_next_free_vgpr 10
		.amdhsa_next_free_sgpr 21
		.amdhsa_named_barrier_count 0
		.amdhsa_reserve_vcc 1
		.amdhsa_float_round_mode_32 0
		.amdhsa_float_round_mode_16_64 0
		.amdhsa_float_denorm_mode_32 3
		.amdhsa_float_denorm_mode_16_64 3
		.amdhsa_fp16_overflow 0
		.amdhsa_memory_ordered 1
		.amdhsa_forward_progress 1
		.amdhsa_inst_pref_size 7
		.amdhsa_round_robin_scheduling 0
		.amdhsa_exception_fp_ieee_invalid_op 0
		.amdhsa_exception_fp_denorm_src 0
		.amdhsa_exception_fp_ieee_div_zero 0
		.amdhsa_exception_fp_ieee_overflow 0
		.amdhsa_exception_fp_ieee_underflow 0
		.amdhsa_exception_fp_ieee_inexact 0
		.amdhsa_exception_int_div_zero 0
	.end_amdhsa_kernel
	.section	.text._ZN9rocsparseL21csrmvt_general_kernelILj256ELj8Eii18rocsparse_bfloat16S1_ffEEvbbT2_NS_24const_host_device_scalarIT6_EEPKT1_S8_PKS2_PKT3_PKT4_PT5_21rocsparse_index_base_b,"axG",@progbits,_ZN9rocsparseL21csrmvt_general_kernelILj256ELj8Eii18rocsparse_bfloat16S1_ffEEvbbT2_NS_24const_host_device_scalarIT6_EEPKT1_S8_PKS2_PKT3_PKT4_PT5_21rocsparse_index_base_b,comdat
.Lfunc_end238:
	.size	_ZN9rocsparseL21csrmvt_general_kernelILj256ELj8Eii18rocsparse_bfloat16S1_ffEEvbbT2_NS_24const_host_device_scalarIT6_EEPKT1_S8_PKS2_PKT3_PKT4_PT5_21rocsparse_index_base_b, .Lfunc_end238-_ZN9rocsparseL21csrmvt_general_kernelILj256ELj8Eii18rocsparse_bfloat16S1_ffEEvbbT2_NS_24const_host_device_scalarIT6_EEPKT1_S8_PKS2_PKT3_PKT4_PT5_21rocsparse_index_base_b
                                        ; -- End function
	.set _ZN9rocsparseL21csrmvt_general_kernelILj256ELj8Eii18rocsparse_bfloat16S1_ffEEvbbT2_NS_24const_host_device_scalarIT6_EEPKT1_S8_PKS2_PKT3_PKT4_PT5_21rocsparse_index_base_b.num_vgpr, 10
	.set _ZN9rocsparseL21csrmvt_general_kernelILj256ELj8Eii18rocsparse_bfloat16S1_ffEEvbbT2_NS_24const_host_device_scalarIT6_EEPKT1_S8_PKS2_PKT3_PKT4_PT5_21rocsparse_index_base_b.num_agpr, 0
	.set _ZN9rocsparseL21csrmvt_general_kernelILj256ELj8Eii18rocsparse_bfloat16S1_ffEEvbbT2_NS_24const_host_device_scalarIT6_EEPKT1_S8_PKS2_PKT3_PKT4_PT5_21rocsparse_index_base_b.numbered_sgpr, 21
	.set _ZN9rocsparseL21csrmvt_general_kernelILj256ELj8Eii18rocsparse_bfloat16S1_ffEEvbbT2_NS_24const_host_device_scalarIT6_EEPKT1_S8_PKS2_PKT3_PKT4_PT5_21rocsparse_index_base_b.num_named_barrier, 0
	.set _ZN9rocsparseL21csrmvt_general_kernelILj256ELj8Eii18rocsparse_bfloat16S1_ffEEvbbT2_NS_24const_host_device_scalarIT6_EEPKT1_S8_PKS2_PKT3_PKT4_PT5_21rocsparse_index_base_b.private_seg_size, 0
	.set _ZN9rocsparseL21csrmvt_general_kernelILj256ELj8Eii18rocsparse_bfloat16S1_ffEEvbbT2_NS_24const_host_device_scalarIT6_EEPKT1_S8_PKS2_PKT3_PKT4_PT5_21rocsparse_index_base_b.uses_vcc, 1
	.set _ZN9rocsparseL21csrmvt_general_kernelILj256ELj8Eii18rocsparse_bfloat16S1_ffEEvbbT2_NS_24const_host_device_scalarIT6_EEPKT1_S8_PKS2_PKT3_PKT4_PT5_21rocsparse_index_base_b.uses_flat_scratch, 0
	.set _ZN9rocsparseL21csrmvt_general_kernelILj256ELj8Eii18rocsparse_bfloat16S1_ffEEvbbT2_NS_24const_host_device_scalarIT6_EEPKT1_S8_PKS2_PKT3_PKT4_PT5_21rocsparse_index_base_b.has_dyn_sized_stack, 0
	.set _ZN9rocsparseL21csrmvt_general_kernelILj256ELj8Eii18rocsparse_bfloat16S1_ffEEvbbT2_NS_24const_host_device_scalarIT6_EEPKT1_S8_PKS2_PKT3_PKT4_PT5_21rocsparse_index_base_b.has_recursion, 0
	.set _ZN9rocsparseL21csrmvt_general_kernelILj256ELj8Eii18rocsparse_bfloat16S1_ffEEvbbT2_NS_24const_host_device_scalarIT6_EEPKT1_S8_PKS2_PKT3_PKT4_PT5_21rocsparse_index_base_b.has_indirect_call, 0
	.section	.AMDGPU.csdata,"",@progbits
; Kernel info:
; codeLenInByte = 784
; TotalNumSgprs: 23
; NumVgprs: 10
; ScratchSize: 0
; MemoryBound: 0
; FloatMode: 240
; IeeeMode: 1
; LDSByteSize: 0 bytes/workgroup (compile time only)
; SGPRBlocks: 0
; VGPRBlocks: 0
; NumSGPRsForWavesPerEU: 23
; NumVGPRsForWavesPerEU: 10
; NamedBarCnt: 0
; Occupancy: 16
; WaveLimiterHint : 1
; COMPUTE_PGM_RSRC2:SCRATCH_EN: 0
; COMPUTE_PGM_RSRC2:USER_SGPR: 2
; COMPUTE_PGM_RSRC2:TRAP_HANDLER: 0
; COMPUTE_PGM_RSRC2:TGID_X_EN: 1
; COMPUTE_PGM_RSRC2:TGID_Y_EN: 0
; COMPUTE_PGM_RSRC2:TGID_Z_EN: 0
; COMPUTE_PGM_RSRC2:TIDIG_COMP_CNT: 0
	.section	.text._ZN9rocsparseL21csrmvt_general_kernelILj256ELj16Eii18rocsparse_bfloat16S1_ffEEvbbT2_NS_24const_host_device_scalarIT6_EEPKT1_S8_PKS2_PKT3_PKT4_PT5_21rocsparse_index_base_b,"axG",@progbits,_ZN9rocsparseL21csrmvt_general_kernelILj256ELj16Eii18rocsparse_bfloat16S1_ffEEvbbT2_NS_24const_host_device_scalarIT6_EEPKT1_S8_PKS2_PKT3_PKT4_PT5_21rocsparse_index_base_b,comdat
	.globl	_ZN9rocsparseL21csrmvt_general_kernelILj256ELj16Eii18rocsparse_bfloat16S1_ffEEvbbT2_NS_24const_host_device_scalarIT6_EEPKT1_S8_PKS2_PKT3_PKT4_PT5_21rocsparse_index_base_b ; -- Begin function _ZN9rocsparseL21csrmvt_general_kernelILj256ELj16Eii18rocsparse_bfloat16S1_ffEEvbbT2_NS_24const_host_device_scalarIT6_EEPKT1_S8_PKS2_PKT3_PKT4_PT5_21rocsparse_index_base_b
	.p2align	8
	.type	_ZN9rocsparseL21csrmvt_general_kernelILj256ELj16Eii18rocsparse_bfloat16S1_ffEEvbbT2_NS_24const_host_device_scalarIT6_EEPKT1_S8_PKS2_PKT3_PKT4_PT5_21rocsparse_index_base_b,@function
_ZN9rocsparseL21csrmvt_general_kernelILj256ELj16Eii18rocsparse_bfloat16S1_ffEEvbbT2_NS_24const_host_device_scalarIT6_EEPKT1_S8_PKS2_PKT3_PKT4_PT5_21rocsparse_index_base_b: ; @_ZN9rocsparseL21csrmvt_general_kernelILj256ELj16Eii18rocsparse_bfloat16S1_ffEEvbbT2_NS_24const_host_device_scalarIT6_EEPKT1_S8_PKS2_PKT3_PKT4_PT5_21rocsparse_index_base_b
; %bb.0:
	s_clause 0x1
	s_load_b64 s[2:3], s[0:1], 0x40
	s_load_b128 s[12:15], s[0:1], 0x8
	s_wait_kmcnt 0x0
	s_bitcmp1_b32 s3, 0
	s_cselect_b32 s3, -1, 0
	s_delay_alu instid0(SALU_CYCLE_1)
	s_and_b32 vcc_lo, exec_lo, s3
	s_cbranch_vccnz .LBB239_2
; %bb.1:
	s_load_b32 s12, s[12:13], 0x0
.LBB239_2:
	s_wait_kmcnt 0x0
	s_cmp_eq_f32 s12, 0
	s_cbranch_scc1 .LBB239_20
; %bb.3:
	s_clause 0x3
	s_load_b64 s[16:17], s[0:1], 0x0
	s_load_b32 s3, s[0:1], 0x48
	s_load_b64 s[18:19], s[0:1], 0x38
	s_load_b256 s[4:11], s[0:1], 0x18
	s_wait_xcnt 0x0
	s_bfe_u32 s0, ttmp6, 0x4000c
	s_and_b32 s13, ttmp6, 15
	s_add_co_i32 s0, s0, 1
	s_getreg_b32 s20, hwreg(HW_REG_IB_STS2, 6, 4)
	s_mul_i32 s0, ttmp9, s0
	v_and_b32_e32 v3, 15, v0
	s_add_co_i32 s13, s13, s0
	s_wait_kmcnt 0x0
	s_and_b32 s16, s16, 1
	s_lshl_b32 s1, s3, 4
	s_cmp_eq_u32 s20, 0
	s_mov_b32 s3, -1
	s_cselect_b32 s0, ttmp9, s13
	s_cmp_eq_u32 s16, 0
	v_lshl_or_b32 v1, s0, 8, v0
	s_delay_alu instid0(VALU_DEP_1) | instskip(NEXT) | instid1(VALU_DEP_1)
	v_lshrrev_b32_e32 v2, 4, v1
	v_cmp_gt_i32_e64 s0, s17, v2
	s_cbranch_scc0 .LBB239_11
; %bb.4:
	s_and_saveexec_b32 s3, s0
	s_cbranch_execz .LBB239_10
; %bb.5:
	v_subrev_nc_u32_e32 v4, s2, v3
	v_mov_b32_e32 v0, v2
	s_mov_b32 s13, 0
	s_branch .LBB239_7
.LBB239_6:                              ;   in Loop: Header=BB239_7 Depth=1
	s_or_b32 exec_lo, exec_lo, s16
	v_add_nc_u32_e32 v0, s1, v0
	s_delay_alu instid0(VALU_DEP_1) | instskip(SKIP_1) | instid1(SALU_CYCLE_1)
	v_cmp_le_i32_e32 vcc_lo, s17, v0
	s_or_b32 s13, vcc_lo, s13
	s_and_not1_b32 exec_lo, exec_lo, s13
	s_cbranch_execz .LBB239_10
.LBB239_7:                              ; =>This Loop Header: Depth=1
                                        ;     Child Loop BB239_9 Depth 2
	s_clause 0x1
	global_load_b32 v1, v0, s[4:5] scale_offset
	global_load_b32 v6, v0, s[14:15] scale_offset
	s_mov_b32 s16, exec_lo
	s_wait_loadcnt 0x1
	v_subrev_nc_u32_e32 v5, s2, v1
	s_wait_loadcnt 0x0
	v_add_nc_u32_e32 v6, v6, v4
	s_wait_xcnt 0x0
	s_delay_alu instid0(VALU_DEP_1)
	v_cmpx_lt_i32_e64 v6, v5
	s_cbranch_execz .LBB239_6
; %bb.8:                                ;   in Loop: Header=BB239_7 Depth=1
	v_ashrrev_i32_e32 v1, 31, v0
	s_mov_b32 s20, 0
	s_delay_alu instid0(VALU_DEP_1) | instskip(SKIP_3) | instid1(VALU_DEP_1)
	v_lshl_add_u64 v[8:9], v[0:1], 1, s[10:11]
	global_load_u16 v1, v[8:9], off
	s_wait_loadcnt 0x0
	v_lshlrev_b32_e32 v1, 16, v1
	v_mul_f32_e32 v1, s12, v1
.LBB239_9:                              ;   Parent Loop BB239_7 Depth=1
                                        ; =>  This Inner Loop Header: Depth=2
	s_clause 0x1
	global_load_u16 v7, v6, s[8:9] scale_offset
	global_load_b32 v8, v6, s[6:7] scale_offset
	s_wait_xcnt 0x0
	v_add_nc_u32_e32 v6, 16, v6
	s_delay_alu instid0(VALU_DEP_1)
	v_cmp_ge_i32_e32 vcc_lo, v6, v5
	s_or_b32 s20, vcc_lo, s20
	s_wait_loadcnt 0x1
	v_lshlrev_b32_e32 v7, 16, v7
	s_wait_loadcnt 0x0
	v_subrev_nc_u32_e32 v8, s2, v8
	s_delay_alu instid0(VALU_DEP_2)
	v_mul_f32_e32 v7, v1, v7
	global_atomic_add_f32 v8, v7, s[18:19] scale_offset scope:SCOPE_DEV
	s_wait_xcnt 0x0
	s_and_not1_b32 exec_lo, exec_lo, s20
	s_cbranch_execnz .LBB239_9
	s_branch .LBB239_6
.LBB239_10:
	s_or_b32 exec_lo, exec_lo, s3
	s_mov_b32 s3, 0
.LBB239_11:
	s_delay_alu instid0(SALU_CYCLE_1)
	s_and_not1_b32 vcc_lo, exec_lo, s3
	s_cbranch_vccnz .LBB239_20
; %bb.12:
	s_and_saveexec_b32 s3, s0
	s_cbranch_execz .LBB239_20
; %bb.13:
	v_subrev_nc_u32_e32 v4, s2, v3
	s_mov_b32 s0, 0
	s_branch .LBB239_15
.LBB239_14:                             ;   in Loop: Header=BB239_15 Depth=1
	s_or_b32 exec_lo, exec_lo, s3
	v_add_nc_u32_e32 v2, s1, v2
	s_delay_alu instid0(VALU_DEP_1) | instskip(SKIP_1) | instid1(SALU_CYCLE_1)
	v_cmp_le_i32_e32 vcc_lo, s17, v2
	s_or_b32 s0, vcc_lo, s0
	s_and_not1_b32 exec_lo, exec_lo, s0
	s_cbranch_execz .LBB239_20
.LBB239_15:                             ; =>This Loop Header: Depth=1
                                        ;     Child Loop BB239_18 Depth 2
	s_clause 0x1
	global_load_b32 v0, v2, s[4:5] scale_offset
	global_load_b32 v1, v2, s[14:15] scale_offset
	s_mov_b32 s3, exec_lo
	s_wait_loadcnt 0x1
	v_subrev_nc_u32_e32 v5, s2, v0
	s_wait_loadcnt 0x0
	v_add_nc_u32_e32 v0, v1, v4
	s_wait_xcnt 0x0
	s_delay_alu instid0(VALU_DEP_1)
	v_cmpx_lt_i32_e64 v0, v5
	s_cbranch_execz .LBB239_14
; %bb.16:                               ;   in Loop: Header=BB239_15 Depth=1
	v_ashrrev_i32_e32 v3, 31, v2
	s_mov_b32 s13, 0
	s_delay_alu instid0(VALU_DEP_1) | instskip(SKIP_3) | instid1(VALU_DEP_1)
	v_lshl_add_u64 v[6:7], v[2:3], 1, s[10:11]
	global_load_u16 v1, v[6:7], off
	s_wait_loadcnt 0x0
	v_lshlrev_b32_e32 v1, 16, v1
	v_mul_f32_e32 v3, s12, v1
	s_branch .LBB239_18
.LBB239_17:                             ;   in Loop: Header=BB239_18 Depth=2
	s_wait_xcnt 0x0
	s_or_b32 exec_lo, exec_lo, s16
	v_add_nc_u32_e32 v0, 16, v0
	s_delay_alu instid0(VALU_DEP_1) | instskip(SKIP_1) | instid1(SALU_CYCLE_1)
	v_cmp_ge_i32_e32 vcc_lo, v0, v5
	s_or_b32 s13, vcc_lo, s13
	s_and_not1_b32 exec_lo, exec_lo, s13
	s_cbranch_execz .LBB239_14
.LBB239_18:                             ;   Parent Loop BB239_15 Depth=1
                                        ; =>  This Inner Loop Header: Depth=2
	global_load_b32 v1, v0, s[6:7] scale_offset
	s_mov_b32 s16, exec_lo
	s_wait_loadcnt 0x0
	s_wait_xcnt 0x1
	v_subrev_nc_u32_e32 v6, s2, v1
	v_ashrrev_i32_e32 v1, 31, v0
	s_wait_xcnt 0x0
	s_delay_alu instid0(VALU_DEP_2)
	v_cmpx_ne_u32_e64 v6, v2
	s_cbranch_execz .LBB239_17
; %bb.19:                               ;   in Loop: Header=BB239_18 Depth=2
	s_delay_alu instid0(VALU_DEP_2) | instskip(SKIP_3) | instid1(VALU_DEP_1)
	v_lshl_add_u64 v[8:9], v[0:1], 1, s[8:9]
	global_load_u16 v1, v[8:9], off
	s_wait_loadcnt 0x0
	v_lshlrev_b32_e32 v1, 16, v1
	v_mul_f32_e32 v1, v3, v1
	s_wait_xcnt 0x0
	global_atomic_add_f32 v6, v1, s[18:19] scale_offset scope:SCOPE_DEV
	s_branch .LBB239_17
.LBB239_20:
	s_endpgm
	.section	.rodata,"a",@progbits
	.p2align	6, 0x0
	.amdhsa_kernel _ZN9rocsparseL21csrmvt_general_kernelILj256ELj16Eii18rocsparse_bfloat16S1_ffEEvbbT2_NS_24const_host_device_scalarIT6_EEPKT1_S8_PKS2_PKT3_PKT4_PT5_21rocsparse_index_base_b
		.amdhsa_group_segment_fixed_size 0
		.amdhsa_private_segment_fixed_size 0
		.amdhsa_kernarg_size 328
		.amdhsa_user_sgpr_count 2
		.amdhsa_user_sgpr_dispatch_ptr 0
		.amdhsa_user_sgpr_queue_ptr 0
		.amdhsa_user_sgpr_kernarg_segment_ptr 1
		.amdhsa_user_sgpr_dispatch_id 0
		.amdhsa_user_sgpr_kernarg_preload_length 0
		.amdhsa_user_sgpr_kernarg_preload_offset 0
		.amdhsa_user_sgpr_private_segment_size 0
		.amdhsa_wavefront_size32 1
		.amdhsa_uses_dynamic_stack 0
		.amdhsa_enable_private_segment 0
		.amdhsa_system_sgpr_workgroup_id_x 1
		.amdhsa_system_sgpr_workgroup_id_y 0
		.amdhsa_system_sgpr_workgroup_id_z 0
		.amdhsa_system_sgpr_workgroup_info 0
		.amdhsa_system_vgpr_workitem_id 0
		.amdhsa_next_free_vgpr 10
		.amdhsa_next_free_sgpr 21
		.amdhsa_named_barrier_count 0
		.amdhsa_reserve_vcc 1
		.amdhsa_float_round_mode_32 0
		.amdhsa_float_round_mode_16_64 0
		.amdhsa_float_denorm_mode_32 3
		.amdhsa_float_denorm_mode_16_64 3
		.amdhsa_fp16_overflow 0
		.amdhsa_memory_ordered 1
		.amdhsa_forward_progress 1
		.amdhsa_inst_pref_size 7
		.amdhsa_round_robin_scheduling 0
		.amdhsa_exception_fp_ieee_invalid_op 0
		.amdhsa_exception_fp_denorm_src 0
		.amdhsa_exception_fp_ieee_div_zero 0
		.amdhsa_exception_fp_ieee_overflow 0
		.amdhsa_exception_fp_ieee_underflow 0
		.amdhsa_exception_fp_ieee_inexact 0
		.amdhsa_exception_int_div_zero 0
	.end_amdhsa_kernel
	.section	.text._ZN9rocsparseL21csrmvt_general_kernelILj256ELj16Eii18rocsparse_bfloat16S1_ffEEvbbT2_NS_24const_host_device_scalarIT6_EEPKT1_S8_PKS2_PKT3_PKT4_PT5_21rocsparse_index_base_b,"axG",@progbits,_ZN9rocsparseL21csrmvt_general_kernelILj256ELj16Eii18rocsparse_bfloat16S1_ffEEvbbT2_NS_24const_host_device_scalarIT6_EEPKT1_S8_PKS2_PKT3_PKT4_PT5_21rocsparse_index_base_b,comdat
.Lfunc_end239:
	.size	_ZN9rocsparseL21csrmvt_general_kernelILj256ELj16Eii18rocsparse_bfloat16S1_ffEEvbbT2_NS_24const_host_device_scalarIT6_EEPKT1_S8_PKS2_PKT3_PKT4_PT5_21rocsparse_index_base_b, .Lfunc_end239-_ZN9rocsparseL21csrmvt_general_kernelILj256ELj16Eii18rocsparse_bfloat16S1_ffEEvbbT2_NS_24const_host_device_scalarIT6_EEPKT1_S8_PKS2_PKT3_PKT4_PT5_21rocsparse_index_base_b
                                        ; -- End function
	.set _ZN9rocsparseL21csrmvt_general_kernelILj256ELj16Eii18rocsparse_bfloat16S1_ffEEvbbT2_NS_24const_host_device_scalarIT6_EEPKT1_S8_PKS2_PKT3_PKT4_PT5_21rocsparse_index_base_b.num_vgpr, 10
	.set _ZN9rocsparseL21csrmvt_general_kernelILj256ELj16Eii18rocsparse_bfloat16S1_ffEEvbbT2_NS_24const_host_device_scalarIT6_EEPKT1_S8_PKS2_PKT3_PKT4_PT5_21rocsparse_index_base_b.num_agpr, 0
	.set _ZN9rocsparseL21csrmvt_general_kernelILj256ELj16Eii18rocsparse_bfloat16S1_ffEEvbbT2_NS_24const_host_device_scalarIT6_EEPKT1_S8_PKS2_PKT3_PKT4_PT5_21rocsparse_index_base_b.numbered_sgpr, 21
	.set _ZN9rocsparseL21csrmvt_general_kernelILj256ELj16Eii18rocsparse_bfloat16S1_ffEEvbbT2_NS_24const_host_device_scalarIT6_EEPKT1_S8_PKS2_PKT3_PKT4_PT5_21rocsparse_index_base_b.num_named_barrier, 0
	.set _ZN9rocsparseL21csrmvt_general_kernelILj256ELj16Eii18rocsparse_bfloat16S1_ffEEvbbT2_NS_24const_host_device_scalarIT6_EEPKT1_S8_PKS2_PKT3_PKT4_PT5_21rocsparse_index_base_b.private_seg_size, 0
	.set _ZN9rocsparseL21csrmvt_general_kernelILj256ELj16Eii18rocsparse_bfloat16S1_ffEEvbbT2_NS_24const_host_device_scalarIT6_EEPKT1_S8_PKS2_PKT3_PKT4_PT5_21rocsparse_index_base_b.uses_vcc, 1
	.set _ZN9rocsparseL21csrmvt_general_kernelILj256ELj16Eii18rocsparse_bfloat16S1_ffEEvbbT2_NS_24const_host_device_scalarIT6_EEPKT1_S8_PKS2_PKT3_PKT4_PT5_21rocsparse_index_base_b.uses_flat_scratch, 0
	.set _ZN9rocsparseL21csrmvt_general_kernelILj256ELj16Eii18rocsparse_bfloat16S1_ffEEvbbT2_NS_24const_host_device_scalarIT6_EEPKT1_S8_PKS2_PKT3_PKT4_PT5_21rocsparse_index_base_b.has_dyn_sized_stack, 0
	.set _ZN9rocsparseL21csrmvt_general_kernelILj256ELj16Eii18rocsparse_bfloat16S1_ffEEvbbT2_NS_24const_host_device_scalarIT6_EEPKT1_S8_PKS2_PKT3_PKT4_PT5_21rocsparse_index_base_b.has_recursion, 0
	.set _ZN9rocsparseL21csrmvt_general_kernelILj256ELj16Eii18rocsparse_bfloat16S1_ffEEvbbT2_NS_24const_host_device_scalarIT6_EEPKT1_S8_PKS2_PKT3_PKT4_PT5_21rocsparse_index_base_b.has_indirect_call, 0
	.section	.AMDGPU.csdata,"",@progbits
; Kernel info:
; codeLenInByte = 784
; TotalNumSgprs: 23
; NumVgprs: 10
; ScratchSize: 0
; MemoryBound: 0
; FloatMode: 240
; IeeeMode: 1
; LDSByteSize: 0 bytes/workgroup (compile time only)
; SGPRBlocks: 0
; VGPRBlocks: 0
; NumSGPRsForWavesPerEU: 23
; NumVGPRsForWavesPerEU: 10
; NamedBarCnt: 0
; Occupancy: 16
; WaveLimiterHint : 1
; COMPUTE_PGM_RSRC2:SCRATCH_EN: 0
; COMPUTE_PGM_RSRC2:USER_SGPR: 2
; COMPUTE_PGM_RSRC2:TRAP_HANDLER: 0
; COMPUTE_PGM_RSRC2:TGID_X_EN: 1
; COMPUTE_PGM_RSRC2:TGID_Y_EN: 0
; COMPUTE_PGM_RSRC2:TGID_Z_EN: 0
; COMPUTE_PGM_RSRC2:TIDIG_COMP_CNT: 0
	.section	.text._ZN9rocsparseL21csrmvt_general_kernelILj256ELj32Eii18rocsparse_bfloat16S1_ffEEvbbT2_NS_24const_host_device_scalarIT6_EEPKT1_S8_PKS2_PKT3_PKT4_PT5_21rocsparse_index_base_b,"axG",@progbits,_ZN9rocsparseL21csrmvt_general_kernelILj256ELj32Eii18rocsparse_bfloat16S1_ffEEvbbT2_NS_24const_host_device_scalarIT6_EEPKT1_S8_PKS2_PKT3_PKT4_PT5_21rocsparse_index_base_b,comdat
	.globl	_ZN9rocsparseL21csrmvt_general_kernelILj256ELj32Eii18rocsparse_bfloat16S1_ffEEvbbT2_NS_24const_host_device_scalarIT6_EEPKT1_S8_PKS2_PKT3_PKT4_PT5_21rocsparse_index_base_b ; -- Begin function _ZN9rocsparseL21csrmvt_general_kernelILj256ELj32Eii18rocsparse_bfloat16S1_ffEEvbbT2_NS_24const_host_device_scalarIT6_EEPKT1_S8_PKS2_PKT3_PKT4_PT5_21rocsparse_index_base_b
	.p2align	8
	.type	_ZN9rocsparseL21csrmvt_general_kernelILj256ELj32Eii18rocsparse_bfloat16S1_ffEEvbbT2_NS_24const_host_device_scalarIT6_EEPKT1_S8_PKS2_PKT3_PKT4_PT5_21rocsparse_index_base_b,@function
_ZN9rocsparseL21csrmvt_general_kernelILj256ELj32Eii18rocsparse_bfloat16S1_ffEEvbbT2_NS_24const_host_device_scalarIT6_EEPKT1_S8_PKS2_PKT3_PKT4_PT5_21rocsparse_index_base_b: ; @_ZN9rocsparseL21csrmvt_general_kernelILj256ELj32Eii18rocsparse_bfloat16S1_ffEEvbbT2_NS_24const_host_device_scalarIT6_EEPKT1_S8_PKS2_PKT3_PKT4_PT5_21rocsparse_index_base_b
; %bb.0:
	s_clause 0x1
	s_load_b64 s[2:3], s[0:1], 0x40
	s_load_b128 s[12:15], s[0:1], 0x8
	s_wait_kmcnt 0x0
	s_bitcmp1_b32 s3, 0
	s_cselect_b32 s3, -1, 0
	s_delay_alu instid0(SALU_CYCLE_1)
	s_and_b32 vcc_lo, exec_lo, s3
	s_cbranch_vccnz .LBB240_2
; %bb.1:
	s_load_b32 s12, s[12:13], 0x0
.LBB240_2:
	s_wait_kmcnt 0x0
	s_cmp_eq_f32 s12, 0
	s_cbranch_scc1 .LBB240_20
; %bb.3:
	s_clause 0x3
	s_load_b64 s[16:17], s[0:1], 0x0
	s_load_b32 s3, s[0:1], 0x48
	s_load_b64 s[18:19], s[0:1], 0x38
	s_load_b256 s[4:11], s[0:1], 0x18
	s_wait_xcnt 0x0
	s_bfe_u32 s0, ttmp6, 0x4000c
	s_and_b32 s13, ttmp6, 15
	s_add_co_i32 s0, s0, 1
	s_getreg_b32 s20, hwreg(HW_REG_IB_STS2, 6, 4)
	s_mul_i32 s0, ttmp9, s0
	v_and_b32_e32 v3, 31, v0
	s_add_co_i32 s13, s13, s0
	s_wait_kmcnt 0x0
	s_and_b32 s16, s16, 1
	s_lshl_b32 s1, s3, 3
	s_cmp_eq_u32 s20, 0
	s_mov_b32 s3, -1
	s_cselect_b32 s0, ttmp9, s13
	s_cmp_eq_u32 s16, 0
	v_lshl_or_b32 v1, s0, 8, v0
	s_delay_alu instid0(VALU_DEP_1) | instskip(NEXT) | instid1(VALU_DEP_1)
	v_lshrrev_b32_e32 v2, 5, v1
	v_cmp_gt_i32_e64 s0, s17, v2
	s_cbranch_scc0 .LBB240_11
; %bb.4:
	s_and_saveexec_b32 s3, s0
	s_cbranch_execz .LBB240_10
; %bb.5:
	v_subrev_nc_u32_e32 v4, s2, v3
	v_mov_b32_e32 v0, v2
	s_mov_b32 s13, 0
	s_branch .LBB240_7
.LBB240_6:                              ;   in Loop: Header=BB240_7 Depth=1
	s_or_b32 exec_lo, exec_lo, s16
	v_add_nc_u32_e32 v0, s1, v0
	s_delay_alu instid0(VALU_DEP_1) | instskip(SKIP_1) | instid1(SALU_CYCLE_1)
	v_cmp_le_i32_e32 vcc_lo, s17, v0
	s_or_b32 s13, vcc_lo, s13
	s_and_not1_b32 exec_lo, exec_lo, s13
	s_cbranch_execz .LBB240_10
.LBB240_7:                              ; =>This Loop Header: Depth=1
                                        ;     Child Loop BB240_9 Depth 2
	s_clause 0x1
	global_load_b32 v1, v0, s[4:5] scale_offset
	global_load_b32 v6, v0, s[14:15] scale_offset
	s_mov_b32 s16, exec_lo
	s_wait_loadcnt 0x1
	v_subrev_nc_u32_e32 v5, s2, v1
	s_wait_loadcnt 0x0
	v_add_nc_u32_e32 v6, v6, v4
	s_wait_xcnt 0x0
	s_delay_alu instid0(VALU_DEP_1)
	v_cmpx_lt_i32_e64 v6, v5
	s_cbranch_execz .LBB240_6
; %bb.8:                                ;   in Loop: Header=BB240_7 Depth=1
	v_ashrrev_i32_e32 v1, 31, v0
	s_mov_b32 s20, 0
	s_delay_alu instid0(VALU_DEP_1) | instskip(SKIP_3) | instid1(VALU_DEP_1)
	v_lshl_add_u64 v[8:9], v[0:1], 1, s[10:11]
	global_load_u16 v1, v[8:9], off
	s_wait_loadcnt 0x0
	v_lshlrev_b32_e32 v1, 16, v1
	v_mul_f32_e32 v1, s12, v1
.LBB240_9:                              ;   Parent Loop BB240_7 Depth=1
                                        ; =>  This Inner Loop Header: Depth=2
	s_clause 0x1
	global_load_u16 v7, v6, s[8:9] scale_offset
	global_load_b32 v8, v6, s[6:7] scale_offset
	s_wait_xcnt 0x0
	v_add_nc_u32_e32 v6, 32, v6
	s_delay_alu instid0(VALU_DEP_1)
	v_cmp_ge_i32_e32 vcc_lo, v6, v5
	s_or_b32 s20, vcc_lo, s20
	s_wait_loadcnt 0x1
	v_lshlrev_b32_e32 v7, 16, v7
	s_wait_loadcnt 0x0
	v_subrev_nc_u32_e32 v8, s2, v8
	s_delay_alu instid0(VALU_DEP_2)
	v_mul_f32_e32 v7, v1, v7
	global_atomic_add_f32 v8, v7, s[18:19] scale_offset scope:SCOPE_DEV
	s_wait_xcnt 0x0
	s_and_not1_b32 exec_lo, exec_lo, s20
	s_cbranch_execnz .LBB240_9
	s_branch .LBB240_6
.LBB240_10:
	s_or_b32 exec_lo, exec_lo, s3
	s_mov_b32 s3, 0
.LBB240_11:
	s_delay_alu instid0(SALU_CYCLE_1)
	s_and_not1_b32 vcc_lo, exec_lo, s3
	s_cbranch_vccnz .LBB240_20
; %bb.12:
	s_and_saveexec_b32 s3, s0
	s_cbranch_execz .LBB240_20
; %bb.13:
	v_subrev_nc_u32_e32 v4, s2, v3
	s_mov_b32 s0, 0
	s_branch .LBB240_15
.LBB240_14:                             ;   in Loop: Header=BB240_15 Depth=1
	s_or_b32 exec_lo, exec_lo, s3
	v_add_nc_u32_e32 v2, s1, v2
	s_delay_alu instid0(VALU_DEP_1) | instskip(SKIP_1) | instid1(SALU_CYCLE_1)
	v_cmp_le_i32_e32 vcc_lo, s17, v2
	s_or_b32 s0, vcc_lo, s0
	s_and_not1_b32 exec_lo, exec_lo, s0
	s_cbranch_execz .LBB240_20
.LBB240_15:                             ; =>This Loop Header: Depth=1
                                        ;     Child Loop BB240_18 Depth 2
	s_clause 0x1
	global_load_b32 v0, v2, s[4:5] scale_offset
	global_load_b32 v1, v2, s[14:15] scale_offset
	s_mov_b32 s3, exec_lo
	s_wait_loadcnt 0x1
	v_subrev_nc_u32_e32 v5, s2, v0
	s_wait_loadcnt 0x0
	v_add_nc_u32_e32 v0, v1, v4
	s_wait_xcnt 0x0
	s_delay_alu instid0(VALU_DEP_1)
	v_cmpx_lt_i32_e64 v0, v5
	s_cbranch_execz .LBB240_14
; %bb.16:                               ;   in Loop: Header=BB240_15 Depth=1
	v_ashrrev_i32_e32 v3, 31, v2
	s_mov_b32 s13, 0
	s_delay_alu instid0(VALU_DEP_1) | instskip(SKIP_3) | instid1(VALU_DEP_1)
	v_lshl_add_u64 v[6:7], v[2:3], 1, s[10:11]
	global_load_u16 v1, v[6:7], off
	s_wait_loadcnt 0x0
	v_lshlrev_b32_e32 v1, 16, v1
	v_mul_f32_e32 v3, s12, v1
	s_branch .LBB240_18
.LBB240_17:                             ;   in Loop: Header=BB240_18 Depth=2
	s_wait_xcnt 0x0
	s_or_b32 exec_lo, exec_lo, s16
	v_add_nc_u32_e32 v0, 32, v0
	s_delay_alu instid0(VALU_DEP_1) | instskip(SKIP_1) | instid1(SALU_CYCLE_1)
	v_cmp_ge_i32_e32 vcc_lo, v0, v5
	s_or_b32 s13, vcc_lo, s13
	s_and_not1_b32 exec_lo, exec_lo, s13
	s_cbranch_execz .LBB240_14
.LBB240_18:                             ;   Parent Loop BB240_15 Depth=1
                                        ; =>  This Inner Loop Header: Depth=2
	global_load_b32 v1, v0, s[6:7] scale_offset
	s_mov_b32 s16, exec_lo
	s_wait_loadcnt 0x0
	s_wait_xcnt 0x1
	v_subrev_nc_u32_e32 v6, s2, v1
	v_ashrrev_i32_e32 v1, 31, v0
	s_wait_xcnt 0x0
	s_delay_alu instid0(VALU_DEP_2)
	v_cmpx_ne_u32_e64 v6, v2
	s_cbranch_execz .LBB240_17
; %bb.19:                               ;   in Loop: Header=BB240_18 Depth=2
	s_delay_alu instid0(VALU_DEP_2) | instskip(SKIP_3) | instid1(VALU_DEP_1)
	v_lshl_add_u64 v[8:9], v[0:1], 1, s[8:9]
	global_load_u16 v1, v[8:9], off
	s_wait_loadcnt 0x0
	v_lshlrev_b32_e32 v1, 16, v1
	v_mul_f32_e32 v1, v3, v1
	s_wait_xcnt 0x0
	global_atomic_add_f32 v6, v1, s[18:19] scale_offset scope:SCOPE_DEV
	s_branch .LBB240_17
.LBB240_20:
	s_endpgm
	.section	.rodata,"a",@progbits
	.p2align	6, 0x0
	.amdhsa_kernel _ZN9rocsparseL21csrmvt_general_kernelILj256ELj32Eii18rocsparse_bfloat16S1_ffEEvbbT2_NS_24const_host_device_scalarIT6_EEPKT1_S8_PKS2_PKT3_PKT4_PT5_21rocsparse_index_base_b
		.amdhsa_group_segment_fixed_size 0
		.amdhsa_private_segment_fixed_size 0
		.amdhsa_kernarg_size 328
		.amdhsa_user_sgpr_count 2
		.amdhsa_user_sgpr_dispatch_ptr 0
		.amdhsa_user_sgpr_queue_ptr 0
		.amdhsa_user_sgpr_kernarg_segment_ptr 1
		.amdhsa_user_sgpr_dispatch_id 0
		.amdhsa_user_sgpr_kernarg_preload_length 0
		.amdhsa_user_sgpr_kernarg_preload_offset 0
		.amdhsa_user_sgpr_private_segment_size 0
		.amdhsa_wavefront_size32 1
		.amdhsa_uses_dynamic_stack 0
		.amdhsa_enable_private_segment 0
		.amdhsa_system_sgpr_workgroup_id_x 1
		.amdhsa_system_sgpr_workgroup_id_y 0
		.amdhsa_system_sgpr_workgroup_id_z 0
		.amdhsa_system_sgpr_workgroup_info 0
		.amdhsa_system_vgpr_workitem_id 0
		.amdhsa_next_free_vgpr 10
		.amdhsa_next_free_sgpr 21
		.amdhsa_named_barrier_count 0
		.amdhsa_reserve_vcc 1
		.amdhsa_float_round_mode_32 0
		.amdhsa_float_round_mode_16_64 0
		.amdhsa_float_denorm_mode_32 3
		.amdhsa_float_denorm_mode_16_64 3
		.amdhsa_fp16_overflow 0
		.amdhsa_memory_ordered 1
		.amdhsa_forward_progress 1
		.amdhsa_inst_pref_size 7
		.amdhsa_round_robin_scheduling 0
		.amdhsa_exception_fp_ieee_invalid_op 0
		.amdhsa_exception_fp_denorm_src 0
		.amdhsa_exception_fp_ieee_div_zero 0
		.amdhsa_exception_fp_ieee_overflow 0
		.amdhsa_exception_fp_ieee_underflow 0
		.amdhsa_exception_fp_ieee_inexact 0
		.amdhsa_exception_int_div_zero 0
	.end_amdhsa_kernel
	.section	.text._ZN9rocsparseL21csrmvt_general_kernelILj256ELj32Eii18rocsparse_bfloat16S1_ffEEvbbT2_NS_24const_host_device_scalarIT6_EEPKT1_S8_PKS2_PKT3_PKT4_PT5_21rocsparse_index_base_b,"axG",@progbits,_ZN9rocsparseL21csrmvt_general_kernelILj256ELj32Eii18rocsparse_bfloat16S1_ffEEvbbT2_NS_24const_host_device_scalarIT6_EEPKT1_S8_PKS2_PKT3_PKT4_PT5_21rocsparse_index_base_b,comdat
.Lfunc_end240:
	.size	_ZN9rocsparseL21csrmvt_general_kernelILj256ELj32Eii18rocsparse_bfloat16S1_ffEEvbbT2_NS_24const_host_device_scalarIT6_EEPKT1_S8_PKS2_PKT3_PKT4_PT5_21rocsparse_index_base_b, .Lfunc_end240-_ZN9rocsparseL21csrmvt_general_kernelILj256ELj32Eii18rocsparse_bfloat16S1_ffEEvbbT2_NS_24const_host_device_scalarIT6_EEPKT1_S8_PKS2_PKT3_PKT4_PT5_21rocsparse_index_base_b
                                        ; -- End function
	.set _ZN9rocsparseL21csrmvt_general_kernelILj256ELj32Eii18rocsparse_bfloat16S1_ffEEvbbT2_NS_24const_host_device_scalarIT6_EEPKT1_S8_PKS2_PKT3_PKT4_PT5_21rocsparse_index_base_b.num_vgpr, 10
	.set _ZN9rocsparseL21csrmvt_general_kernelILj256ELj32Eii18rocsparse_bfloat16S1_ffEEvbbT2_NS_24const_host_device_scalarIT6_EEPKT1_S8_PKS2_PKT3_PKT4_PT5_21rocsparse_index_base_b.num_agpr, 0
	.set _ZN9rocsparseL21csrmvt_general_kernelILj256ELj32Eii18rocsparse_bfloat16S1_ffEEvbbT2_NS_24const_host_device_scalarIT6_EEPKT1_S8_PKS2_PKT3_PKT4_PT5_21rocsparse_index_base_b.numbered_sgpr, 21
	.set _ZN9rocsparseL21csrmvt_general_kernelILj256ELj32Eii18rocsparse_bfloat16S1_ffEEvbbT2_NS_24const_host_device_scalarIT6_EEPKT1_S8_PKS2_PKT3_PKT4_PT5_21rocsparse_index_base_b.num_named_barrier, 0
	.set _ZN9rocsparseL21csrmvt_general_kernelILj256ELj32Eii18rocsparse_bfloat16S1_ffEEvbbT2_NS_24const_host_device_scalarIT6_EEPKT1_S8_PKS2_PKT3_PKT4_PT5_21rocsparse_index_base_b.private_seg_size, 0
	.set _ZN9rocsparseL21csrmvt_general_kernelILj256ELj32Eii18rocsparse_bfloat16S1_ffEEvbbT2_NS_24const_host_device_scalarIT6_EEPKT1_S8_PKS2_PKT3_PKT4_PT5_21rocsparse_index_base_b.uses_vcc, 1
	.set _ZN9rocsparseL21csrmvt_general_kernelILj256ELj32Eii18rocsparse_bfloat16S1_ffEEvbbT2_NS_24const_host_device_scalarIT6_EEPKT1_S8_PKS2_PKT3_PKT4_PT5_21rocsparse_index_base_b.uses_flat_scratch, 0
	.set _ZN9rocsparseL21csrmvt_general_kernelILj256ELj32Eii18rocsparse_bfloat16S1_ffEEvbbT2_NS_24const_host_device_scalarIT6_EEPKT1_S8_PKS2_PKT3_PKT4_PT5_21rocsparse_index_base_b.has_dyn_sized_stack, 0
	.set _ZN9rocsparseL21csrmvt_general_kernelILj256ELj32Eii18rocsparse_bfloat16S1_ffEEvbbT2_NS_24const_host_device_scalarIT6_EEPKT1_S8_PKS2_PKT3_PKT4_PT5_21rocsparse_index_base_b.has_recursion, 0
	.set _ZN9rocsparseL21csrmvt_general_kernelILj256ELj32Eii18rocsparse_bfloat16S1_ffEEvbbT2_NS_24const_host_device_scalarIT6_EEPKT1_S8_PKS2_PKT3_PKT4_PT5_21rocsparse_index_base_b.has_indirect_call, 0
	.section	.AMDGPU.csdata,"",@progbits
; Kernel info:
; codeLenInByte = 784
; TotalNumSgprs: 23
; NumVgprs: 10
; ScratchSize: 0
; MemoryBound: 0
; FloatMode: 240
; IeeeMode: 1
; LDSByteSize: 0 bytes/workgroup (compile time only)
; SGPRBlocks: 0
; VGPRBlocks: 0
; NumSGPRsForWavesPerEU: 23
; NumVGPRsForWavesPerEU: 10
; NamedBarCnt: 0
; Occupancy: 16
; WaveLimiterHint : 1
; COMPUTE_PGM_RSRC2:SCRATCH_EN: 0
; COMPUTE_PGM_RSRC2:USER_SGPR: 2
; COMPUTE_PGM_RSRC2:TRAP_HANDLER: 0
; COMPUTE_PGM_RSRC2:TGID_X_EN: 1
; COMPUTE_PGM_RSRC2:TGID_Y_EN: 0
; COMPUTE_PGM_RSRC2:TGID_Z_EN: 0
; COMPUTE_PGM_RSRC2:TIDIG_COMP_CNT: 0
	.section	.text._ZN9rocsparseL21csrmvt_general_kernelILj256ELj64Eii18rocsparse_bfloat16S1_ffEEvbbT2_NS_24const_host_device_scalarIT6_EEPKT1_S8_PKS2_PKT3_PKT4_PT5_21rocsparse_index_base_b,"axG",@progbits,_ZN9rocsparseL21csrmvt_general_kernelILj256ELj64Eii18rocsparse_bfloat16S1_ffEEvbbT2_NS_24const_host_device_scalarIT6_EEPKT1_S8_PKS2_PKT3_PKT4_PT5_21rocsparse_index_base_b,comdat
	.globl	_ZN9rocsparseL21csrmvt_general_kernelILj256ELj64Eii18rocsparse_bfloat16S1_ffEEvbbT2_NS_24const_host_device_scalarIT6_EEPKT1_S8_PKS2_PKT3_PKT4_PT5_21rocsparse_index_base_b ; -- Begin function _ZN9rocsparseL21csrmvt_general_kernelILj256ELj64Eii18rocsparse_bfloat16S1_ffEEvbbT2_NS_24const_host_device_scalarIT6_EEPKT1_S8_PKS2_PKT3_PKT4_PT5_21rocsparse_index_base_b
	.p2align	8
	.type	_ZN9rocsparseL21csrmvt_general_kernelILj256ELj64Eii18rocsparse_bfloat16S1_ffEEvbbT2_NS_24const_host_device_scalarIT6_EEPKT1_S8_PKS2_PKT3_PKT4_PT5_21rocsparse_index_base_b,@function
_ZN9rocsparseL21csrmvt_general_kernelILj256ELj64Eii18rocsparse_bfloat16S1_ffEEvbbT2_NS_24const_host_device_scalarIT6_EEPKT1_S8_PKS2_PKT3_PKT4_PT5_21rocsparse_index_base_b: ; @_ZN9rocsparseL21csrmvt_general_kernelILj256ELj64Eii18rocsparse_bfloat16S1_ffEEvbbT2_NS_24const_host_device_scalarIT6_EEPKT1_S8_PKS2_PKT3_PKT4_PT5_21rocsparse_index_base_b
; %bb.0:
	s_clause 0x1
	s_load_b64 s[2:3], s[0:1], 0x40
	s_load_b128 s[12:15], s[0:1], 0x8
	s_wait_kmcnt 0x0
	s_bitcmp1_b32 s3, 0
	s_cselect_b32 s3, -1, 0
	s_delay_alu instid0(SALU_CYCLE_1)
	s_and_b32 vcc_lo, exec_lo, s3
	s_cbranch_vccnz .LBB241_2
; %bb.1:
	s_load_b32 s12, s[12:13], 0x0
.LBB241_2:
	s_wait_kmcnt 0x0
	s_cmp_eq_f32 s12, 0
	s_cbranch_scc1 .LBB241_20
; %bb.3:
	s_clause 0x3
	s_load_b64 s[16:17], s[0:1], 0x0
	s_load_b32 s3, s[0:1], 0x48
	s_load_b64 s[18:19], s[0:1], 0x38
	s_load_b256 s[4:11], s[0:1], 0x18
	s_wait_xcnt 0x0
	s_bfe_u32 s0, ttmp6, 0x4000c
	s_and_b32 s13, ttmp6, 15
	s_add_co_i32 s0, s0, 1
	s_getreg_b32 s20, hwreg(HW_REG_IB_STS2, 6, 4)
	s_mul_i32 s0, ttmp9, s0
	v_and_b32_e32 v3, 63, v0
	s_add_co_i32 s13, s13, s0
	s_wait_kmcnt 0x0
	s_and_b32 s16, s16, 1
	s_lshl_b32 s1, s3, 2
	s_cmp_eq_u32 s20, 0
	s_mov_b32 s3, -1
	s_cselect_b32 s0, ttmp9, s13
	s_cmp_eq_u32 s16, 0
	v_lshl_or_b32 v1, s0, 8, v0
	s_delay_alu instid0(VALU_DEP_1) | instskip(NEXT) | instid1(VALU_DEP_1)
	v_lshrrev_b32_e32 v2, 6, v1
	v_cmp_gt_i32_e64 s0, s17, v2
	s_cbranch_scc0 .LBB241_11
; %bb.4:
	s_and_saveexec_b32 s3, s0
	s_cbranch_execz .LBB241_10
; %bb.5:
	v_subrev_nc_u32_e32 v4, s2, v3
	v_mov_b32_e32 v0, v2
	s_mov_b32 s13, 0
	s_branch .LBB241_7
.LBB241_6:                              ;   in Loop: Header=BB241_7 Depth=1
	s_or_b32 exec_lo, exec_lo, s16
	v_add_nc_u32_e32 v0, s1, v0
	s_delay_alu instid0(VALU_DEP_1) | instskip(SKIP_1) | instid1(SALU_CYCLE_1)
	v_cmp_le_i32_e32 vcc_lo, s17, v0
	s_or_b32 s13, vcc_lo, s13
	s_and_not1_b32 exec_lo, exec_lo, s13
	s_cbranch_execz .LBB241_10
.LBB241_7:                              ; =>This Loop Header: Depth=1
                                        ;     Child Loop BB241_9 Depth 2
	s_clause 0x1
	global_load_b32 v1, v0, s[4:5] scale_offset
	global_load_b32 v6, v0, s[14:15] scale_offset
	s_mov_b32 s16, exec_lo
	s_wait_loadcnt 0x1
	v_subrev_nc_u32_e32 v5, s2, v1
	s_wait_loadcnt 0x0
	v_add_nc_u32_e32 v6, v6, v4
	s_wait_xcnt 0x0
	s_delay_alu instid0(VALU_DEP_1)
	v_cmpx_lt_i32_e64 v6, v5
	s_cbranch_execz .LBB241_6
; %bb.8:                                ;   in Loop: Header=BB241_7 Depth=1
	v_ashrrev_i32_e32 v1, 31, v0
	s_mov_b32 s20, 0
	s_delay_alu instid0(VALU_DEP_1) | instskip(SKIP_3) | instid1(VALU_DEP_1)
	v_lshl_add_u64 v[8:9], v[0:1], 1, s[10:11]
	global_load_u16 v1, v[8:9], off
	s_wait_loadcnt 0x0
	v_lshlrev_b32_e32 v1, 16, v1
	v_mul_f32_e32 v1, s12, v1
.LBB241_9:                              ;   Parent Loop BB241_7 Depth=1
                                        ; =>  This Inner Loop Header: Depth=2
	s_clause 0x1
	global_load_u16 v7, v6, s[8:9] scale_offset
	global_load_b32 v8, v6, s[6:7] scale_offset
	s_wait_xcnt 0x0
	v_add_nc_u32_e32 v6, 64, v6
	s_delay_alu instid0(VALU_DEP_1)
	v_cmp_ge_i32_e32 vcc_lo, v6, v5
	s_or_b32 s20, vcc_lo, s20
	s_wait_loadcnt 0x1
	v_lshlrev_b32_e32 v7, 16, v7
	s_wait_loadcnt 0x0
	v_subrev_nc_u32_e32 v8, s2, v8
	s_delay_alu instid0(VALU_DEP_2)
	v_mul_f32_e32 v7, v1, v7
	global_atomic_add_f32 v8, v7, s[18:19] scale_offset scope:SCOPE_DEV
	s_wait_xcnt 0x0
	s_and_not1_b32 exec_lo, exec_lo, s20
	s_cbranch_execnz .LBB241_9
	s_branch .LBB241_6
.LBB241_10:
	s_or_b32 exec_lo, exec_lo, s3
	s_mov_b32 s3, 0
.LBB241_11:
	s_delay_alu instid0(SALU_CYCLE_1)
	s_and_not1_b32 vcc_lo, exec_lo, s3
	s_cbranch_vccnz .LBB241_20
; %bb.12:
	s_and_saveexec_b32 s3, s0
	s_cbranch_execz .LBB241_20
; %bb.13:
	v_subrev_nc_u32_e32 v4, s2, v3
	s_mov_b32 s0, 0
	s_branch .LBB241_15
.LBB241_14:                             ;   in Loop: Header=BB241_15 Depth=1
	s_or_b32 exec_lo, exec_lo, s3
	v_add_nc_u32_e32 v2, s1, v2
	s_delay_alu instid0(VALU_DEP_1) | instskip(SKIP_1) | instid1(SALU_CYCLE_1)
	v_cmp_le_i32_e32 vcc_lo, s17, v2
	s_or_b32 s0, vcc_lo, s0
	s_and_not1_b32 exec_lo, exec_lo, s0
	s_cbranch_execz .LBB241_20
.LBB241_15:                             ; =>This Loop Header: Depth=1
                                        ;     Child Loop BB241_18 Depth 2
	s_clause 0x1
	global_load_b32 v0, v2, s[4:5] scale_offset
	global_load_b32 v1, v2, s[14:15] scale_offset
	s_mov_b32 s3, exec_lo
	s_wait_loadcnt 0x1
	v_subrev_nc_u32_e32 v5, s2, v0
	s_wait_loadcnt 0x0
	v_add_nc_u32_e32 v0, v1, v4
	s_wait_xcnt 0x0
	s_delay_alu instid0(VALU_DEP_1)
	v_cmpx_lt_i32_e64 v0, v5
	s_cbranch_execz .LBB241_14
; %bb.16:                               ;   in Loop: Header=BB241_15 Depth=1
	v_ashrrev_i32_e32 v3, 31, v2
	s_mov_b32 s13, 0
	s_delay_alu instid0(VALU_DEP_1) | instskip(SKIP_3) | instid1(VALU_DEP_1)
	v_lshl_add_u64 v[6:7], v[2:3], 1, s[10:11]
	global_load_u16 v1, v[6:7], off
	s_wait_loadcnt 0x0
	v_lshlrev_b32_e32 v1, 16, v1
	v_mul_f32_e32 v3, s12, v1
	s_branch .LBB241_18
.LBB241_17:                             ;   in Loop: Header=BB241_18 Depth=2
	s_wait_xcnt 0x0
	s_or_b32 exec_lo, exec_lo, s16
	v_add_nc_u32_e32 v0, 64, v0
	s_delay_alu instid0(VALU_DEP_1) | instskip(SKIP_1) | instid1(SALU_CYCLE_1)
	v_cmp_ge_i32_e32 vcc_lo, v0, v5
	s_or_b32 s13, vcc_lo, s13
	s_and_not1_b32 exec_lo, exec_lo, s13
	s_cbranch_execz .LBB241_14
.LBB241_18:                             ;   Parent Loop BB241_15 Depth=1
                                        ; =>  This Inner Loop Header: Depth=2
	global_load_b32 v1, v0, s[6:7] scale_offset
	s_mov_b32 s16, exec_lo
	s_wait_loadcnt 0x0
	s_wait_xcnt 0x1
	v_subrev_nc_u32_e32 v6, s2, v1
	v_ashrrev_i32_e32 v1, 31, v0
	s_wait_xcnt 0x0
	s_delay_alu instid0(VALU_DEP_2)
	v_cmpx_ne_u32_e64 v6, v2
	s_cbranch_execz .LBB241_17
; %bb.19:                               ;   in Loop: Header=BB241_18 Depth=2
	s_delay_alu instid0(VALU_DEP_2) | instskip(SKIP_3) | instid1(VALU_DEP_1)
	v_lshl_add_u64 v[8:9], v[0:1], 1, s[8:9]
	global_load_u16 v1, v[8:9], off
	s_wait_loadcnt 0x0
	v_lshlrev_b32_e32 v1, 16, v1
	v_mul_f32_e32 v1, v3, v1
	s_wait_xcnt 0x0
	global_atomic_add_f32 v6, v1, s[18:19] scale_offset scope:SCOPE_DEV
	s_branch .LBB241_17
.LBB241_20:
	s_endpgm
	.section	.rodata,"a",@progbits
	.p2align	6, 0x0
	.amdhsa_kernel _ZN9rocsparseL21csrmvt_general_kernelILj256ELj64Eii18rocsparse_bfloat16S1_ffEEvbbT2_NS_24const_host_device_scalarIT6_EEPKT1_S8_PKS2_PKT3_PKT4_PT5_21rocsparse_index_base_b
		.amdhsa_group_segment_fixed_size 0
		.amdhsa_private_segment_fixed_size 0
		.amdhsa_kernarg_size 328
		.amdhsa_user_sgpr_count 2
		.amdhsa_user_sgpr_dispatch_ptr 0
		.amdhsa_user_sgpr_queue_ptr 0
		.amdhsa_user_sgpr_kernarg_segment_ptr 1
		.amdhsa_user_sgpr_dispatch_id 0
		.amdhsa_user_sgpr_kernarg_preload_length 0
		.amdhsa_user_sgpr_kernarg_preload_offset 0
		.amdhsa_user_sgpr_private_segment_size 0
		.amdhsa_wavefront_size32 1
		.amdhsa_uses_dynamic_stack 0
		.amdhsa_enable_private_segment 0
		.amdhsa_system_sgpr_workgroup_id_x 1
		.amdhsa_system_sgpr_workgroup_id_y 0
		.amdhsa_system_sgpr_workgroup_id_z 0
		.amdhsa_system_sgpr_workgroup_info 0
		.amdhsa_system_vgpr_workitem_id 0
		.amdhsa_next_free_vgpr 10
		.amdhsa_next_free_sgpr 21
		.amdhsa_named_barrier_count 0
		.amdhsa_reserve_vcc 1
		.amdhsa_float_round_mode_32 0
		.amdhsa_float_round_mode_16_64 0
		.amdhsa_float_denorm_mode_32 3
		.amdhsa_float_denorm_mode_16_64 3
		.amdhsa_fp16_overflow 0
		.amdhsa_memory_ordered 1
		.amdhsa_forward_progress 1
		.amdhsa_inst_pref_size 7
		.amdhsa_round_robin_scheduling 0
		.amdhsa_exception_fp_ieee_invalid_op 0
		.amdhsa_exception_fp_denorm_src 0
		.amdhsa_exception_fp_ieee_div_zero 0
		.amdhsa_exception_fp_ieee_overflow 0
		.amdhsa_exception_fp_ieee_underflow 0
		.amdhsa_exception_fp_ieee_inexact 0
		.amdhsa_exception_int_div_zero 0
	.end_amdhsa_kernel
	.section	.text._ZN9rocsparseL21csrmvt_general_kernelILj256ELj64Eii18rocsparse_bfloat16S1_ffEEvbbT2_NS_24const_host_device_scalarIT6_EEPKT1_S8_PKS2_PKT3_PKT4_PT5_21rocsparse_index_base_b,"axG",@progbits,_ZN9rocsparseL21csrmvt_general_kernelILj256ELj64Eii18rocsparse_bfloat16S1_ffEEvbbT2_NS_24const_host_device_scalarIT6_EEPKT1_S8_PKS2_PKT3_PKT4_PT5_21rocsparse_index_base_b,comdat
.Lfunc_end241:
	.size	_ZN9rocsparseL21csrmvt_general_kernelILj256ELj64Eii18rocsparse_bfloat16S1_ffEEvbbT2_NS_24const_host_device_scalarIT6_EEPKT1_S8_PKS2_PKT3_PKT4_PT5_21rocsparse_index_base_b, .Lfunc_end241-_ZN9rocsparseL21csrmvt_general_kernelILj256ELj64Eii18rocsparse_bfloat16S1_ffEEvbbT2_NS_24const_host_device_scalarIT6_EEPKT1_S8_PKS2_PKT3_PKT4_PT5_21rocsparse_index_base_b
                                        ; -- End function
	.set _ZN9rocsparseL21csrmvt_general_kernelILj256ELj64Eii18rocsparse_bfloat16S1_ffEEvbbT2_NS_24const_host_device_scalarIT6_EEPKT1_S8_PKS2_PKT3_PKT4_PT5_21rocsparse_index_base_b.num_vgpr, 10
	.set _ZN9rocsparseL21csrmvt_general_kernelILj256ELj64Eii18rocsparse_bfloat16S1_ffEEvbbT2_NS_24const_host_device_scalarIT6_EEPKT1_S8_PKS2_PKT3_PKT4_PT5_21rocsparse_index_base_b.num_agpr, 0
	.set _ZN9rocsparseL21csrmvt_general_kernelILj256ELj64Eii18rocsparse_bfloat16S1_ffEEvbbT2_NS_24const_host_device_scalarIT6_EEPKT1_S8_PKS2_PKT3_PKT4_PT5_21rocsparse_index_base_b.numbered_sgpr, 21
	.set _ZN9rocsparseL21csrmvt_general_kernelILj256ELj64Eii18rocsparse_bfloat16S1_ffEEvbbT2_NS_24const_host_device_scalarIT6_EEPKT1_S8_PKS2_PKT3_PKT4_PT5_21rocsparse_index_base_b.num_named_barrier, 0
	.set _ZN9rocsparseL21csrmvt_general_kernelILj256ELj64Eii18rocsparse_bfloat16S1_ffEEvbbT2_NS_24const_host_device_scalarIT6_EEPKT1_S8_PKS2_PKT3_PKT4_PT5_21rocsparse_index_base_b.private_seg_size, 0
	.set _ZN9rocsparseL21csrmvt_general_kernelILj256ELj64Eii18rocsparse_bfloat16S1_ffEEvbbT2_NS_24const_host_device_scalarIT6_EEPKT1_S8_PKS2_PKT3_PKT4_PT5_21rocsparse_index_base_b.uses_vcc, 1
	.set _ZN9rocsparseL21csrmvt_general_kernelILj256ELj64Eii18rocsparse_bfloat16S1_ffEEvbbT2_NS_24const_host_device_scalarIT6_EEPKT1_S8_PKS2_PKT3_PKT4_PT5_21rocsparse_index_base_b.uses_flat_scratch, 0
	.set _ZN9rocsparseL21csrmvt_general_kernelILj256ELj64Eii18rocsparse_bfloat16S1_ffEEvbbT2_NS_24const_host_device_scalarIT6_EEPKT1_S8_PKS2_PKT3_PKT4_PT5_21rocsparse_index_base_b.has_dyn_sized_stack, 0
	.set _ZN9rocsparseL21csrmvt_general_kernelILj256ELj64Eii18rocsparse_bfloat16S1_ffEEvbbT2_NS_24const_host_device_scalarIT6_EEPKT1_S8_PKS2_PKT3_PKT4_PT5_21rocsparse_index_base_b.has_recursion, 0
	.set _ZN9rocsparseL21csrmvt_general_kernelILj256ELj64Eii18rocsparse_bfloat16S1_ffEEvbbT2_NS_24const_host_device_scalarIT6_EEPKT1_S8_PKS2_PKT3_PKT4_PT5_21rocsparse_index_base_b.has_indirect_call, 0
	.section	.AMDGPU.csdata,"",@progbits
; Kernel info:
; codeLenInByte = 784
; TotalNumSgprs: 23
; NumVgprs: 10
; ScratchSize: 0
; MemoryBound: 0
; FloatMode: 240
; IeeeMode: 1
; LDSByteSize: 0 bytes/workgroup (compile time only)
; SGPRBlocks: 0
; VGPRBlocks: 0
; NumSGPRsForWavesPerEU: 23
; NumVGPRsForWavesPerEU: 10
; NamedBarCnt: 0
; Occupancy: 16
; WaveLimiterHint : 1
; COMPUTE_PGM_RSRC2:SCRATCH_EN: 0
; COMPUTE_PGM_RSRC2:USER_SGPR: 2
; COMPUTE_PGM_RSRC2:TRAP_HANDLER: 0
; COMPUTE_PGM_RSRC2:TGID_X_EN: 1
; COMPUTE_PGM_RSRC2:TGID_Y_EN: 0
; COMPUTE_PGM_RSRC2:TGID_Z_EN: 0
; COMPUTE_PGM_RSRC2:TIDIG_COMP_CNT: 0
	.section	.text._ZN9rocsparseL21csrmvn_general_kernelILj256ELj2Eli18rocsparse_bfloat16S1_ffEEvbT2_NS_24const_host_device_scalarIT6_EEPKT1_S8_PKS2_PKT3_PKT4_S5_PT5_21rocsparse_index_base_b,"axG",@progbits,_ZN9rocsparseL21csrmvn_general_kernelILj256ELj2Eli18rocsparse_bfloat16S1_ffEEvbT2_NS_24const_host_device_scalarIT6_EEPKT1_S8_PKS2_PKT3_PKT4_S5_PT5_21rocsparse_index_base_b,comdat
	.globl	_ZN9rocsparseL21csrmvn_general_kernelILj256ELj2Eli18rocsparse_bfloat16S1_ffEEvbT2_NS_24const_host_device_scalarIT6_EEPKT1_S8_PKS2_PKT3_PKT4_S5_PT5_21rocsparse_index_base_b ; -- Begin function _ZN9rocsparseL21csrmvn_general_kernelILj256ELj2Eli18rocsparse_bfloat16S1_ffEEvbT2_NS_24const_host_device_scalarIT6_EEPKT1_S8_PKS2_PKT3_PKT4_S5_PT5_21rocsparse_index_base_b
	.p2align	8
	.type	_ZN9rocsparseL21csrmvn_general_kernelILj256ELj2Eli18rocsparse_bfloat16S1_ffEEvbT2_NS_24const_host_device_scalarIT6_EEPKT1_S8_PKS2_PKT3_PKT4_S5_PT5_21rocsparse_index_base_b,@function
_ZN9rocsparseL21csrmvn_general_kernelILj256ELj2Eli18rocsparse_bfloat16S1_ffEEvbT2_NS_24const_host_device_scalarIT6_EEPKT1_S8_PKS2_PKT3_PKT4_S5_PT5_21rocsparse_index_base_b: ; @_ZN9rocsparseL21csrmvn_general_kernelILj256ELj2Eli18rocsparse_bfloat16S1_ffEEvbT2_NS_24const_host_device_scalarIT6_EEPKT1_S8_PKS2_PKT3_PKT4_S5_PT5_21rocsparse_index_base_b
; %bb.0:
	s_clause 0x2
	s_load_b64 s[2:3], s[0:1], 0x48
	s_load_b128 s[12:15], s[0:1], 0x8
	s_load_b64 s[16:17], s[0:1], 0x38
	s_wait_kmcnt 0x0
	s_bitcmp1_b32 s3, 0
	s_cselect_b32 s3, -1, 0
	s_delay_alu instid0(SALU_CYCLE_1)
	s_and_b32 vcc_lo, exec_lo, s3
	s_xor_b32 s3, s3, -1
	s_cbranch_vccnz .LBB242_2
; %bb.1:
	s_load_b32 s12, s[12:13], 0x0
.LBB242_2:
	s_and_not1_b32 vcc_lo, exec_lo, s3
	s_cbranch_vccnz .LBB242_4
; %bb.3:
	s_load_b32 s16, s[16:17], 0x0
.LBB242_4:
	s_wait_kmcnt 0x0
	s_cmp_neq_f32 s12, 0
	s_cselect_b32 s3, -1, 0
	s_cmp_neq_f32 s16, 1.0
	s_cselect_b32 s4, -1, 0
	s_delay_alu instid0(SALU_CYCLE_1) | instskip(NEXT) | instid1(SALU_CYCLE_1)
	s_or_b32 s3, s3, s4
	s_and_not1_b32 vcc_lo, exec_lo, s3
	s_cbranch_vccnz .LBB242_16
; %bb.5:
	s_bfe_u32 s3, ttmp6, 0x4000c
	s_load_b32 s13, s[0:1], 0x4
	s_add_co_i32 s3, s3, 1
	s_and_b32 s4, ttmp6, 15
	s_mul_i32 s3, ttmp9, s3
	s_getreg_b32 s5, hwreg(HW_REG_IB_STS2, 6, 4)
	s_add_co_i32 s4, s4, s3
	s_cmp_eq_u32 s5, 0
	s_cselect_b32 s3, ttmp9, s4
	s_delay_alu instid0(SALU_CYCLE_1) | instskip(SKIP_1) | instid1(VALU_DEP_1)
	v_lshl_or_b32 v1, s3, 8, v0
	s_mov_b32 s3, exec_lo
	v_lshrrev_b32_e32 v2, 1, v1
	s_wait_kmcnt 0x0
	s_delay_alu instid0(VALU_DEP_1)
	v_cmpx_gt_i32_e64 s13, v2
	s_cbranch_execz .LBB242_16
; %bb.6:
	s_clause 0x1
	s_load_b32 s17, s[0:1], 0x50
	s_load_b256 s[4:11], s[0:1], 0x18
	v_mbcnt_lo_u32_b32 v1, -1, 0
	s_load_b64 s[18:19], s[0:1], 0x40
	v_dual_mov_b32 v5, 0 :: v_dual_bitop2_b32 v4, 1, v0 bitop3:0x40
	s_mov_b32 s3, 0
	s_delay_alu instid0(VALU_DEP_2) | instskip(SKIP_3) | instid1(SALU_CYCLE_1)
	v_xor_b32_e32 v0, 1, v1
	s_wait_xcnt 0x0
	s_ashr_i32 s1, s2, 31
	s_mov_b32 s0, s2
	s_lshl_b64 s[20:21], s[0:1], 1
	v_cmp_gt_i32_e32 vcc_lo, 32, v0
	v_cmp_eq_u32_e64 s0, 1, v4
	v_cndmask_b32_e32 v3, v1, v0, vcc_lo
	v_sub_nc_u64_e64 v[0:1], v[4:5], s[2:3]
	s_wait_kmcnt 0x0
	s_lshl_b32 s1, s17, 7
	s_cmp_neq_f32 s16, 0
	v_lshlrev_b32_e32 v12, 2, v3
	s_sub_nc_u64 s[10:11], s[10:11], s[20:21]
	s_mov_b32 s20, s3
	s_cselect_b32 s17, -1, 0
	s_branch .LBB242_9
.LBB242_7:                              ;   in Loop: Header=BB242_9 Depth=1
	global_store_b32 v[4:5], v6, off
.LBB242_8:                              ;   in Loop: Header=BB242_9 Depth=1
	s_wait_xcnt 0x0
	s_or_b32 exec_lo, exec_lo, s21
	v_add_nc_u32_e32 v2, s1, v2
	s_delay_alu instid0(VALU_DEP_1) | instskip(SKIP_1) | instid1(SALU_CYCLE_1)
	v_cmp_le_i32_e32 vcc_lo, s13, v2
	s_or_b32 s20, vcc_lo, s20
	s_and_not1_b32 exec_lo, exec_lo, s20
	s_cbranch_execz .LBB242_16
.LBB242_9:                              ; =>This Loop Header: Depth=1
                                        ;     Child Loop BB242_11 Depth 2
	s_wait_dscnt 0x0
	s_clause 0x1
	global_load_b64 v[4:5], v2, s[4:5] scale_offset
	global_load_b64 v[6:7], v2, s[14:15] scale_offset
	v_mov_b32_e32 v13, 0
	s_mov_b32 s21, exec_lo
	s_wait_loadcnt 0x1
	v_sub_nc_u64_e64 v[4:5], v[4:5], s[2:3]
	s_wait_loadcnt 0x0
	v_add_nc_u64_e32 v[6:7], v[6:7], v[0:1]
	s_wait_xcnt 0x0
	s_delay_alu instid0(VALU_DEP_1)
	v_cmpx_lt_i64_e64 v[6:7], v[4:5]
	s_cbranch_execz .LBB242_13
; %bb.10:                               ;   in Loop: Header=BB242_9 Depth=1
	v_lshl_add_u64 v[8:9], v[6:7], 1, s[8:9]
	v_lshl_add_u64 v[10:11], v[6:7], 2, s[6:7]
	v_mov_b32_e32 v13, 0
	s_mov_b32 s22, 0
.LBB242_11:                             ;   Parent Loop BB242_9 Depth=1
                                        ; =>  This Inner Loop Header: Depth=2
	global_load_b32 v3, v[10:11], off
	global_load_u16 v14, v[8:9], off
	v_add_nc_u64_e32 v[6:7], 2, v[6:7]
	s_wait_xcnt 0x0
	v_add_nc_u64_e32 v[8:9], 4, v[8:9]
	v_add_nc_u64_e32 v[10:11], 8, v[10:11]
	s_delay_alu instid0(VALU_DEP_3)
	v_cmp_ge_i64_e32 vcc_lo, v[6:7], v[4:5]
	s_or_b32 s22, vcc_lo, s22
	s_wait_loadcnt 0x1
	global_load_u16 v3, v3, s[10:11] scale_offset
	s_wait_loadcnt 0x1
	v_lshlrev_b32_e32 v14, 16, v14
	s_delay_alu instid0(VALU_DEP_1) | instskip(SKIP_1) | instid1(VALU_DEP_1)
	v_mul_f32_e32 v14, s12, v14
	s_wait_loadcnt 0x0
	v_fma_mix_f32_bf16 v13, v14, v3, v13 op_sel_hi:[0,1,0]
	s_wait_xcnt 0x0
	s_and_not1_b32 exec_lo, exec_lo, s22
	s_cbranch_execnz .LBB242_11
; %bb.12:                               ;   in Loop: Header=BB242_9 Depth=1
	s_or_b32 exec_lo, exec_lo, s22
.LBB242_13:                             ;   in Loop: Header=BB242_9 Depth=1
	s_delay_alu instid0(SALU_CYCLE_1)
	s_or_b32 exec_lo, exec_lo, s21
	ds_bpermute_b32 v4, v12, v13
	v_ashrrev_i32_e32 v3, 31, v2
	s_and_saveexec_b32 s21, s0
	s_cbranch_execz .LBB242_8
; %bb.14:                               ;   in Loop: Header=BB242_9 Depth=1
	s_wait_dscnt 0x0
	v_add_f32_e32 v6, v13, v4
	v_lshl_add_u64 v[4:5], v[2:3], 2, s[18:19]
	s_and_not1_b32 vcc_lo, exec_lo, s17
	s_cbranch_vccnz .LBB242_7
; %bb.15:                               ;   in Loop: Header=BB242_9 Depth=1
	global_load_b32 v3, v[4:5], off
	s_wait_loadcnt 0x0
	v_fmac_f32_e32 v6, s16, v3
	s_branch .LBB242_7
.LBB242_16:
	s_endpgm
	.section	.rodata,"a",@progbits
	.p2align	6, 0x0
	.amdhsa_kernel _ZN9rocsparseL21csrmvn_general_kernelILj256ELj2Eli18rocsparse_bfloat16S1_ffEEvbT2_NS_24const_host_device_scalarIT6_EEPKT1_S8_PKS2_PKT3_PKT4_S5_PT5_21rocsparse_index_base_b
		.amdhsa_group_segment_fixed_size 0
		.amdhsa_private_segment_fixed_size 0
		.amdhsa_kernarg_size 336
		.amdhsa_user_sgpr_count 2
		.amdhsa_user_sgpr_dispatch_ptr 0
		.amdhsa_user_sgpr_queue_ptr 0
		.amdhsa_user_sgpr_kernarg_segment_ptr 1
		.amdhsa_user_sgpr_dispatch_id 0
		.amdhsa_user_sgpr_kernarg_preload_length 0
		.amdhsa_user_sgpr_kernarg_preload_offset 0
		.amdhsa_user_sgpr_private_segment_size 0
		.amdhsa_wavefront_size32 1
		.amdhsa_uses_dynamic_stack 0
		.amdhsa_enable_private_segment 0
		.amdhsa_system_sgpr_workgroup_id_x 1
		.amdhsa_system_sgpr_workgroup_id_y 0
		.amdhsa_system_sgpr_workgroup_id_z 0
		.amdhsa_system_sgpr_workgroup_info 0
		.amdhsa_system_vgpr_workitem_id 0
		.amdhsa_next_free_vgpr 15
		.amdhsa_next_free_sgpr 23
		.amdhsa_named_barrier_count 0
		.amdhsa_reserve_vcc 1
		.amdhsa_float_round_mode_32 0
		.amdhsa_float_round_mode_16_64 0
		.amdhsa_float_denorm_mode_32 3
		.amdhsa_float_denorm_mode_16_64 3
		.amdhsa_fp16_overflow 0
		.amdhsa_memory_ordered 1
		.amdhsa_forward_progress 1
		.amdhsa_inst_pref_size 6
		.amdhsa_round_robin_scheduling 0
		.amdhsa_exception_fp_ieee_invalid_op 0
		.amdhsa_exception_fp_denorm_src 0
		.amdhsa_exception_fp_ieee_div_zero 0
		.amdhsa_exception_fp_ieee_overflow 0
		.amdhsa_exception_fp_ieee_underflow 0
		.amdhsa_exception_fp_ieee_inexact 0
		.amdhsa_exception_int_div_zero 0
	.end_amdhsa_kernel
	.section	.text._ZN9rocsparseL21csrmvn_general_kernelILj256ELj2Eli18rocsparse_bfloat16S1_ffEEvbT2_NS_24const_host_device_scalarIT6_EEPKT1_S8_PKS2_PKT3_PKT4_S5_PT5_21rocsparse_index_base_b,"axG",@progbits,_ZN9rocsparseL21csrmvn_general_kernelILj256ELj2Eli18rocsparse_bfloat16S1_ffEEvbT2_NS_24const_host_device_scalarIT6_EEPKT1_S8_PKS2_PKT3_PKT4_S5_PT5_21rocsparse_index_base_b,comdat
.Lfunc_end242:
	.size	_ZN9rocsparseL21csrmvn_general_kernelILj256ELj2Eli18rocsparse_bfloat16S1_ffEEvbT2_NS_24const_host_device_scalarIT6_EEPKT1_S8_PKS2_PKT3_PKT4_S5_PT5_21rocsparse_index_base_b, .Lfunc_end242-_ZN9rocsparseL21csrmvn_general_kernelILj256ELj2Eli18rocsparse_bfloat16S1_ffEEvbT2_NS_24const_host_device_scalarIT6_EEPKT1_S8_PKS2_PKT3_PKT4_S5_PT5_21rocsparse_index_base_b
                                        ; -- End function
	.set _ZN9rocsparseL21csrmvn_general_kernelILj256ELj2Eli18rocsparse_bfloat16S1_ffEEvbT2_NS_24const_host_device_scalarIT6_EEPKT1_S8_PKS2_PKT3_PKT4_S5_PT5_21rocsparse_index_base_b.num_vgpr, 15
	.set _ZN9rocsparseL21csrmvn_general_kernelILj256ELj2Eli18rocsparse_bfloat16S1_ffEEvbT2_NS_24const_host_device_scalarIT6_EEPKT1_S8_PKS2_PKT3_PKT4_S5_PT5_21rocsparse_index_base_b.num_agpr, 0
	.set _ZN9rocsparseL21csrmvn_general_kernelILj256ELj2Eli18rocsparse_bfloat16S1_ffEEvbT2_NS_24const_host_device_scalarIT6_EEPKT1_S8_PKS2_PKT3_PKT4_S5_PT5_21rocsparse_index_base_b.numbered_sgpr, 23
	.set _ZN9rocsparseL21csrmvn_general_kernelILj256ELj2Eli18rocsparse_bfloat16S1_ffEEvbT2_NS_24const_host_device_scalarIT6_EEPKT1_S8_PKS2_PKT3_PKT4_S5_PT5_21rocsparse_index_base_b.num_named_barrier, 0
	.set _ZN9rocsparseL21csrmvn_general_kernelILj256ELj2Eli18rocsparse_bfloat16S1_ffEEvbT2_NS_24const_host_device_scalarIT6_EEPKT1_S8_PKS2_PKT3_PKT4_S5_PT5_21rocsparse_index_base_b.private_seg_size, 0
	.set _ZN9rocsparseL21csrmvn_general_kernelILj256ELj2Eli18rocsparse_bfloat16S1_ffEEvbT2_NS_24const_host_device_scalarIT6_EEPKT1_S8_PKS2_PKT3_PKT4_S5_PT5_21rocsparse_index_base_b.uses_vcc, 1
	.set _ZN9rocsparseL21csrmvn_general_kernelILj256ELj2Eli18rocsparse_bfloat16S1_ffEEvbT2_NS_24const_host_device_scalarIT6_EEPKT1_S8_PKS2_PKT3_PKT4_S5_PT5_21rocsparse_index_base_b.uses_flat_scratch, 0
	.set _ZN9rocsparseL21csrmvn_general_kernelILj256ELj2Eli18rocsparse_bfloat16S1_ffEEvbT2_NS_24const_host_device_scalarIT6_EEPKT1_S8_PKS2_PKT3_PKT4_S5_PT5_21rocsparse_index_base_b.has_dyn_sized_stack, 0
	.set _ZN9rocsparseL21csrmvn_general_kernelILj256ELj2Eli18rocsparse_bfloat16S1_ffEEvbT2_NS_24const_host_device_scalarIT6_EEPKT1_S8_PKS2_PKT3_PKT4_S5_PT5_21rocsparse_index_base_b.has_recursion, 0
	.set _ZN9rocsparseL21csrmvn_general_kernelILj256ELj2Eli18rocsparse_bfloat16S1_ffEEvbT2_NS_24const_host_device_scalarIT6_EEPKT1_S8_PKS2_PKT3_PKT4_S5_PT5_21rocsparse_index_base_b.has_indirect_call, 0
	.section	.AMDGPU.csdata,"",@progbits
; Kernel info:
; codeLenInByte = 672
; TotalNumSgprs: 25
; NumVgprs: 15
; ScratchSize: 0
; MemoryBound: 0
; FloatMode: 240
; IeeeMode: 1
; LDSByteSize: 0 bytes/workgroup (compile time only)
; SGPRBlocks: 0
; VGPRBlocks: 0
; NumSGPRsForWavesPerEU: 25
; NumVGPRsForWavesPerEU: 15
; NamedBarCnt: 0
; Occupancy: 16
; WaveLimiterHint : 1
; COMPUTE_PGM_RSRC2:SCRATCH_EN: 0
; COMPUTE_PGM_RSRC2:USER_SGPR: 2
; COMPUTE_PGM_RSRC2:TRAP_HANDLER: 0
; COMPUTE_PGM_RSRC2:TGID_X_EN: 1
; COMPUTE_PGM_RSRC2:TGID_Y_EN: 0
; COMPUTE_PGM_RSRC2:TGID_Z_EN: 0
; COMPUTE_PGM_RSRC2:TIDIG_COMP_CNT: 0
	.section	.text._ZN9rocsparseL21csrmvn_general_kernelILj256ELj4Eli18rocsparse_bfloat16S1_ffEEvbT2_NS_24const_host_device_scalarIT6_EEPKT1_S8_PKS2_PKT3_PKT4_S5_PT5_21rocsparse_index_base_b,"axG",@progbits,_ZN9rocsparseL21csrmvn_general_kernelILj256ELj4Eli18rocsparse_bfloat16S1_ffEEvbT2_NS_24const_host_device_scalarIT6_EEPKT1_S8_PKS2_PKT3_PKT4_S5_PT5_21rocsparse_index_base_b,comdat
	.globl	_ZN9rocsparseL21csrmvn_general_kernelILj256ELj4Eli18rocsparse_bfloat16S1_ffEEvbT2_NS_24const_host_device_scalarIT6_EEPKT1_S8_PKS2_PKT3_PKT4_S5_PT5_21rocsparse_index_base_b ; -- Begin function _ZN9rocsparseL21csrmvn_general_kernelILj256ELj4Eli18rocsparse_bfloat16S1_ffEEvbT2_NS_24const_host_device_scalarIT6_EEPKT1_S8_PKS2_PKT3_PKT4_S5_PT5_21rocsparse_index_base_b
	.p2align	8
	.type	_ZN9rocsparseL21csrmvn_general_kernelILj256ELj4Eli18rocsparse_bfloat16S1_ffEEvbT2_NS_24const_host_device_scalarIT6_EEPKT1_S8_PKS2_PKT3_PKT4_S5_PT5_21rocsparse_index_base_b,@function
_ZN9rocsparseL21csrmvn_general_kernelILj256ELj4Eli18rocsparse_bfloat16S1_ffEEvbT2_NS_24const_host_device_scalarIT6_EEPKT1_S8_PKS2_PKT3_PKT4_S5_PT5_21rocsparse_index_base_b: ; @_ZN9rocsparseL21csrmvn_general_kernelILj256ELj4Eli18rocsparse_bfloat16S1_ffEEvbT2_NS_24const_host_device_scalarIT6_EEPKT1_S8_PKS2_PKT3_PKT4_S5_PT5_21rocsparse_index_base_b
; %bb.0:
	s_clause 0x2
	s_load_b64 s[2:3], s[0:1], 0x48
	s_load_b128 s[12:15], s[0:1], 0x8
	s_load_b64 s[16:17], s[0:1], 0x38
	s_wait_kmcnt 0x0
	s_bitcmp1_b32 s3, 0
	s_cselect_b32 s3, -1, 0
	s_delay_alu instid0(SALU_CYCLE_1)
	s_and_b32 vcc_lo, exec_lo, s3
	s_xor_b32 s3, s3, -1
	s_cbranch_vccnz .LBB243_2
; %bb.1:
	s_load_b32 s12, s[12:13], 0x0
.LBB243_2:
	s_and_not1_b32 vcc_lo, exec_lo, s3
	s_cbranch_vccnz .LBB243_4
; %bb.3:
	s_load_b32 s16, s[16:17], 0x0
.LBB243_4:
	s_wait_kmcnt 0x0
	s_cmp_neq_f32 s12, 0
	s_cselect_b32 s3, -1, 0
	s_cmp_neq_f32 s16, 1.0
	s_cselect_b32 s4, -1, 0
	s_delay_alu instid0(SALU_CYCLE_1) | instskip(NEXT) | instid1(SALU_CYCLE_1)
	s_or_b32 s3, s3, s4
	s_and_not1_b32 vcc_lo, exec_lo, s3
	s_cbranch_vccnz .LBB243_16
; %bb.5:
	s_bfe_u32 s3, ttmp6, 0x4000c
	s_load_b32 s13, s[0:1], 0x4
	s_add_co_i32 s3, s3, 1
	s_and_b32 s4, ttmp6, 15
	s_mul_i32 s3, ttmp9, s3
	s_getreg_b32 s5, hwreg(HW_REG_IB_STS2, 6, 4)
	s_add_co_i32 s4, s4, s3
	s_cmp_eq_u32 s5, 0
	s_cselect_b32 s3, ttmp9, s4
	s_delay_alu instid0(SALU_CYCLE_1) | instskip(SKIP_1) | instid1(VALU_DEP_1)
	v_lshl_or_b32 v1, s3, 8, v0
	s_mov_b32 s3, exec_lo
	v_lshrrev_b32_e32 v2, 2, v1
	s_wait_kmcnt 0x0
	s_delay_alu instid0(VALU_DEP_1)
	v_cmpx_gt_i32_e64 s13, v2
	s_cbranch_execz .LBB243_16
; %bb.6:
	v_mbcnt_lo_u32_b32 v3, -1, 0
	s_clause 0x2
	s_load_b32 s17, s[0:1], 0x50
	s_load_b64 s[18:19], s[0:1], 0x40
	s_load_b256 s[4:11], s[0:1], 0x18
	v_dual_mov_b32 v5, 0 :: v_dual_bitop2_b32 v4, 3, v0 bitop3:0x40
	s_mov_b32 s3, 0
	v_xor_b32_e32 v6, 2, v3
	s_wait_xcnt 0x0
	s_ashr_i32 s1, s2, 31
	s_mov_b32 s0, s2
	v_sub_nc_u64_e64 v[0:1], v[4:5], s[2:3]
	s_lshl_b64 s[20:21], s[0:1], 1
	v_cmp_gt_i32_e32 vcc_lo, 32, v6
	v_xor_b32_e32 v7, 1, v3
	v_cmp_eq_u32_e64 s0, 3, v4
	v_cndmask_b32_e32 v5, v3, v6, vcc_lo
	s_delay_alu instid0(VALU_DEP_3)
	v_cmp_gt_i32_e32 vcc_lo, 32, v7
	s_wait_kmcnt 0x0
	s_lshl_b32 s1, s17, 6
	s_cmp_neq_f32 s16, 0
	v_dual_cndmask_b32 v3, v3, v7 :: v_dual_lshlrev_b32 v12, 2, v5
	s_sub_nc_u64 s[10:11], s[10:11], s[20:21]
	s_cselect_b32 s17, -1, 0
	s_mov_b32 s20, s3
	s_delay_alu instid0(VALU_DEP_1)
	v_lshlrev_b32_e32 v13, 2, v3
	s_branch .LBB243_9
.LBB243_7:                              ;   in Loop: Header=BB243_9 Depth=1
	global_store_b32 v[4:5], v6, off
.LBB243_8:                              ;   in Loop: Header=BB243_9 Depth=1
	s_wait_xcnt 0x0
	s_or_b32 exec_lo, exec_lo, s21
	v_add_nc_u32_e32 v2, s1, v2
	s_delay_alu instid0(VALU_DEP_1) | instskip(SKIP_1) | instid1(SALU_CYCLE_1)
	v_cmp_le_i32_e32 vcc_lo, s13, v2
	s_or_b32 s20, vcc_lo, s20
	s_and_not1_b32 exec_lo, exec_lo, s20
	s_cbranch_execz .LBB243_16
.LBB243_9:                              ; =>This Loop Header: Depth=1
                                        ;     Child Loop BB243_11 Depth 2
	s_wait_dscnt 0x0
	s_clause 0x1
	global_load_b64 v[4:5], v2, s[4:5] scale_offset
	global_load_b64 v[6:7], v2, s[14:15] scale_offset
	v_mov_b32_e32 v14, 0
	s_mov_b32 s21, exec_lo
	s_wait_loadcnt 0x1
	v_sub_nc_u64_e64 v[4:5], v[4:5], s[2:3]
	s_wait_loadcnt 0x0
	v_add_nc_u64_e32 v[6:7], v[6:7], v[0:1]
	s_wait_xcnt 0x0
	s_delay_alu instid0(VALU_DEP_1)
	v_cmpx_lt_i64_e64 v[6:7], v[4:5]
	s_cbranch_execz .LBB243_13
; %bb.10:                               ;   in Loop: Header=BB243_9 Depth=1
	v_lshl_add_u64 v[8:9], v[6:7], 1, s[8:9]
	v_lshl_add_u64 v[10:11], v[6:7], 2, s[6:7]
	v_mov_b32_e32 v14, 0
	s_mov_b32 s22, 0
.LBB243_11:                             ;   Parent Loop BB243_9 Depth=1
                                        ; =>  This Inner Loop Header: Depth=2
	global_load_b32 v3, v[10:11], off
	global_load_u16 v15, v[8:9], off
	v_add_nc_u64_e32 v[6:7], 4, v[6:7]
	s_wait_xcnt 0x0
	v_add_nc_u64_e32 v[8:9], 8, v[8:9]
	v_add_nc_u64_e32 v[10:11], 16, v[10:11]
	s_delay_alu instid0(VALU_DEP_3)
	v_cmp_ge_i64_e32 vcc_lo, v[6:7], v[4:5]
	s_or_b32 s22, vcc_lo, s22
	s_wait_loadcnt 0x1
	global_load_u16 v3, v3, s[10:11] scale_offset
	s_wait_loadcnt 0x1
	v_lshlrev_b32_e32 v15, 16, v15
	s_delay_alu instid0(VALU_DEP_1) | instskip(SKIP_1) | instid1(VALU_DEP_1)
	v_mul_f32_e32 v15, s12, v15
	s_wait_loadcnt 0x0
	v_fma_mix_f32_bf16 v14, v15, v3, v14 op_sel_hi:[0,1,0]
	s_wait_xcnt 0x0
	s_and_not1_b32 exec_lo, exec_lo, s22
	s_cbranch_execnz .LBB243_11
; %bb.12:                               ;   in Loop: Header=BB243_9 Depth=1
	s_or_b32 exec_lo, exec_lo, s22
.LBB243_13:                             ;   in Loop: Header=BB243_9 Depth=1
	s_delay_alu instid0(SALU_CYCLE_1)
	s_or_b32 exec_lo, exec_lo, s21
	ds_bpermute_b32 v4, v12, v14
	s_wait_dscnt 0x0
	v_dual_add_f32 v4, v14, v4 :: v_dual_ashrrev_i32 v3, 31, v2
	ds_bpermute_b32 v5, v13, v4
	s_and_saveexec_b32 s21, s0
	s_cbranch_execz .LBB243_8
; %bb.14:                               ;   in Loop: Header=BB243_9 Depth=1
	s_wait_dscnt 0x0
	v_add_f32_e32 v6, v4, v5
	v_lshl_add_u64 v[4:5], v[2:3], 2, s[18:19]
	s_and_not1_b32 vcc_lo, exec_lo, s17
	s_cbranch_vccnz .LBB243_7
; %bb.15:                               ;   in Loop: Header=BB243_9 Depth=1
	global_load_b32 v3, v[4:5], off
	s_wait_loadcnt 0x0
	v_fmac_f32_e32 v6, s16, v3
	s_branch .LBB243_7
.LBB243_16:
	s_endpgm
	.section	.rodata,"a",@progbits
	.p2align	6, 0x0
	.amdhsa_kernel _ZN9rocsparseL21csrmvn_general_kernelILj256ELj4Eli18rocsparse_bfloat16S1_ffEEvbT2_NS_24const_host_device_scalarIT6_EEPKT1_S8_PKS2_PKT3_PKT4_S5_PT5_21rocsparse_index_base_b
		.amdhsa_group_segment_fixed_size 0
		.amdhsa_private_segment_fixed_size 0
		.amdhsa_kernarg_size 336
		.amdhsa_user_sgpr_count 2
		.amdhsa_user_sgpr_dispatch_ptr 0
		.amdhsa_user_sgpr_queue_ptr 0
		.amdhsa_user_sgpr_kernarg_segment_ptr 1
		.amdhsa_user_sgpr_dispatch_id 0
		.amdhsa_user_sgpr_kernarg_preload_length 0
		.amdhsa_user_sgpr_kernarg_preload_offset 0
		.amdhsa_user_sgpr_private_segment_size 0
		.amdhsa_wavefront_size32 1
		.amdhsa_uses_dynamic_stack 0
		.amdhsa_enable_private_segment 0
		.amdhsa_system_sgpr_workgroup_id_x 1
		.amdhsa_system_sgpr_workgroup_id_y 0
		.amdhsa_system_sgpr_workgroup_id_z 0
		.amdhsa_system_sgpr_workgroup_info 0
		.amdhsa_system_vgpr_workitem_id 0
		.amdhsa_next_free_vgpr 16
		.amdhsa_next_free_sgpr 23
		.amdhsa_named_barrier_count 0
		.amdhsa_reserve_vcc 1
		.amdhsa_float_round_mode_32 0
		.amdhsa_float_round_mode_16_64 0
		.amdhsa_float_denorm_mode_32 3
		.amdhsa_float_denorm_mode_16_64 3
		.amdhsa_fp16_overflow 0
		.amdhsa_memory_ordered 1
		.amdhsa_forward_progress 1
		.amdhsa_inst_pref_size 6
		.amdhsa_round_robin_scheduling 0
		.amdhsa_exception_fp_ieee_invalid_op 0
		.amdhsa_exception_fp_denorm_src 0
		.amdhsa_exception_fp_ieee_div_zero 0
		.amdhsa_exception_fp_ieee_overflow 0
		.amdhsa_exception_fp_ieee_underflow 0
		.amdhsa_exception_fp_ieee_inexact 0
		.amdhsa_exception_int_div_zero 0
	.end_amdhsa_kernel
	.section	.text._ZN9rocsparseL21csrmvn_general_kernelILj256ELj4Eli18rocsparse_bfloat16S1_ffEEvbT2_NS_24const_host_device_scalarIT6_EEPKT1_S8_PKS2_PKT3_PKT4_S5_PT5_21rocsparse_index_base_b,"axG",@progbits,_ZN9rocsparseL21csrmvn_general_kernelILj256ELj4Eli18rocsparse_bfloat16S1_ffEEvbT2_NS_24const_host_device_scalarIT6_EEPKT1_S8_PKS2_PKT3_PKT4_S5_PT5_21rocsparse_index_base_b,comdat
.Lfunc_end243:
	.size	_ZN9rocsparseL21csrmvn_general_kernelILj256ELj4Eli18rocsparse_bfloat16S1_ffEEvbT2_NS_24const_host_device_scalarIT6_EEPKT1_S8_PKS2_PKT3_PKT4_S5_PT5_21rocsparse_index_base_b, .Lfunc_end243-_ZN9rocsparseL21csrmvn_general_kernelILj256ELj4Eli18rocsparse_bfloat16S1_ffEEvbT2_NS_24const_host_device_scalarIT6_EEPKT1_S8_PKS2_PKT3_PKT4_S5_PT5_21rocsparse_index_base_b
                                        ; -- End function
	.set _ZN9rocsparseL21csrmvn_general_kernelILj256ELj4Eli18rocsparse_bfloat16S1_ffEEvbT2_NS_24const_host_device_scalarIT6_EEPKT1_S8_PKS2_PKT3_PKT4_S5_PT5_21rocsparse_index_base_b.num_vgpr, 16
	.set _ZN9rocsparseL21csrmvn_general_kernelILj256ELj4Eli18rocsparse_bfloat16S1_ffEEvbT2_NS_24const_host_device_scalarIT6_EEPKT1_S8_PKS2_PKT3_PKT4_S5_PT5_21rocsparse_index_base_b.num_agpr, 0
	.set _ZN9rocsparseL21csrmvn_general_kernelILj256ELj4Eli18rocsparse_bfloat16S1_ffEEvbT2_NS_24const_host_device_scalarIT6_EEPKT1_S8_PKS2_PKT3_PKT4_S5_PT5_21rocsparse_index_base_b.numbered_sgpr, 23
	.set _ZN9rocsparseL21csrmvn_general_kernelILj256ELj4Eli18rocsparse_bfloat16S1_ffEEvbT2_NS_24const_host_device_scalarIT6_EEPKT1_S8_PKS2_PKT3_PKT4_S5_PT5_21rocsparse_index_base_b.num_named_barrier, 0
	.set _ZN9rocsparseL21csrmvn_general_kernelILj256ELj4Eli18rocsparse_bfloat16S1_ffEEvbT2_NS_24const_host_device_scalarIT6_EEPKT1_S8_PKS2_PKT3_PKT4_S5_PT5_21rocsparse_index_base_b.private_seg_size, 0
	.set _ZN9rocsparseL21csrmvn_general_kernelILj256ELj4Eli18rocsparse_bfloat16S1_ffEEvbT2_NS_24const_host_device_scalarIT6_EEPKT1_S8_PKS2_PKT3_PKT4_S5_PT5_21rocsparse_index_base_b.uses_vcc, 1
	.set _ZN9rocsparseL21csrmvn_general_kernelILj256ELj4Eli18rocsparse_bfloat16S1_ffEEvbT2_NS_24const_host_device_scalarIT6_EEPKT1_S8_PKS2_PKT3_PKT4_S5_PT5_21rocsparse_index_base_b.uses_flat_scratch, 0
	.set _ZN9rocsparseL21csrmvn_general_kernelILj256ELj4Eli18rocsparse_bfloat16S1_ffEEvbT2_NS_24const_host_device_scalarIT6_EEPKT1_S8_PKS2_PKT3_PKT4_S5_PT5_21rocsparse_index_base_b.has_dyn_sized_stack, 0
	.set _ZN9rocsparseL21csrmvn_general_kernelILj256ELj4Eli18rocsparse_bfloat16S1_ffEEvbT2_NS_24const_host_device_scalarIT6_EEPKT1_S8_PKS2_PKT3_PKT4_S5_PT5_21rocsparse_index_base_b.has_recursion, 0
	.set _ZN9rocsparseL21csrmvn_general_kernelILj256ELj4Eli18rocsparse_bfloat16S1_ffEEvbT2_NS_24const_host_device_scalarIT6_EEPKT1_S8_PKS2_PKT3_PKT4_S5_PT5_21rocsparse_index_base_b.has_indirect_call, 0
	.section	.AMDGPU.csdata,"",@progbits
; Kernel info:
; codeLenInByte = 708
; TotalNumSgprs: 25
; NumVgprs: 16
; ScratchSize: 0
; MemoryBound: 0
; FloatMode: 240
; IeeeMode: 1
; LDSByteSize: 0 bytes/workgroup (compile time only)
; SGPRBlocks: 0
; VGPRBlocks: 0
; NumSGPRsForWavesPerEU: 25
; NumVGPRsForWavesPerEU: 16
; NamedBarCnt: 0
; Occupancy: 16
; WaveLimiterHint : 1
; COMPUTE_PGM_RSRC2:SCRATCH_EN: 0
; COMPUTE_PGM_RSRC2:USER_SGPR: 2
; COMPUTE_PGM_RSRC2:TRAP_HANDLER: 0
; COMPUTE_PGM_RSRC2:TGID_X_EN: 1
; COMPUTE_PGM_RSRC2:TGID_Y_EN: 0
; COMPUTE_PGM_RSRC2:TGID_Z_EN: 0
; COMPUTE_PGM_RSRC2:TIDIG_COMP_CNT: 0
	.section	.text._ZN9rocsparseL21csrmvn_general_kernelILj256ELj8Eli18rocsparse_bfloat16S1_ffEEvbT2_NS_24const_host_device_scalarIT6_EEPKT1_S8_PKS2_PKT3_PKT4_S5_PT5_21rocsparse_index_base_b,"axG",@progbits,_ZN9rocsparseL21csrmvn_general_kernelILj256ELj8Eli18rocsparse_bfloat16S1_ffEEvbT2_NS_24const_host_device_scalarIT6_EEPKT1_S8_PKS2_PKT3_PKT4_S5_PT5_21rocsparse_index_base_b,comdat
	.globl	_ZN9rocsparseL21csrmvn_general_kernelILj256ELj8Eli18rocsparse_bfloat16S1_ffEEvbT2_NS_24const_host_device_scalarIT6_EEPKT1_S8_PKS2_PKT3_PKT4_S5_PT5_21rocsparse_index_base_b ; -- Begin function _ZN9rocsparseL21csrmvn_general_kernelILj256ELj8Eli18rocsparse_bfloat16S1_ffEEvbT2_NS_24const_host_device_scalarIT6_EEPKT1_S8_PKS2_PKT3_PKT4_S5_PT5_21rocsparse_index_base_b
	.p2align	8
	.type	_ZN9rocsparseL21csrmvn_general_kernelILj256ELj8Eli18rocsparse_bfloat16S1_ffEEvbT2_NS_24const_host_device_scalarIT6_EEPKT1_S8_PKS2_PKT3_PKT4_S5_PT5_21rocsparse_index_base_b,@function
_ZN9rocsparseL21csrmvn_general_kernelILj256ELj8Eli18rocsparse_bfloat16S1_ffEEvbT2_NS_24const_host_device_scalarIT6_EEPKT1_S8_PKS2_PKT3_PKT4_S5_PT5_21rocsparse_index_base_b: ; @_ZN9rocsparseL21csrmvn_general_kernelILj256ELj8Eli18rocsparse_bfloat16S1_ffEEvbT2_NS_24const_host_device_scalarIT6_EEPKT1_S8_PKS2_PKT3_PKT4_S5_PT5_21rocsparse_index_base_b
; %bb.0:
	s_clause 0x2
	s_load_b64 s[2:3], s[0:1], 0x48
	s_load_b128 s[12:15], s[0:1], 0x8
	s_load_b64 s[16:17], s[0:1], 0x38
	s_wait_kmcnt 0x0
	s_bitcmp1_b32 s3, 0
	s_cselect_b32 s3, -1, 0
	s_delay_alu instid0(SALU_CYCLE_1)
	s_and_b32 vcc_lo, exec_lo, s3
	s_xor_b32 s3, s3, -1
	s_cbranch_vccnz .LBB244_2
; %bb.1:
	s_load_b32 s12, s[12:13], 0x0
.LBB244_2:
	s_and_not1_b32 vcc_lo, exec_lo, s3
	s_cbranch_vccnz .LBB244_4
; %bb.3:
	s_load_b32 s16, s[16:17], 0x0
.LBB244_4:
	s_wait_kmcnt 0x0
	s_cmp_neq_f32 s12, 0
	s_cselect_b32 s3, -1, 0
	s_cmp_neq_f32 s16, 1.0
	s_cselect_b32 s4, -1, 0
	s_delay_alu instid0(SALU_CYCLE_1) | instskip(NEXT) | instid1(SALU_CYCLE_1)
	s_or_b32 s3, s3, s4
	s_and_not1_b32 vcc_lo, exec_lo, s3
	s_cbranch_vccnz .LBB244_16
; %bb.5:
	s_bfe_u32 s3, ttmp6, 0x4000c
	s_load_b32 s13, s[0:1], 0x4
	s_add_co_i32 s3, s3, 1
	s_and_b32 s4, ttmp6, 15
	s_mul_i32 s3, ttmp9, s3
	s_getreg_b32 s5, hwreg(HW_REG_IB_STS2, 6, 4)
	s_add_co_i32 s4, s4, s3
	s_cmp_eq_u32 s5, 0
	s_cselect_b32 s3, ttmp9, s4
	s_delay_alu instid0(SALU_CYCLE_1) | instskip(SKIP_1) | instid1(VALU_DEP_1)
	v_lshl_or_b32 v1, s3, 8, v0
	s_mov_b32 s3, exec_lo
	v_lshrrev_b32_e32 v2, 3, v1
	s_wait_kmcnt 0x0
	s_delay_alu instid0(VALU_DEP_1)
	v_cmpx_gt_i32_e64 s13, v2
	s_cbranch_execz .LBB244_16
; %bb.6:
	v_dual_mov_b32 v5, 0 :: v_dual_bitop2_b32 v4, 7, v0 bitop3:0x40
	v_mbcnt_lo_u32_b32 v3, -1, 0
	s_mov_b32 s3, 0
	s_clause 0x2
	s_load_b32 s17, s[0:1], 0x50
	s_load_b64 s[18:19], s[0:1], 0x40
	s_load_b256 s[4:11], s[0:1], 0x18
	s_wait_xcnt 0x0
	s_ashr_i32 s1, s2, 31
	v_sub_nc_u64_e64 v[0:1], v[4:5], s[2:3]
	v_xor_b32_e32 v5, 1, v3
	v_xor_b32_e32 v6, 4, v3
	s_mov_b32 s0, s2
	s_delay_alu instid0(SALU_CYCLE_1) | instskip(SKIP_1) | instid1(VALU_DEP_2)
	s_lshl_b64 s[20:21], s[0:1], 1
	v_cmp_eq_u32_e64 s0, 7, v4
	v_cmp_gt_i32_e32 vcc_lo, 32, v6
	v_dual_cndmask_b32 v6, v3, v6, vcc_lo :: v_dual_bitop2_b32 v7, 2, v3 bitop3:0x14
	s_delay_alu instid0(VALU_DEP_1) | instskip(SKIP_2) | instid1(VALU_DEP_2)
	v_cmp_gt_i32_e32 vcc_lo, 32, v7
	s_wait_kmcnt 0x0
	s_lshl_b32 s1, s17, 5
	v_dual_cndmask_b32 v7, v3, v7 :: v_dual_lshlrev_b32 v12, 2, v6
	v_cmp_gt_i32_e32 vcc_lo, 32, v5
	s_cmp_neq_f32 s16, 0
	s_sub_nc_u64 s[10:11], s[10:11], s[20:21]
	s_mov_b32 s20, s3
	v_dual_lshlrev_b32 v13, 2, v7 :: v_dual_cndmask_b32 v3, v3, v5, vcc_lo
	s_cselect_b32 s17, -1, 0
	s_delay_alu instid0(VALU_DEP_1)
	v_lshlrev_b32_e32 v14, 2, v3
	s_branch .LBB244_9
.LBB244_7:                              ;   in Loop: Header=BB244_9 Depth=1
	global_store_b32 v[4:5], v6, off
.LBB244_8:                              ;   in Loop: Header=BB244_9 Depth=1
	s_wait_xcnt 0x0
	s_or_b32 exec_lo, exec_lo, s21
	v_add_nc_u32_e32 v2, s1, v2
	s_delay_alu instid0(VALU_DEP_1) | instskip(SKIP_1) | instid1(SALU_CYCLE_1)
	v_cmp_le_i32_e32 vcc_lo, s13, v2
	s_or_b32 s20, vcc_lo, s20
	s_and_not1_b32 exec_lo, exec_lo, s20
	s_cbranch_execz .LBB244_16
.LBB244_9:                              ; =>This Loop Header: Depth=1
                                        ;     Child Loop BB244_11 Depth 2
	s_wait_dscnt 0x0
	s_clause 0x1
	global_load_b64 v[4:5], v2, s[4:5] scale_offset
	global_load_b64 v[6:7], v2, s[14:15] scale_offset
	v_mov_b32_e32 v15, 0
	s_mov_b32 s21, exec_lo
	s_wait_loadcnt 0x1
	v_sub_nc_u64_e64 v[4:5], v[4:5], s[2:3]
	s_wait_loadcnt 0x0
	v_add_nc_u64_e32 v[6:7], v[6:7], v[0:1]
	s_wait_xcnt 0x0
	s_delay_alu instid0(VALU_DEP_1)
	v_cmpx_lt_i64_e64 v[6:7], v[4:5]
	s_cbranch_execz .LBB244_13
; %bb.10:                               ;   in Loop: Header=BB244_9 Depth=1
	v_lshl_add_u64 v[8:9], v[6:7], 1, s[8:9]
	v_lshl_add_u64 v[10:11], v[6:7], 2, s[6:7]
	v_mov_b32_e32 v15, 0
	s_mov_b32 s22, 0
.LBB244_11:                             ;   Parent Loop BB244_9 Depth=1
                                        ; =>  This Inner Loop Header: Depth=2
	global_load_b32 v3, v[10:11], off
	global_load_u16 v16, v[8:9], off
	v_add_nc_u64_e32 v[6:7], 8, v[6:7]
	s_wait_xcnt 0x0
	v_add_nc_u64_e32 v[8:9], 16, v[8:9]
	v_add_nc_u64_e32 v[10:11], 32, v[10:11]
	s_delay_alu instid0(VALU_DEP_3)
	v_cmp_ge_i64_e32 vcc_lo, v[6:7], v[4:5]
	s_or_b32 s22, vcc_lo, s22
	s_wait_loadcnt 0x1
	global_load_u16 v3, v3, s[10:11] scale_offset
	s_wait_loadcnt 0x1
	v_lshlrev_b32_e32 v16, 16, v16
	s_delay_alu instid0(VALU_DEP_1) | instskip(SKIP_1) | instid1(VALU_DEP_1)
	v_mul_f32_e32 v16, s12, v16
	s_wait_loadcnt 0x0
	v_fma_mix_f32_bf16 v15, v16, v3, v15 op_sel_hi:[0,1,0]
	s_wait_xcnt 0x0
	s_and_not1_b32 exec_lo, exec_lo, s22
	s_cbranch_execnz .LBB244_11
; %bb.12:                               ;   in Loop: Header=BB244_9 Depth=1
	s_or_b32 exec_lo, exec_lo, s22
.LBB244_13:                             ;   in Loop: Header=BB244_9 Depth=1
	s_delay_alu instid0(SALU_CYCLE_1)
	s_or_b32 exec_lo, exec_lo, s21
	ds_bpermute_b32 v4, v12, v15
	s_wait_dscnt 0x0
	v_dual_add_f32 v4, v15, v4 :: v_dual_ashrrev_i32 v3, 31, v2
	ds_bpermute_b32 v5, v13, v4
	s_wait_dscnt 0x0
	v_add_f32_e32 v4, v4, v5
	ds_bpermute_b32 v5, v14, v4
	s_and_saveexec_b32 s21, s0
	s_cbranch_execz .LBB244_8
; %bb.14:                               ;   in Loop: Header=BB244_9 Depth=1
	s_wait_dscnt 0x0
	v_add_f32_e32 v6, v4, v5
	v_lshl_add_u64 v[4:5], v[2:3], 2, s[18:19]
	s_and_not1_b32 vcc_lo, exec_lo, s17
	s_cbranch_vccnz .LBB244_7
; %bb.15:                               ;   in Loop: Header=BB244_9 Depth=1
	global_load_b32 v3, v[4:5], off
	s_wait_loadcnt 0x0
	v_fmac_f32_e32 v6, s16, v3
	s_branch .LBB244_7
.LBB244_16:
	s_endpgm
	.section	.rodata,"a",@progbits
	.p2align	6, 0x0
	.amdhsa_kernel _ZN9rocsparseL21csrmvn_general_kernelILj256ELj8Eli18rocsparse_bfloat16S1_ffEEvbT2_NS_24const_host_device_scalarIT6_EEPKT1_S8_PKS2_PKT3_PKT4_S5_PT5_21rocsparse_index_base_b
		.amdhsa_group_segment_fixed_size 0
		.amdhsa_private_segment_fixed_size 0
		.amdhsa_kernarg_size 336
		.amdhsa_user_sgpr_count 2
		.amdhsa_user_sgpr_dispatch_ptr 0
		.amdhsa_user_sgpr_queue_ptr 0
		.amdhsa_user_sgpr_kernarg_segment_ptr 1
		.amdhsa_user_sgpr_dispatch_id 0
		.amdhsa_user_sgpr_kernarg_preload_length 0
		.amdhsa_user_sgpr_kernarg_preload_offset 0
		.amdhsa_user_sgpr_private_segment_size 0
		.amdhsa_wavefront_size32 1
		.amdhsa_uses_dynamic_stack 0
		.amdhsa_enable_private_segment 0
		.amdhsa_system_sgpr_workgroup_id_x 1
		.amdhsa_system_sgpr_workgroup_id_y 0
		.amdhsa_system_sgpr_workgroup_id_z 0
		.amdhsa_system_sgpr_workgroup_info 0
		.amdhsa_system_vgpr_workitem_id 0
		.amdhsa_next_free_vgpr 17
		.amdhsa_next_free_sgpr 23
		.amdhsa_named_barrier_count 0
		.amdhsa_reserve_vcc 1
		.amdhsa_float_round_mode_32 0
		.amdhsa_float_round_mode_16_64 0
		.amdhsa_float_denorm_mode_32 3
		.amdhsa_float_denorm_mode_16_64 3
		.amdhsa_fp16_overflow 0
		.amdhsa_memory_ordered 1
		.amdhsa_forward_progress 1
		.amdhsa_inst_pref_size 6
		.amdhsa_round_robin_scheduling 0
		.amdhsa_exception_fp_ieee_invalid_op 0
		.amdhsa_exception_fp_denorm_src 0
		.amdhsa_exception_fp_ieee_div_zero 0
		.amdhsa_exception_fp_ieee_overflow 0
		.amdhsa_exception_fp_ieee_underflow 0
		.amdhsa_exception_fp_ieee_inexact 0
		.amdhsa_exception_int_div_zero 0
	.end_amdhsa_kernel
	.section	.text._ZN9rocsparseL21csrmvn_general_kernelILj256ELj8Eli18rocsparse_bfloat16S1_ffEEvbT2_NS_24const_host_device_scalarIT6_EEPKT1_S8_PKS2_PKT3_PKT4_S5_PT5_21rocsparse_index_base_b,"axG",@progbits,_ZN9rocsparseL21csrmvn_general_kernelILj256ELj8Eli18rocsparse_bfloat16S1_ffEEvbT2_NS_24const_host_device_scalarIT6_EEPKT1_S8_PKS2_PKT3_PKT4_S5_PT5_21rocsparse_index_base_b,comdat
.Lfunc_end244:
	.size	_ZN9rocsparseL21csrmvn_general_kernelILj256ELj8Eli18rocsparse_bfloat16S1_ffEEvbT2_NS_24const_host_device_scalarIT6_EEPKT1_S8_PKS2_PKT3_PKT4_S5_PT5_21rocsparse_index_base_b, .Lfunc_end244-_ZN9rocsparseL21csrmvn_general_kernelILj256ELj8Eli18rocsparse_bfloat16S1_ffEEvbT2_NS_24const_host_device_scalarIT6_EEPKT1_S8_PKS2_PKT3_PKT4_S5_PT5_21rocsparse_index_base_b
                                        ; -- End function
	.set _ZN9rocsparseL21csrmvn_general_kernelILj256ELj8Eli18rocsparse_bfloat16S1_ffEEvbT2_NS_24const_host_device_scalarIT6_EEPKT1_S8_PKS2_PKT3_PKT4_S5_PT5_21rocsparse_index_base_b.num_vgpr, 17
	.set _ZN9rocsparseL21csrmvn_general_kernelILj256ELj8Eli18rocsparse_bfloat16S1_ffEEvbT2_NS_24const_host_device_scalarIT6_EEPKT1_S8_PKS2_PKT3_PKT4_S5_PT5_21rocsparse_index_base_b.num_agpr, 0
	.set _ZN9rocsparseL21csrmvn_general_kernelILj256ELj8Eli18rocsparse_bfloat16S1_ffEEvbT2_NS_24const_host_device_scalarIT6_EEPKT1_S8_PKS2_PKT3_PKT4_S5_PT5_21rocsparse_index_base_b.numbered_sgpr, 23
	.set _ZN9rocsparseL21csrmvn_general_kernelILj256ELj8Eli18rocsparse_bfloat16S1_ffEEvbT2_NS_24const_host_device_scalarIT6_EEPKT1_S8_PKS2_PKT3_PKT4_S5_PT5_21rocsparse_index_base_b.num_named_barrier, 0
	.set _ZN9rocsparseL21csrmvn_general_kernelILj256ELj8Eli18rocsparse_bfloat16S1_ffEEvbT2_NS_24const_host_device_scalarIT6_EEPKT1_S8_PKS2_PKT3_PKT4_S5_PT5_21rocsparse_index_base_b.private_seg_size, 0
	.set _ZN9rocsparseL21csrmvn_general_kernelILj256ELj8Eli18rocsparse_bfloat16S1_ffEEvbT2_NS_24const_host_device_scalarIT6_EEPKT1_S8_PKS2_PKT3_PKT4_S5_PT5_21rocsparse_index_base_b.uses_vcc, 1
	.set _ZN9rocsparseL21csrmvn_general_kernelILj256ELj8Eli18rocsparse_bfloat16S1_ffEEvbT2_NS_24const_host_device_scalarIT6_EEPKT1_S8_PKS2_PKT3_PKT4_S5_PT5_21rocsparse_index_base_b.uses_flat_scratch, 0
	.set _ZN9rocsparseL21csrmvn_general_kernelILj256ELj8Eli18rocsparse_bfloat16S1_ffEEvbT2_NS_24const_host_device_scalarIT6_EEPKT1_S8_PKS2_PKT3_PKT4_S5_PT5_21rocsparse_index_base_b.has_dyn_sized_stack, 0
	.set _ZN9rocsparseL21csrmvn_general_kernelILj256ELj8Eli18rocsparse_bfloat16S1_ffEEvbT2_NS_24const_host_device_scalarIT6_EEPKT1_S8_PKS2_PKT3_PKT4_S5_PT5_21rocsparse_index_base_b.has_recursion, 0
	.set _ZN9rocsparseL21csrmvn_general_kernelILj256ELj8Eli18rocsparse_bfloat16S1_ffEEvbT2_NS_24const_host_device_scalarIT6_EEPKT1_S8_PKS2_PKT3_PKT4_S5_PT5_21rocsparse_index_base_b.has_indirect_call, 0
	.section	.AMDGPU.csdata,"",@progbits
; Kernel info:
; codeLenInByte = 752
; TotalNumSgprs: 25
; NumVgprs: 17
; ScratchSize: 0
; MemoryBound: 0
; FloatMode: 240
; IeeeMode: 1
; LDSByteSize: 0 bytes/workgroup (compile time only)
; SGPRBlocks: 0
; VGPRBlocks: 1
; NumSGPRsForWavesPerEU: 25
; NumVGPRsForWavesPerEU: 17
; NamedBarCnt: 0
; Occupancy: 16
; WaveLimiterHint : 1
; COMPUTE_PGM_RSRC2:SCRATCH_EN: 0
; COMPUTE_PGM_RSRC2:USER_SGPR: 2
; COMPUTE_PGM_RSRC2:TRAP_HANDLER: 0
; COMPUTE_PGM_RSRC2:TGID_X_EN: 1
; COMPUTE_PGM_RSRC2:TGID_Y_EN: 0
; COMPUTE_PGM_RSRC2:TGID_Z_EN: 0
; COMPUTE_PGM_RSRC2:TIDIG_COMP_CNT: 0
	.section	.text._ZN9rocsparseL21csrmvn_general_kernelILj256ELj16Eli18rocsparse_bfloat16S1_ffEEvbT2_NS_24const_host_device_scalarIT6_EEPKT1_S8_PKS2_PKT3_PKT4_S5_PT5_21rocsparse_index_base_b,"axG",@progbits,_ZN9rocsparseL21csrmvn_general_kernelILj256ELj16Eli18rocsparse_bfloat16S1_ffEEvbT2_NS_24const_host_device_scalarIT6_EEPKT1_S8_PKS2_PKT3_PKT4_S5_PT5_21rocsparse_index_base_b,comdat
	.globl	_ZN9rocsparseL21csrmvn_general_kernelILj256ELj16Eli18rocsparse_bfloat16S1_ffEEvbT2_NS_24const_host_device_scalarIT6_EEPKT1_S8_PKS2_PKT3_PKT4_S5_PT5_21rocsparse_index_base_b ; -- Begin function _ZN9rocsparseL21csrmvn_general_kernelILj256ELj16Eli18rocsparse_bfloat16S1_ffEEvbT2_NS_24const_host_device_scalarIT6_EEPKT1_S8_PKS2_PKT3_PKT4_S5_PT5_21rocsparse_index_base_b
	.p2align	8
	.type	_ZN9rocsparseL21csrmvn_general_kernelILj256ELj16Eli18rocsparse_bfloat16S1_ffEEvbT2_NS_24const_host_device_scalarIT6_EEPKT1_S8_PKS2_PKT3_PKT4_S5_PT5_21rocsparse_index_base_b,@function
_ZN9rocsparseL21csrmvn_general_kernelILj256ELj16Eli18rocsparse_bfloat16S1_ffEEvbT2_NS_24const_host_device_scalarIT6_EEPKT1_S8_PKS2_PKT3_PKT4_S5_PT5_21rocsparse_index_base_b: ; @_ZN9rocsparseL21csrmvn_general_kernelILj256ELj16Eli18rocsparse_bfloat16S1_ffEEvbT2_NS_24const_host_device_scalarIT6_EEPKT1_S8_PKS2_PKT3_PKT4_S5_PT5_21rocsparse_index_base_b
; %bb.0:
	s_clause 0x2
	s_load_b64 s[2:3], s[0:1], 0x48
	s_load_b128 s[12:15], s[0:1], 0x8
	s_load_b64 s[16:17], s[0:1], 0x38
	s_wait_kmcnt 0x0
	s_bitcmp1_b32 s3, 0
	s_cselect_b32 s3, -1, 0
	s_delay_alu instid0(SALU_CYCLE_1)
	s_and_b32 vcc_lo, exec_lo, s3
	s_xor_b32 s3, s3, -1
	s_cbranch_vccnz .LBB245_2
; %bb.1:
	s_load_b32 s12, s[12:13], 0x0
.LBB245_2:
	s_and_not1_b32 vcc_lo, exec_lo, s3
	s_cbranch_vccnz .LBB245_4
; %bb.3:
	s_load_b32 s16, s[16:17], 0x0
.LBB245_4:
	s_wait_kmcnt 0x0
	s_cmp_neq_f32 s12, 0
	s_cselect_b32 s3, -1, 0
	s_cmp_neq_f32 s16, 1.0
	s_cselect_b32 s4, -1, 0
	s_delay_alu instid0(SALU_CYCLE_1) | instskip(NEXT) | instid1(SALU_CYCLE_1)
	s_or_b32 s3, s3, s4
	s_and_not1_b32 vcc_lo, exec_lo, s3
	s_cbranch_vccnz .LBB245_16
; %bb.5:
	s_bfe_u32 s3, ttmp6, 0x4000c
	s_load_b32 s13, s[0:1], 0x4
	s_add_co_i32 s3, s3, 1
	s_and_b32 s4, ttmp6, 15
	s_mul_i32 s3, ttmp9, s3
	s_getreg_b32 s5, hwreg(HW_REG_IB_STS2, 6, 4)
	s_add_co_i32 s4, s4, s3
	s_cmp_eq_u32 s5, 0
	s_cselect_b32 s3, ttmp9, s4
	s_delay_alu instid0(SALU_CYCLE_1) | instskip(SKIP_1) | instid1(VALU_DEP_1)
	v_lshl_or_b32 v1, s3, 8, v0
	s_mov_b32 s3, exec_lo
	v_lshrrev_b32_e32 v2, 4, v1
	s_wait_kmcnt 0x0
	s_delay_alu instid0(VALU_DEP_1)
	v_cmpx_gt_i32_e64 s13, v2
	s_cbranch_execz .LBB245_16
; %bb.6:
	v_dual_mov_b32 v5, 0 :: v_dual_bitop2_b32 v4, 15, v0 bitop3:0x40
	v_mbcnt_lo_u32_b32 v3, -1, 0
	s_mov_b32 s3, 0
	s_clause 0x2
	s_load_b32 s17, s[0:1], 0x50
	s_load_b64 s[18:19], s[0:1], 0x40
	s_load_b256 s[4:11], s[0:1], 0x18
	s_wait_xcnt 0x0
	s_ashr_i32 s1, s2, 31
	v_sub_nc_u64_e64 v[0:1], v[4:5], s[2:3]
	v_xor_b32_e32 v5, 4, v3
	v_xor_b32_e32 v6, 8, v3
	s_mov_b32 s0, s2
	s_delay_alu instid0(SALU_CYCLE_1) | instskip(SKIP_1) | instid1(VALU_DEP_2)
	s_lshl_b64 s[20:21], s[0:1], 1
	v_cmp_eq_u32_e64 s0, 15, v4
	v_cmp_gt_i32_e32 vcc_lo, 32, v6
	v_dual_cndmask_b32 v6, v3, v6, vcc_lo :: v_dual_bitop2_b32 v8, 1, v3 bitop3:0x14
	v_cmp_gt_i32_e32 vcc_lo, 32, v5
	s_wait_kmcnt 0x0
	s_lshl_b32 s1, s17, 4
	s_delay_alu instid0(VALU_DEP_2)
	v_dual_lshlrev_b32 v12, 2, v6 :: v_dual_bitop2_b32 v7, 2, v3 bitop3:0x14
	v_cndmask_b32_e32 v5, v3, v5, vcc_lo
	s_cmp_neq_f32 s16, 0
	s_sub_nc_u64 s[10:11], s[10:11], s[20:21]
	s_mov_b32 s20, s3
	v_cmp_gt_i32_e32 vcc_lo, 32, v7
	v_lshlrev_b32_e32 v13, 2, v5
	s_cselect_b32 s17, -1, 0
	v_cndmask_b32_e32 v7, v3, v7, vcc_lo
	v_cmp_gt_i32_e32 vcc_lo, 32, v8
	s_delay_alu instid0(VALU_DEP_2) | instskip(NEXT) | instid1(VALU_DEP_1)
	v_dual_cndmask_b32 v3, v3, v8 :: v_dual_lshlrev_b32 v14, 2, v7
	v_lshlrev_b32_e32 v15, 2, v3
	s_branch .LBB245_9
.LBB245_7:                              ;   in Loop: Header=BB245_9 Depth=1
	global_store_b32 v[4:5], v6, off
.LBB245_8:                              ;   in Loop: Header=BB245_9 Depth=1
	s_wait_xcnt 0x0
	s_or_b32 exec_lo, exec_lo, s21
	v_add_nc_u32_e32 v2, s1, v2
	s_delay_alu instid0(VALU_DEP_1) | instskip(SKIP_1) | instid1(SALU_CYCLE_1)
	v_cmp_le_i32_e32 vcc_lo, s13, v2
	s_or_b32 s20, vcc_lo, s20
	s_and_not1_b32 exec_lo, exec_lo, s20
	s_cbranch_execz .LBB245_16
.LBB245_9:                              ; =>This Loop Header: Depth=1
                                        ;     Child Loop BB245_11 Depth 2
	s_wait_dscnt 0x0
	s_clause 0x1
	global_load_b64 v[4:5], v2, s[4:5] scale_offset
	global_load_b64 v[6:7], v2, s[14:15] scale_offset
	v_mov_b32_e32 v16, 0
	s_mov_b32 s21, exec_lo
	s_wait_loadcnt 0x1
	v_sub_nc_u64_e64 v[4:5], v[4:5], s[2:3]
	s_wait_loadcnt 0x0
	v_add_nc_u64_e32 v[6:7], v[6:7], v[0:1]
	s_wait_xcnt 0x0
	s_delay_alu instid0(VALU_DEP_1)
	v_cmpx_lt_i64_e64 v[6:7], v[4:5]
	s_cbranch_execz .LBB245_13
; %bb.10:                               ;   in Loop: Header=BB245_9 Depth=1
	v_lshl_add_u64 v[8:9], v[6:7], 1, s[8:9]
	v_lshl_add_u64 v[10:11], v[6:7], 2, s[6:7]
	v_mov_b32_e32 v16, 0
	s_mov_b32 s22, 0
.LBB245_11:                             ;   Parent Loop BB245_9 Depth=1
                                        ; =>  This Inner Loop Header: Depth=2
	global_load_b32 v3, v[10:11], off
	global_load_u16 v17, v[8:9], off
	v_add_nc_u64_e32 v[6:7], 16, v[6:7]
	s_wait_xcnt 0x0
	v_add_nc_u64_e32 v[8:9], 32, v[8:9]
	v_add_nc_u64_e32 v[10:11], 64, v[10:11]
	s_delay_alu instid0(VALU_DEP_3)
	v_cmp_ge_i64_e32 vcc_lo, v[6:7], v[4:5]
	s_or_b32 s22, vcc_lo, s22
	s_wait_loadcnt 0x1
	global_load_u16 v3, v3, s[10:11] scale_offset
	s_wait_loadcnt 0x1
	v_lshlrev_b32_e32 v17, 16, v17
	s_delay_alu instid0(VALU_DEP_1) | instskip(SKIP_1) | instid1(VALU_DEP_1)
	v_mul_f32_e32 v17, s12, v17
	s_wait_loadcnt 0x0
	v_fma_mix_f32_bf16 v16, v17, v3, v16 op_sel_hi:[0,1,0]
	s_wait_xcnt 0x0
	s_and_not1_b32 exec_lo, exec_lo, s22
	s_cbranch_execnz .LBB245_11
; %bb.12:                               ;   in Loop: Header=BB245_9 Depth=1
	s_or_b32 exec_lo, exec_lo, s22
.LBB245_13:                             ;   in Loop: Header=BB245_9 Depth=1
	s_delay_alu instid0(SALU_CYCLE_1)
	s_or_b32 exec_lo, exec_lo, s21
	ds_bpermute_b32 v4, v12, v16
	s_wait_dscnt 0x0
	v_dual_add_f32 v4, v16, v4 :: v_dual_ashrrev_i32 v3, 31, v2
	ds_bpermute_b32 v5, v13, v4
	s_wait_dscnt 0x0
	v_add_f32_e32 v4, v4, v5
	ds_bpermute_b32 v5, v14, v4
	s_wait_dscnt 0x0
	v_add_f32_e32 v4, v4, v5
	ds_bpermute_b32 v5, v15, v4
	s_and_saveexec_b32 s21, s0
	s_cbranch_execz .LBB245_8
; %bb.14:                               ;   in Loop: Header=BB245_9 Depth=1
	s_wait_dscnt 0x0
	v_add_f32_e32 v6, v4, v5
	v_lshl_add_u64 v[4:5], v[2:3], 2, s[18:19]
	s_and_not1_b32 vcc_lo, exec_lo, s17
	s_cbranch_vccnz .LBB245_7
; %bb.15:                               ;   in Loop: Header=BB245_9 Depth=1
	global_load_b32 v3, v[4:5], off
	s_wait_loadcnt 0x0
	v_fmac_f32_e32 v6, s16, v3
	s_branch .LBB245_7
.LBB245_16:
	s_endpgm
	.section	.rodata,"a",@progbits
	.p2align	6, 0x0
	.amdhsa_kernel _ZN9rocsparseL21csrmvn_general_kernelILj256ELj16Eli18rocsparse_bfloat16S1_ffEEvbT2_NS_24const_host_device_scalarIT6_EEPKT1_S8_PKS2_PKT3_PKT4_S5_PT5_21rocsparse_index_base_b
		.amdhsa_group_segment_fixed_size 0
		.amdhsa_private_segment_fixed_size 0
		.amdhsa_kernarg_size 336
		.amdhsa_user_sgpr_count 2
		.amdhsa_user_sgpr_dispatch_ptr 0
		.amdhsa_user_sgpr_queue_ptr 0
		.amdhsa_user_sgpr_kernarg_segment_ptr 1
		.amdhsa_user_sgpr_dispatch_id 0
		.amdhsa_user_sgpr_kernarg_preload_length 0
		.amdhsa_user_sgpr_kernarg_preload_offset 0
		.amdhsa_user_sgpr_private_segment_size 0
		.amdhsa_wavefront_size32 1
		.amdhsa_uses_dynamic_stack 0
		.amdhsa_enable_private_segment 0
		.amdhsa_system_sgpr_workgroup_id_x 1
		.amdhsa_system_sgpr_workgroup_id_y 0
		.amdhsa_system_sgpr_workgroup_id_z 0
		.amdhsa_system_sgpr_workgroup_info 0
		.amdhsa_system_vgpr_workitem_id 0
		.amdhsa_next_free_vgpr 18
		.amdhsa_next_free_sgpr 23
		.amdhsa_named_barrier_count 0
		.amdhsa_reserve_vcc 1
		.amdhsa_float_round_mode_32 0
		.amdhsa_float_round_mode_16_64 0
		.amdhsa_float_denorm_mode_32 3
		.amdhsa_float_denorm_mode_16_64 3
		.amdhsa_fp16_overflow 0
		.amdhsa_memory_ordered 1
		.amdhsa_forward_progress 1
		.amdhsa_inst_pref_size 7
		.amdhsa_round_robin_scheduling 0
		.amdhsa_exception_fp_ieee_invalid_op 0
		.amdhsa_exception_fp_denorm_src 0
		.amdhsa_exception_fp_ieee_div_zero 0
		.amdhsa_exception_fp_ieee_overflow 0
		.amdhsa_exception_fp_ieee_underflow 0
		.amdhsa_exception_fp_ieee_inexact 0
		.amdhsa_exception_int_div_zero 0
	.end_amdhsa_kernel
	.section	.text._ZN9rocsparseL21csrmvn_general_kernelILj256ELj16Eli18rocsparse_bfloat16S1_ffEEvbT2_NS_24const_host_device_scalarIT6_EEPKT1_S8_PKS2_PKT3_PKT4_S5_PT5_21rocsparse_index_base_b,"axG",@progbits,_ZN9rocsparseL21csrmvn_general_kernelILj256ELj16Eli18rocsparse_bfloat16S1_ffEEvbT2_NS_24const_host_device_scalarIT6_EEPKT1_S8_PKS2_PKT3_PKT4_S5_PT5_21rocsparse_index_base_b,comdat
.Lfunc_end245:
	.size	_ZN9rocsparseL21csrmvn_general_kernelILj256ELj16Eli18rocsparse_bfloat16S1_ffEEvbT2_NS_24const_host_device_scalarIT6_EEPKT1_S8_PKS2_PKT3_PKT4_S5_PT5_21rocsparse_index_base_b, .Lfunc_end245-_ZN9rocsparseL21csrmvn_general_kernelILj256ELj16Eli18rocsparse_bfloat16S1_ffEEvbT2_NS_24const_host_device_scalarIT6_EEPKT1_S8_PKS2_PKT3_PKT4_S5_PT5_21rocsparse_index_base_b
                                        ; -- End function
	.set _ZN9rocsparseL21csrmvn_general_kernelILj256ELj16Eli18rocsparse_bfloat16S1_ffEEvbT2_NS_24const_host_device_scalarIT6_EEPKT1_S8_PKS2_PKT3_PKT4_S5_PT5_21rocsparse_index_base_b.num_vgpr, 18
	.set _ZN9rocsparseL21csrmvn_general_kernelILj256ELj16Eli18rocsparse_bfloat16S1_ffEEvbT2_NS_24const_host_device_scalarIT6_EEPKT1_S8_PKS2_PKT3_PKT4_S5_PT5_21rocsparse_index_base_b.num_agpr, 0
	.set _ZN9rocsparseL21csrmvn_general_kernelILj256ELj16Eli18rocsparse_bfloat16S1_ffEEvbT2_NS_24const_host_device_scalarIT6_EEPKT1_S8_PKS2_PKT3_PKT4_S5_PT5_21rocsparse_index_base_b.numbered_sgpr, 23
	.set _ZN9rocsparseL21csrmvn_general_kernelILj256ELj16Eli18rocsparse_bfloat16S1_ffEEvbT2_NS_24const_host_device_scalarIT6_EEPKT1_S8_PKS2_PKT3_PKT4_S5_PT5_21rocsparse_index_base_b.num_named_barrier, 0
	.set _ZN9rocsparseL21csrmvn_general_kernelILj256ELj16Eli18rocsparse_bfloat16S1_ffEEvbT2_NS_24const_host_device_scalarIT6_EEPKT1_S8_PKS2_PKT3_PKT4_S5_PT5_21rocsparse_index_base_b.private_seg_size, 0
	.set _ZN9rocsparseL21csrmvn_general_kernelILj256ELj16Eli18rocsparse_bfloat16S1_ffEEvbT2_NS_24const_host_device_scalarIT6_EEPKT1_S8_PKS2_PKT3_PKT4_S5_PT5_21rocsparse_index_base_b.uses_vcc, 1
	.set _ZN9rocsparseL21csrmvn_general_kernelILj256ELj16Eli18rocsparse_bfloat16S1_ffEEvbT2_NS_24const_host_device_scalarIT6_EEPKT1_S8_PKS2_PKT3_PKT4_S5_PT5_21rocsparse_index_base_b.uses_flat_scratch, 0
	.set _ZN9rocsparseL21csrmvn_general_kernelILj256ELj16Eli18rocsparse_bfloat16S1_ffEEvbT2_NS_24const_host_device_scalarIT6_EEPKT1_S8_PKS2_PKT3_PKT4_S5_PT5_21rocsparse_index_base_b.has_dyn_sized_stack, 0
	.set _ZN9rocsparseL21csrmvn_general_kernelILj256ELj16Eli18rocsparse_bfloat16S1_ffEEvbT2_NS_24const_host_device_scalarIT6_EEPKT1_S8_PKS2_PKT3_PKT4_S5_PT5_21rocsparse_index_base_b.has_recursion, 0
	.set _ZN9rocsparseL21csrmvn_general_kernelILj256ELj16Eli18rocsparse_bfloat16S1_ffEEvbT2_NS_24const_host_device_scalarIT6_EEPKT1_S8_PKS2_PKT3_PKT4_S5_PT5_21rocsparse_index_base_b.has_indirect_call, 0
	.section	.AMDGPU.csdata,"",@progbits
; Kernel info:
; codeLenInByte = 784
; TotalNumSgprs: 25
; NumVgprs: 18
; ScratchSize: 0
; MemoryBound: 0
; FloatMode: 240
; IeeeMode: 1
; LDSByteSize: 0 bytes/workgroup (compile time only)
; SGPRBlocks: 0
; VGPRBlocks: 1
; NumSGPRsForWavesPerEU: 25
; NumVGPRsForWavesPerEU: 18
; NamedBarCnt: 0
; Occupancy: 16
; WaveLimiterHint : 1
; COMPUTE_PGM_RSRC2:SCRATCH_EN: 0
; COMPUTE_PGM_RSRC2:USER_SGPR: 2
; COMPUTE_PGM_RSRC2:TRAP_HANDLER: 0
; COMPUTE_PGM_RSRC2:TGID_X_EN: 1
; COMPUTE_PGM_RSRC2:TGID_Y_EN: 0
; COMPUTE_PGM_RSRC2:TGID_Z_EN: 0
; COMPUTE_PGM_RSRC2:TIDIG_COMP_CNT: 0
	.section	.text._ZN9rocsparseL21csrmvn_general_kernelILj256ELj32Eli18rocsparse_bfloat16S1_ffEEvbT2_NS_24const_host_device_scalarIT6_EEPKT1_S8_PKS2_PKT3_PKT4_S5_PT5_21rocsparse_index_base_b,"axG",@progbits,_ZN9rocsparseL21csrmvn_general_kernelILj256ELj32Eli18rocsparse_bfloat16S1_ffEEvbT2_NS_24const_host_device_scalarIT6_EEPKT1_S8_PKS2_PKT3_PKT4_S5_PT5_21rocsparse_index_base_b,comdat
	.globl	_ZN9rocsparseL21csrmvn_general_kernelILj256ELj32Eli18rocsparse_bfloat16S1_ffEEvbT2_NS_24const_host_device_scalarIT6_EEPKT1_S8_PKS2_PKT3_PKT4_S5_PT5_21rocsparse_index_base_b ; -- Begin function _ZN9rocsparseL21csrmvn_general_kernelILj256ELj32Eli18rocsparse_bfloat16S1_ffEEvbT2_NS_24const_host_device_scalarIT6_EEPKT1_S8_PKS2_PKT3_PKT4_S5_PT5_21rocsparse_index_base_b
	.p2align	8
	.type	_ZN9rocsparseL21csrmvn_general_kernelILj256ELj32Eli18rocsparse_bfloat16S1_ffEEvbT2_NS_24const_host_device_scalarIT6_EEPKT1_S8_PKS2_PKT3_PKT4_S5_PT5_21rocsparse_index_base_b,@function
_ZN9rocsparseL21csrmvn_general_kernelILj256ELj32Eli18rocsparse_bfloat16S1_ffEEvbT2_NS_24const_host_device_scalarIT6_EEPKT1_S8_PKS2_PKT3_PKT4_S5_PT5_21rocsparse_index_base_b: ; @_ZN9rocsparseL21csrmvn_general_kernelILj256ELj32Eli18rocsparse_bfloat16S1_ffEEvbT2_NS_24const_host_device_scalarIT6_EEPKT1_S8_PKS2_PKT3_PKT4_S5_PT5_21rocsparse_index_base_b
; %bb.0:
	s_clause 0x2
	s_load_b64 s[2:3], s[0:1], 0x48
	s_load_b128 s[12:15], s[0:1], 0x8
	s_load_b64 s[16:17], s[0:1], 0x38
	s_wait_kmcnt 0x0
	s_bitcmp1_b32 s3, 0
	s_cselect_b32 s3, -1, 0
	s_delay_alu instid0(SALU_CYCLE_1)
	s_and_b32 vcc_lo, exec_lo, s3
	s_xor_b32 s3, s3, -1
	s_cbranch_vccnz .LBB246_2
; %bb.1:
	s_load_b32 s12, s[12:13], 0x0
.LBB246_2:
	s_and_not1_b32 vcc_lo, exec_lo, s3
	s_cbranch_vccnz .LBB246_4
; %bb.3:
	s_load_b32 s16, s[16:17], 0x0
.LBB246_4:
	s_wait_kmcnt 0x0
	s_cmp_neq_f32 s12, 0
	s_cselect_b32 s3, -1, 0
	s_cmp_neq_f32 s16, 1.0
	s_cselect_b32 s4, -1, 0
	s_delay_alu instid0(SALU_CYCLE_1) | instskip(NEXT) | instid1(SALU_CYCLE_1)
	s_or_b32 s3, s3, s4
	s_and_not1_b32 vcc_lo, exec_lo, s3
	s_cbranch_vccnz .LBB246_16
; %bb.5:
	s_bfe_u32 s3, ttmp6, 0x4000c
	s_load_b32 s13, s[0:1], 0x4
	s_add_co_i32 s3, s3, 1
	s_and_b32 s4, ttmp6, 15
	s_mul_i32 s3, ttmp9, s3
	s_getreg_b32 s5, hwreg(HW_REG_IB_STS2, 6, 4)
	s_add_co_i32 s4, s4, s3
	s_cmp_eq_u32 s5, 0
	s_cselect_b32 s3, ttmp9, s4
	s_delay_alu instid0(SALU_CYCLE_1) | instskip(SKIP_1) | instid1(VALU_DEP_1)
	v_lshl_or_b32 v1, s3, 8, v0
	s_mov_b32 s3, exec_lo
	v_lshrrev_b32_e32 v2, 5, v1
	s_wait_kmcnt 0x0
	s_delay_alu instid0(VALU_DEP_1)
	v_cmpx_gt_i32_e64 s13, v2
	s_cbranch_execz .LBB246_16
; %bb.6:
	v_mbcnt_lo_u32_b32 v3, -1, 0
	v_dual_mov_b32 v5, 0 :: v_dual_bitop2_b32 v4, 31, v0 bitop3:0x40
	s_mov_b32 s3, 0
	s_clause 0x2
	s_load_b32 s17, s[0:1], 0x50
	s_load_b64 s[18:19], s[0:1], 0x40
	s_load_b256 s[4:11], s[0:1], 0x18
	s_wait_xcnt 0x0
	s_ashr_i32 s1, s2, 31
	s_mov_b32 s0, s2
	v_sub_nc_u64_e64 v[0:1], v[4:5], s[2:3]
	v_xor_b32_e32 v5, 8, v3
	v_xor_b32_e32 v6, 16, v3
	s_lshl_b64 s[20:21], s[0:1], 1
	v_cmp_eq_u32_e64 s0, 31, v4
	s_delay_alu instid0(VALU_DEP_2)
	v_cmp_gt_i32_e32 vcc_lo, 32, v6
	v_dual_cndmask_b32 v6, v3, v6, vcc_lo :: v_dual_bitop2_b32 v7, 4, v3 bitop3:0x14
	v_cmp_gt_i32_e32 vcc_lo, 32, v5
	s_wait_kmcnt 0x0
	s_lshl_b32 s1, s17, 3
	s_cmp_neq_f32 s16, 0
	v_dual_lshlrev_b32 v12, 2, v6 :: v_dual_bitop2_b32 v6, 1, v3 bitop3:0x14
	v_dual_cndmask_b32 v5, v3, v5, vcc_lo :: v_dual_bitop2_b32 v8, 2, v3 bitop3:0x14
	v_cmp_gt_i32_e32 vcc_lo, 32, v7
	s_cselect_b32 s17, -1, 0
	s_sub_nc_u64 s[10:11], s[10:11], s[20:21]
	s_mov_b32 s20, s3
	v_dual_lshlrev_b32 v13, 2, v5 :: v_dual_cndmask_b32 v7, v3, v7, vcc_lo
	v_cmp_gt_i32_e32 vcc_lo, 32, v8
	v_cndmask_b32_e32 v8, v3, v8, vcc_lo
	v_cmp_gt_i32_e32 vcc_lo, 32, v6
	s_delay_alu instid0(VALU_DEP_2) | instskip(SKIP_1) | instid1(VALU_DEP_1)
	v_dual_lshlrev_b32 v14, 2, v7 :: v_dual_lshlrev_b32 v15, 2, v8
	v_cndmask_b32_e32 v3, v3, v6, vcc_lo
	v_lshlrev_b32_e32 v16, 2, v3
	s_branch .LBB246_9
.LBB246_7:                              ;   in Loop: Header=BB246_9 Depth=1
	global_store_b32 v[4:5], v6, off
.LBB246_8:                              ;   in Loop: Header=BB246_9 Depth=1
	s_wait_xcnt 0x0
	s_or_b32 exec_lo, exec_lo, s21
	v_add_nc_u32_e32 v2, s1, v2
	s_delay_alu instid0(VALU_DEP_1) | instskip(SKIP_1) | instid1(SALU_CYCLE_1)
	v_cmp_le_i32_e32 vcc_lo, s13, v2
	s_or_b32 s20, vcc_lo, s20
	s_and_not1_b32 exec_lo, exec_lo, s20
	s_cbranch_execz .LBB246_16
.LBB246_9:                              ; =>This Loop Header: Depth=1
                                        ;     Child Loop BB246_11 Depth 2
	s_wait_dscnt 0x0
	s_clause 0x1
	global_load_b64 v[4:5], v2, s[4:5] scale_offset
	global_load_b64 v[6:7], v2, s[14:15] scale_offset
	v_mov_b32_e32 v17, 0
	s_mov_b32 s21, exec_lo
	s_wait_loadcnt 0x1
	v_sub_nc_u64_e64 v[4:5], v[4:5], s[2:3]
	s_wait_loadcnt 0x0
	v_add_nc_u64_e32 v[6:7], v[6:7], v[0:1]
	s_wait_xcnt 0x0
	s_delay_alu instid0(VALU_DEP_1)
	v_cmpx_lt_i64_e64 v[6:7], v[4:5]
	s_cbranch_execz .LBB246_13
; %bb.10:                               ;   in Loop: Header=BB246_9 Depth=1
	v_lshl_add_u64 v[8:9], v[6:7], 1, s[8:9]
	v_lshl_add_u64 v[10:11], v[6:7], 2, s[6:7]
	v_mov_b32_e32 v17, 0
	s_mov_b32 s22, 0
.LBB246_11:                             ;   Parent Loop BB246_9 Depth=1
                                        ; =>  This Inner Loop Header: Depth=2
	global_load_b32 v3, v[10:11], off
	global_load_u16 v18, v[8:9], off
	v_add_nc_u64_e32 v[6:7], 32, v[6:7]
	s_wait_xcnt 0x0
	v_add_nc_u64_e32 v[8:9], 64, v[8:9]
	v_add_nc_u64_e32 v[10:11], 0x80, v[10:11]
	s_delay_alu instid0(VALU_DEP_3)
	v_cmp_ge_i64_e32 vcc_lo, v[6:7], v[4:5]
	s_or_b32 s22, vcc_lo, s22
	s_wait_loadcnt 0x1
	global_load_u16 v3, v3, s[10:11] scale_offset
	s_wait_loadcnt 0x1
	v_lshlrev_b32_e32 v18, 16, v18
	s_delay_alu instid0(VALU_DEP_1) | instskip(SKIP_1) | instid1(VALU_DEP_1)
	v_mul_f32_e32 v18, s12, v18
	s_wait_loadcnt 0x0
	v_fma_mix_f32_bf16 v17, v18, v3, v17 op_sel_hi:[0,1,0]
	s_wait_xcnt 0x0
	s_and_not1_b32 exec_lo, exec_lo, s22
	s_cbranch_execnz .LBB246_11
; %bb.12:                               ;   in Loop: Header=BB246_9 Depth=1
	s_or_b32 exec_lo, exec_lo, s22
.LBB246_13:                             ;   in Loop: Header=BB246_9 Depth=1
	s_delay_alu instid0(SALU_CYCLE_1)
	s_or_b32 exec_lo, exec_lo, s21
	ds_bpermute_b32 v4, v12, v17
	s_wait_dscnt 0x0
	v_dual_add_f32 v4, v17, v4 :: v_dual_ashrrev_i32 v3, 31, v2
	ds_bpermute_b32 v5, v13, v4
	s_wait_dscnt 0x0
	v_add_f32_e32 v4, v4, v5
	ds_bpermute_b32 v5, v14, v4
	s_wait_dscnt 0x0
	v_add_f32_e32 v4, v4, v5
	;; [unrolled: 3-line block ×3, first 2 shown]
	ds_bpermute_b32 v5, v16, v4
	s_and_saveexec_b32 s21, s0
	s_cbranch_execz .LBB246_8
; %bb.14:                               ;   in Loop: Header=BB246_9 Depth=1
	s_wait_dscnt 0x0
	v_add_f32_e32 v6, v4, v5
	v_lshl_add_u64 v[4:5], v[2:3], 2, s[18:19]
	s_and_not1_b32 vcc_lo, exec_lo, s17
	s_cbranch_vccnz .LBB246_7
; %bb.15:                               ;   in Loop: Header=BB246_9 Depth=1
	global_load_b32 v3, v[4:5], off
	s_wait_loadcnt 0x0
	v_fmac_f32_e32 v6, s16, v3
	s_branch .LBB246_7
.LBB246_16:
	s_endpgm
	.section	.rodata,"a",@progbits
	.p2align	6, 0x0
	.amdhsa_kernel _ZN9rocsparseL21csrmvn_general_kernelILj256ELj32Eli18rocsparse_bfloat16S1_ffEEvbT2_NS_24const_host_device_scalarIT6_EEPKT1_S8_PKS2_PKT3_PKT4_S5_PT5_21rocsparse_index_base_b
		.amdhsa_group_segment_fixed_size 0
		.amdhsa_private_segment_fixed_size 0
		.amdhsa_kernarg_size 336
		.amdhsa_user_sgpr_count 2
		.amdhsa_user_sgpr_dispatch_ptr 0
		.amdhsa_user_sgpr_queue_ptr 0
		.amdhsa_user_sgpr_kernarg_segment_ptr 1
		.amdhsa_user_sgpr_dispatch_id 0
		.amdhsa_user_sgpr_kernarg_preload_length 0
		.amdhsa_user_sgpr_kernarg_preload_offset 0
		.amdhsa_user_sgpr_private_segment_size 0
		.amdhsa_wavefront_size32 1
		.amdhsa_uses_dynamic_stack 0
		.amdhsa_enable_private_segment 0
		.amdhsa_system_sgpr_workgroup_id_x 1
		.amdhsa_system_sgpr_workgroup_id_y 0
		.amdhsa_system_sgpr_workgroup_id_z 0
		.amdhsa_system_sgpr_workgroup_info 0
		.amdhsa_system_vgpr_workitem_id 0
		.amdhsa_next_free_vgpr 19
		.amdhsa_next_free_sgpr 23
		.amdhsa_named_barrier_count 0
		.amdhsa_reserve_vcc 1
		.amdhsa_float_round_mode_32 0
		.amdhsa_float_round_mode_16_64 0
		.amdhsa_float_denorm_mode_32 3
		.amdhsa_float_denorm_mode_16_64 3
		.amdhsa_fp16_overflow 0
		.amdhsa_memory_ordered 1
		.amdhsa_forward_progress 1
		.amdhsa_inst_pref_size 7
		.amdhsa_round_robin_scheduling 0
		.amdhsa_exception_fp_ieee_invalid_op 0
		.amdhsa_exception_fp_denorm_src 0
		.amdhsa_exception_fp_ieee_div_zero 0
		.amdhsa_exception_fp_ieee_overflow 0
		.amdhsa_exception_fp_ieee_underflow 0
		.amdhsa_exception_fp_ieee_inexact 0
		.amdhsa_exception_int_div_zero 0
	.end_amdhsa_kernel
	.section	.text._ZN9rocsparseL21csrmvn_general_kernelILj256ELj32Eli18rocsparse_bfloat16S1_ffEEvbT2_NS_24const_host_device_scalarIT6_EEPKT1_S8_PKS2_PKT3_PKT4_S5_PT5_21rocsparse_index_base_b,"axG",@progbits,_ZN9rocsparseL21csrmvn_general_kernelILj256ELj32Eli18rocsparse_bfloat16S1_ffEEvbT2_NS_24const_host_device_scalarIT6_EEPKT1_S8_PKS2_PKT3_PKT4_S5_PT5_21rocsparse_index_base_b,comdat
.Lfunc_end246:
	.size	_ZN9rocsparseL21csrmvn_general_kernelILj256ELj32Eli18rocsparse_bfloat16S1_ffEEvbT2_NS_24const_host_device_scalarIT6_EEPKT1_S8_PKS2_PKT3_PKT4_S5_PT5_21rocsparse_index_base_b, .Lfunc_end246-_ZN9rocsparseL21csrmvn_general_kernelILj256ELj32Eli18rocsparse_bfloat16S1_ffEEvbT2_NS_24const_host_device_scalarIT6_EEPKT1_S8_PKS2_PKT3_PKT4_S5_PT5_21rocsparse_index_base_b
                                        ; -- End function
	.set _ZN9rocsparseL21csrmvn_general_kernelILj256ELj32Eli18rocsparse_bfloat16S1_ffEEvbT2_NS_24const_host_device_scalarIT6_EEPKT1_S8_PKS2_PKT3_PKT4_S5_PT5_21rocsparse_index_base_b.num_vgpr, 19
	.set _ZN9rocsparseL21csrmvn_general_kernelILj256ELj32Eli18rocsparse_bfloat16S1_ffEEvbT2_NS_24const_host_device_scalarIT6_EEPKT1_S8_PKS2_PKT3_PKT4_S5_PT5_21rocsparse_index_base_b.num_agpr, 0
	.set _ZN9rocsparseL21csrmvn_general_kernelILj256ELj32Eli18rocsparse_bfloat16S1_ffEEvbT2_NS_24const_host_device_scalarIT6_EEPKT1_S8_PKS2_PKT3_PKT4_S5_PT5_21rocsparse_index_base_b.numbered_sgpr, 23
	.set _ZN9rocsparseL21csrmvn_general_kernelILj256ELj32Eli18rocsparse_bfloat16S1_ffEEvbT2_NS_24const_host_device_scalarIT6_EEPKT1_S8_PKS2_PKT3_PKT4_S5_PT5_21rocsparse_index_base_b.num_named_barrier, 0
	.set _ZN9rocsparseL21csrmvn_general_kernelILj256ELj32Eli18rocsparse_bfloat16S1_ffEEvbT2_NS_24const_host_device_scalarIT6_EEPKT1_S8_PKS2_PKT3_PKT4_S5_PT5_21rocsparse_index_base_b.private_seg_size, 0
	.set _ZN9rocsparseL21csrmvn_general_kernelILj256ELj32Eli18rocsparse_bfloat16S1_ffEEvbT2_NS_24const_host_device_scalarIT6_EEPKT1_S8_PKS2_PKT3_PKT4_S5_PT5_21rocsparse_index_base_b.uses_vcc, 1
	.set _ZN9rocsparseL21csrmvn_general_kernelILj256ELj32Eli18rocsparse_bfloat16S1_ffEEvbT2_NS_24const_host_device_scalarIT6_EEPKT1_S8_PKS2_PKT3_PKT4_S5_PT5_21rocsparse_index_base_b.uses_flat_scratch, 0
	.set _ZN9rocsparseL21csrmvn_general_kernelILj256ELj32Eli18rocsparse_bfloat16S1_ffEEvbT2_NS_24const_host_device_scalarIT6_EEPKT1_S8_PKS2_PKT3_PKT4_S5_PT5_21rocsparse_index_base_b.has_dyn_sized_stack, 0
	.set _ZN9rocsparseL21csrmvn_general_kernelILj256ELj32Eli18rocsparse_bfloat16S1_ffEEvbT2_NS_24const_host_device_scalarIT6_EEPKT1_S8_PKS2_PKT3_PKT4_S5_PT5_21rocsparse_index_base_b.has_recursion, 0
	.set _ZN9rocsparseL21csrmvn_general_kernelILj256ELj32Eli18rocsparse_bfloat16S1_ffEEvbT2_NS_24const_host_device_scalarIT6_EEPKT1_S8_PKS2_PKT3_PKT4_S5_PT5_21rocsparse_index_base_b.has_indirect_call, 0
	.section	.AMDGPU.csdata,"",@progbits
; Kernel info:
; codeLenInByte = 828
; TotalNumSgprs: 25
; NumVgprs: 19
; ScratchSize: 0
; MemoryBound: 0
; FloatMode: 240
; IeeeMode: 1
; LDSByteSize: 0 bytes/workgroup (compile time only)
; SGPRBlocks: 0
; VGPRBlocks: 1
; NumSGPRsForWavesPerEU: 25
; NumVGPRsForWavesPerEU: 19
; NamedBarCnt: 0
; Occupancy: 16
; WaveLimiterHint : 1
; COMPUTE_PGM_RSRC2:SCRATCH_EN: 0
; COMPUTE_PGM_RSRC2:USER_SGPR: 2
; COMPUTE_PGM_RSRC2:TRAP_HANDLER: 0
; COMPUTE_PGM_RSRC2:TGID_X_EN: 1
; COMPUTE_PGM_RSRC2:TGID_Y_EN: 0
; COMPUTE_PGM_RSRC2:TGID_Z_EN: 0
; COMPUTE_PGM_RSRC2:TIDIG_COMP_CNT: 0
	.section	.text._ZN9rocsparseL21csrmvn_general_kernelILj256ELj64Eli18rocsparse_bfloat16S1_ffEEvbT2_NS_24const_host_device_scalarIT6_EEPKT1_S8_PKS2_PKT3_PKT4_S5_PT5_21rocsparse_index_base_b,"axG",@progbits,_ZN9rocsparseL21csrmvn_general_kernelILj256ELj64Eli18rocsparse_bfloat16S1_ffEEvbT2_NS_24const_host_device_scalarIT6_EEPKT1_S8_PKS2_PKT3_PKT4_S5_PT5_21rocsparse_index_base_b,comdat
	.globl	_ZN9rocsparseL21csrmvn_general_kernelILj256ELj64Eli18rocsparse_bfloat16S1_ffEEvbT2_NS_24const_host_device_scalarIT6_EEPKT1_S8_PKS2_PKT3_PKT4_S5_PT5_21rocsparse_index_base_b ; -- Begin function _ZN9rocsparseL21csrmvn_general_kernelILj256ELj64Eli18rocsparse_bfloat16S1_ffEEvbT2_NS_24const_host_device_scalarIT6_EEPKT1_S8_PKS2_PKT3_PKT4_S5_PT5_21rocsparse_index_base_b
	.p2align	8
	.type	_ZN9rocsparseL21csrmvn_general_kernelILj256ELj64Eli18rocsparse_bfloat16S1_ffEEvbT2_NS_24const_host_device_scalarIT6_EEPKT1_S8_PKS2_PKT3_PKT4_S5_PT5_21rocsparse_index_base_b,@function
_ZN9rocsparseL21csrmvn_general_kernelILj256ELj64Eli18rocsparse_bfloat16S1_ffEEvbT2_NS_24const_host_device_scalarIT6_EEPKT1_S8_PKS2_PKT3_PKT4_S5_PT5_21rocsparse_index_base_b: ; @_ZN9rocsparseL21csrmvn_general_kernelILj256ELj64Eli18rocsparse_bfloat16S1_ffEEvbT2_NS_24const_host_device_scalarIT6_EEPKT1_S8_PKS2_PKT3_PKT4_S5_PT5_21rocsparse_index_base_b
; %bb.0:
	s_clause 0x2
	s_load_b64 s[2:3], s[0:1], 0x48
	s_load_b128 s[12:15], s[0:1], 0x8
	s_load_b64 s[16:17], s[0:1], 0x38
	s_wait_kmcnt 0x0
	s_bitcmp1_b32 s3, 0
	s_cselect_b32 s3, -1, 0
	s_delay_alu instid0(SALU_CYCLE_1)
	s_and_b32 vcc_lo, exec_lo, s3
	s_xor_b32 s3, s3, -1
	s_cbranch_vccnz .LBB247_2
; %bb.1:
	s_load_b32 s12, s[12:13], 0x0
.LBB247_2:
	s_and_not1_b32 vcc_lo, exec_lo, s3
	s_cbranch_vccnz .LBB247_4
; %bb.3:
	s_load_b32 s16, s[16:17], 0x0
.LBB247_4:
	s_wait_kmcnt 0x0
	s_cmp_neq_f32 s12, 0
	s_cselect_b32 s3, -1, 0
	s_cmp_neq_f32 s16, 1.0
	s_cselect_b32 s4, -1, 0
	s_delay_alu instid0(SALU_CYCLE_1) | instskip(NEXT) | instid1(SALU_CYCLE_1)
	s_or_b32 s3, s3, s4
	s_and_not1_b32 vcc_lo, exec_lo, s3
	s_cbranch_vccnz .LBB247_16
; %bb.5:
	s_bfe_u32 s3, ttmp6, 0x4000c
	s_load_b32 s13, s[0:1], 0x4
	s_add_co_i32 s3, s3, 1
	s_and_b32 s4, ttmp6, 15
	s_mul_i32 s3, ttmp9, s3
	s_getreg_b32 s5, hwreg(HW_REG_IB_STS2, 6, 4)
	s_add_co_i32 s4, s4, s3
	s_cmp_eq_u32 s5, 0
	s_cselect_b32 s3, ttmp9, s4
	s_delay_alu instid0(SALU_CYCLE_1) | instskip(SKIP_1) | instid1(VALU_DEP_1)
	v_lshl_or_b32 v1, s3, 8, v0
	s_mov_b32 s3, exec_lo
	v_lshrrev_b32_e32 v2, 6, v1
	s_wait_kmcnt 0x0
	s_delay_alu instid0(VALU_DEP_1)
	v_cmpx_gt_i32_e64 s13, v2
	s_cbranch_execz .LBB247_16
; %bb.6:
	v_mbcnt_lo_u32_b32 v3, -1, 0
	v_dual_mov_b32 v5, 0 :: v_dual_bitop2_b32 v4, 63, v0 bitop3:0x40
	s_mov_b32 s3, 0
	s_load_b32 s17, s[0:1], 0x50
	s_delay_alu instid0(VALU_DEP_2)
	v_xor_b32_e32 v1, 16, v3
	v_or_b32_e32 v0, 32, v3
	s_clause 0x1
	s_load_b64 s[18:19], s[0:1], 0x40
	s_load_b256 s[4:11], s[0:1], 0x18
	s_wait_xcnt 0x0
	s_ashr_i32 s1, s2, 31
	s_mov_b32 s0, s2
	v_cmp_gt_i32_e32 vcc_lo, 32, v0
	s_lshl_b64 s[20:21], s[0:1], 1
	v_cmp_eq_u32_e64 s0, 63, v4
	v_cndmask_b32_e32 v6, v3, v0, vcc_lo
	v_cmp_gt_i32_e32 vcc_lo, 32, v1
	s_delay_alu instid0(VALU_DEP_2)
	v_dual_cndmask_b32 v7, v3, v1 :: v_dual_lshlrev_b32 v12, 2, v6
	v_sub_nc_u64_e64 v[0:1], v[4:5], s[2:3]
	v_xor_b32_e32 v5, 8, v3
	s_wait_kmcnt 0x0
	s_lshl_b32 s1, s17, 2
	s_cmp_neq_f32 s16, 0
	s_sub_nc_u64 s[10:11], s[10:11], s[20:21]
	s_mov_b32 s20, s3
	v_cmp_gt_i32_e32 vcc_lo, 32, v5
	v_lshlrev_b32_e32 v13, 2, v7
	s_cselect_b32 s17, -1, 0
	v_dual_cndmask_b32 v5, v3, v5, vcc_lo :: v_dual_bitop2_b32 v8, 1, v3 bitop3:0x14
	s_delay_alu instid0(VALU_DEP_1) | instskip(NEXT) | instid1(VALU_DEP_1)
	v_dual_lshlrev_b32 v14, 2, v5 :: v_dual_bitop2_b32 v6, 4, v3 bitop3:0x14
	v_cmp_gt_i32_e32 vcc_lo, 32, v6
	v_dual_cndmask_b32 v6, v3, v6, vcc_lo :: v_dual_bitop2_b32 v7, 2, v3 bitop3:0x14
	s_delay_alu instid0(VALU_DEP_1) | instskip(NEXT) | instid1(VALU_DEP_2)
	v_cmp_gt_i32_e32 vcc_lo, 32, v7
	v_dual_lshlrev_b32 v15, 2, v6 :: v_dual_cndmask_b32 v7, v3, v7, vcc_lo
	v_cmp_gt_i32_e32 vcc_lo, 32, v8
	s_delay_alu instid0(VALU_DEP_2) | instskip(NEXT) | instid1(VALU_DEP_1)
	v_dual_cndmask_b32 v3, v3, v8 :: v_dual_lshlrev_b32 v16, 2, v7
	v_lshlrev_b32_e32 v17, 2, v3
	s_branch .LBB247_9
.LBB247_7:                              ;   in Loop: Header=BB247_9 Depth=1
	global_store_b32 v[4:5], v6, off
.LBB247_8:                              ;   in Loop: Header=BB247_9 Depth=1
	s_wait_xcnt 0x0
	s_or_b32 exec_lo, exec_lo, s21
	v_add_nc_u32_e32 v2, s1, v2
	s_delay_alu instid0(VALU_DEP_1) | instskip(SKIP_1) | instid1(SALU_CYCLE_1)
	v_cmp_le_i32_e32 vcc_lo, s13, v2
	s_or_b32 s20, vcc_lo, s20
	s_and_not1_b32 exec_lo, exec_lo, s20
	s_cbranch_execz .LBB247_16
.LBB247_9:                              ; =>This Loop Header: Depth=1
                                        ;     Child Loop BB247_11 Depth 2
	s_wait_dscnt 0x0
	s_clause 0x1
	global_load_b64 v[4:5], v2, s[4:5] scale_offset
	global_load_b64 v[6:7], v2, s[14:15] scale_offset
	v_mov_b32_e32 v18, 0
	s_mov_b32 s21, exec_lo
	s_wait_loadcnt 0x1
	v_sub_nc_u64_e64 v[4:5], v[4:5], s[2:3]
	s_wait_loadcnt 0x0
	v_add_nc_u64_e32 v[6:7], v[6:7], v[0:1]
	s_wait_xcnt 0x0
	s_delay_alu instid0(VALU_DEP_1)
	v_cmpx_lt_i64_e64 v[6:7], v[4:5]
	s_cbranch_execz .LBB247_13
; %bb.10:                               ;   in Loop: Header=BB247_9 Depth=1
	v_lshl_add_u64 v[8:9], v[6:7], 1, s[8:9]
	v_lshl_add_u64 v[10:11], v[6:7], 2, s[6:7]
	v_mov_b32_e32 v18, 0
	s_mov_b32 s22, 0
.LBB247_11:                             ;   Parent Loop BB247_9 Depth=1
                                        ; =>  This Inner Loop Header: Depth=2
	global_load_b32 v3, v[10:11], off
	global_load_u16 v19, v[8:9], off
	v_add_nc_u64_e32 v[6:7], 64, v[6:7]
	s_wait_xcnt 0x0
	v_add_nc_u64_e32 v[8:9], 0x80, v[8:9]
	v_add_nc_u64_e32 v[10:11], 0x100, v[10:11]
	s_delay_alu instid0(VALU_DEP_3)
	v_cmp_ge_i64_e32 vcc_lo, v[6:7], v[4:5]
	s_or_b32 s22, vcc_lo, s22
	s_wait_loadcnt 0x1
	global_load_u16 v3, v3, s[10:11] scale_offset
	s_wait_loadcnt 0x1
	v_lshlrev_b32_e32 v19, 16, v19
	s_delay_alu instid0(VALU_DEP_1) | instskip(SKIP_1) | instid1(VALU_DEP_1)
	v_mul_f32_e32 v19, s12, v19
	s_wait_loadcnt 0x0
	v_fma_mix_f32_bf16 v18, v19, v3, v18 op_sel_hi:[0,1,0]
	s_wait_xcnt 0x0
	s_and_not1_b32 exec_lo, exec_lo, s22
	s_cbranch_execnz .LBB247_11
; %bb.12:                               ;   in Loop: Header=BB247_9 Depth=1
	s_or_b32 exec_lo, exec_lo, s22
.LBB247_13:                             ;   in Loop: Header=BB247_9 Depth=1
	s_delay_alu instid0(SALU_CYCLE_1)
	s_or_b32 exec_lo, exec_lo, s21
	ds_bpermute_b32 v4, v12, v18
	s_wait_dscnt 0x0
	v_dual_add_f32 v4, v18, v4 :: v_dual_ashrrev_i32 v3, 31, v2
	ds_bpermute_b32 v5, v13, v4
	s_wait_dscnt 0x0
	v_add_f32_e32 v4, v4, v5
	ds_bpermute_b32 v5, v14, v4
	s_wait_dscnt 0x0
	v_add_f32_e32 v4, v4, v5
	;; [unrolled: 3-line block ×4, first 2 shown]
	ds_bpermute_b32 v5, v17, v4
	s_and_saveexec_b32 s21, s0
	s_cbranch_execz .LBB247_8
; %bb.14:                               ;   in Loop: Header=BB247_9 Depth=1
	s_wait_dscnt 0x0
	v_add_f32_e32 v6, v4, v5
	v_lshl_add_u64 v[4:5], v[2:3], 2, s[18:19]
	s_and_not1_b32 vcc_lo, exec_lo, s17
	s_cbranch_vccnz .LBB247_7
; %bb.15:                               ;   in Loop: Header=BB247_9 Depth=1
	global_load_b32 v3, v[4:5], off
	s_wait_loadcnt 0x0
	v_fmac_f32_e32 v6, s16, v3
	s_branch .LBB247_7
.LBB247_16:
	s_endpgm
	.section	.rodata,"a",@progbits
	.p2align	6, 0x0
	.amdhsa_kernel _ZN9rocsparseL21csrmvn_general_kernelILj256ELj64Eli18rocsparse_bfloat16S1_ffEEvbT2_NS_24const_host_device_scalarIT6_EEPKT1_S8_PKS2_PKT3_PKT4_S5_PT5_21rocsparse_index_base_b
		.amdhsa_group_segment_fixed_size 0
		.amdhsa_private_segment_fixed_size 0
		.amdhsa_kernarg_size 336
		.amdhsa_user_sgpr_count 2
		.amdhsa_user_sgpr_dispatch_ptr 0
		.amdhsa_user_sgpr_queue_ptr 0
		.amdhsa_user_sgpr_kernarg_segment_ptr 1
		.amdhsa_user_sgpr_dispatch_id 0
		.amdhsa_user_sgpr_kernarg_preload_length 0
		.amdhsa_user_sgpr_kernarg_preload_offset 0
		.amdhsa_user_sgpr_private_segment_size 0
		.amdhsa_wavefront_size32 1
		.amdhsa_uses_dynamic_stack 0
		.amdhsa_enable_private_segment 0
		.amdhsa_system_sgpr_workgroup_id_x 1
		.amdhsa_system_sgpr_workgroup_id_y 0
		.amdhsa_system_sgpr_workgroup_id_z 0
		.amdhsa_system_sgpr_workgroup_info 0
		.amdhsa_system_vgpr_workitem_id 0
		.amdhsa_next_free_vgpr 20
		.amdhsa_next_free_sgpr 23
		.amdhsa_named_barrier_count 0
		.amdhsa_reserve_vcc 1
		.amdhsa_float_round_mode_32 0
		.amdhsa_float_round_mode_16_64 0
		.amdhsa_float_denorm_mode_32 3
		.amdhsa_float_denorm_mode_16_64 3
		.amdhsa_fp16_overflow 0
		.amdhsa_memory_ordered 1
		.amdhsa_forward_progress 1
		.amdhsa_inst_pref_size 7
		.amdhsa_round_robin_scheduling 0
		.amdhsa_exception_fp_ieee_invalid_op 0
		.amdhsa_exception_fp_denorm_src 0
		.amdhsa_exception_fp_ieee_div_zero 0
		.amdhsa_exception_fp_ieee_overflow 0
		.amdhsa_exception_fp_ieee_underflow 0
		.amdhsa_exception_fp_ieee_inexact 0
		.amdhsa_exception_int_div_zero 0
	.end_amdhsa_kernel
	.section	.text._ZN9rocsparseL21csrmvn_general_kernelILj256ELj64Eli18rocsparse_bfloat16S1_ffEEvbT2_NS_24const_host_device_scalarIT6_EEPKT1_S8_PKS2_PKT3_PKT4_S5_PT5_21rocsparse_index_base_b,"axG",@progbits,_ZN9rocsparseL21csrmvn_general_kernelILj256ELj64Eli18rocsparse_bfloat16S1_ffEEvbT2_NS_24const_host_device_scalarIT6_EEPKT1_S8_PKS2_PKT3_PKT4_S5_PT5_21rocsparse_index_base_b,comdat
.Lfunc_end247:
	.size	_ZN9rocsparseL21csrmvn_general_kernelILj256ELj64Eli18rocsparse_bfloat16S1_ffEEvbT2_NS_24const_host_device_scalarIT6_EEPKT1_S8_PKS2_PKT3_PKT4_S5_PT5_21rocsparse_index_base_b, .Lfunc_end247-_ZN9rocsparseL21csrmvn_general_kernelILj256ELj64Eli18rocsparse_bfloat16S1_ffEEvbT2_NS_24const_host_device_scalarIT6_EEPKT1_S8_PKS2_PKT3_PKT4_S5_PT5_21rocsparse_index_base_b
                                        ; -- End function
	.set _ZN9rocsparseL21csrmvn_general_kernelILj256ELj64Eli18rocsparse_bfloat16S1_ffEEvbT2_NS_24const_host_device_scalarIT6_EEPKT1_S8_PKS2_PKT3_PKT4_S5_PT5_21rocsparse_index_base_b.num_vgpr, 20
	.set _ZN9rocsparseL21csrmvn_general_kernelILj256ELj64Eli18rocsparse_bfloat16S1_ffEEvbT2_NS_24const_host_device_scalarIT6_EEPKT1_S8_PKS2_PKT3_PKT4_S5_PT5_21rocsparse_index_base_b.num_agpr, 0
	.set _ZN9rocsparseL21csrmvn_general_kernelILj256ELj64Eli18rocsparse_bfloat16S1_ffEEvbT2_NS_24const_host_device_scalarIT6_EEPKT1_S8_PKS2_PKT3_PKT4_S5_PT5_21rocsparse_index_base_b.numbered_sgpr, 23
	.set _ZN9rocsparseL21csrmvn_general_kernelILj256ELj64Eli18rocsparse_bfloat16S1_ffEEvbT2_NS_24const_host_device_scalarIT6_EEPKT1_S8_PKS2_PKT3_PKT4_S5_PT5_21rocsparse_index_base_b.num_named_barrier, 0
	.set _ZN9rocsparseL21csrmvn_general_kernelILj256ELj64Eli18rocsparse_bfloat16S1_ffEEvbT2_NS_24const_host_device_scalarIT6_EEPKT1_S8_PKS2_PKT3_PKT4_S5_PT5_21rocsparse_index_base_b.private_seg_size, 0
	.set _ZN9rocsparseL21csrmvn_general_kernelILj256ELj64Eli18rocsparse_bfloat16S1_ffEEvbT2_NS_24const_host_device_scalarIT6_EEPKT1_S8_PKS2_PKT3_PKT4_S5_PT5_21rocsparse_index_base_b.uses_vcc, 1
	.set _ZN9rocsparseL21csrmvn_general_kernelILj256ELj64Eli18rocsparse_bfloat16S1_ffEEvbT2_NS_24const_host_device_scalarIT6_EEPKT1_S8_PKS2_PKT3_PKT4_S5_PT5_21rocsparse_index_base_b.uses_flat_scratch, 0
	.set _ZN9rocsparseL21csrmvn_general_kernelILj256ELj64Eli18rocsparse_bfloat16S1_ffEEvbT2_NS_24const_host_device_scalarIT6_EEPKT1_S8_PKS2_PKT3_PKT4_S5_PT5_21rocsparse_index_base_b.has_dyn_sized_stack, 0
	.set _ZN9rocsparseL21csrmvn_general_kernelILj256ELj64Eli18rocsparse_bfloat16S1_ffEEvbT2_NS_24const_host_device_scalarIT6_EEPKT1_S8_PKS2_PKT3_PKT4_S5_PT5_21rocsparse_index_base_b.has_recursion, 0
	.set _ZN9rocsparseL21csrmvn_general_kernelILj256ELj64Eli18rocsparse_bfloat16S1_ffEEvbT2_NS_24const_host_device_scalarIT6_EEPKT1_S8_PKS2_PKT3_PKT4_S5_PT5_21rocsparse_index_base_b.has_indirect_call, 0
	.section	.AMDGPU.csdata,"",@progbits
; Kernel info:
; codeLenInByte = 872
; TotalNumSgprs: 25
; NumVgprs: 20
; ScratchSize: 0
; MemoryBound: 0
; FloatMode: 240
; IeeeMode: 1
; LDSByteSize: 0 bytes/workgroup (compile time only)
; SGPRBlocks: 0
; VGPRBlocks: 1
; NumSGPRsForWavesPerEU: 25
; NumVGPRsForWavesPerEU: 20
; NamedBarCnt: 0
; Occupancy: 16
; WaveLimiterHint : 1
; COMPUTE_PGM_RSRC2:SCRATCH_EN: 0
; COMPUTE_PGM_RSRC2:USER_SGPR: 2
; COMPUTE_PGM_RSRC2:TRAP_HANDLER: 0
; COMPUTE_PGM_RSRC2:TGID_X_EN: 1
; COMPUTE_PGM_RSRC2:TGID_Y_EN: 0
; COMPUTE_PGM_RSRC2:TGID_Z_EN: 0
; COMPUTE_PGM_RSRC2:TIDIG_COMP_CNT: 0
	.section	.text._ZN9rocsparseL21csrmvt_general_kernelILj256ELj4Eli18rocsparse_bfloat16S1_ffEEvbbT2_NS_24const_host_device_scalarIT6_EEPKT1_S8_PKS2_PKT3_PKT4_PT5_21rocsparse_index_base_b,"axG",@progbits,_ZN9rocsparseL21csrmvt_general_kernelILj256ELj4Eli18rocsparse_bfloat16S1_ffEEvbbT2_NS_24const_host_device_scalarIT6_EEPKT1_S8_PKS2_PKT3_PKT4_PT5_21rocsparse_index_base_b,comdat
	.globl	_ZN9rocsparseL21csrmvt_general_kernelILj256ELj4Eli18rocsparse_bfloat16S1_ffEEvbbT2_NS_24const_host_device_scalarIT6_EEPKT1_S8_PKS2_PKT3_PKT4_PT5_21rocsparse_index_base_b ; -- Begin function _ZN9rocsparseL21csrmvt_general_kernelILj256ELj4Eli18rocsparse_bfloat16S1_ffEEvbbT2_NS_24const_host_device_scalarIT6_EEPKT1_S8_PKS2_PKT3_PKT4_PT5_21rocsparse_index_base_b
	.p2align	8
	.type	_ZN9rocsparseL21csrmvt_general_kernelILj256ELj4Eli18rocsparse_bfloat16S1_ffEEvbbT2_NS_24const_host_device_scalarIT6_EEPKT1_S8_PKS2_PKT3_PKT4_PT5_21rocsparse_index_base_b,@function
_ZN9rocsparseL21csrmvt_general_kernelILj256ELj4Eli18rocsparse_bfloat16S1_ffEEvbbT2_NS_24const_host_device_scalarIT6_EEPKT1_S8_PKS2_PKT3_PKT4_PT5_21rocsparse_index_base_b: ; @_ZN9rocsparseL21csrmvt_general_kernelILj256ELj4Eli18rocsparse_bfloat16S1_ffEEvbbT2_NS_24const_host_device_scalarIT6_EEPKT1_S8_PKS2_PKT3_PKT4_PT5_21rocsparse_index_base_b
; %bb.0:
	s_clause 0x1
	s_load_b64 s[2:3], s[0:1], 0x40
	s_load_b128 s[12:15], s[0:1], 0x8
	s_wait_kmcnt 0x0
	s_bitcmp1_b32 s3, 0
	s_cselect_b32 s3, -1, 0
	s_delay_alu instid0(SALU_CYCLE_1)
	s_and_b32 vcc_lo, exec_lo, s3
	s_cbranch_vccnz .LBB248_2
; %bb.1:
	s_load_b32 s12, s[12:13], 0x0
.LBB248_2:
	s_wait_kmcnt 0x0
	s_cmp_eq_f32 s12, 0
	s_cbranch_scc1 .LBB248_20
; %bb.3:
	s_clause 0x3
	s_load_b64 s[16:17], s[0:1], 0x0
	s_load_b32 s3, s[0:1], 0x48
	s_load_b64 s[18:19], s[0:1], 0x38
	s_load_b256 s[4:11], s[0:1], 0x18
	s_wait_xcnt 0x0
	s_bfe_u32 s0, ttmp6, 0x4000c
	s_and_b32 s13, ttmp6, 15
	s_add_co_i32 s0, s0, 1
	s_getreg_b32 s20, hwreg(HW_REG_IB_STS2, 6, 4)
	s_mul_i32 s0, ttmp9, s0
	s_delay_alu instid0(SALU_CYCLE_1)
	s_add_co_i32 s13, s13, s0
	s_wait_kmcnt 0x0
	s_and_b32 s16, s16, 1
	s_lshl_b32 s1, s3, 6
	s_cmp_eq_u32 s20, 0
	s_mov_b32 s3, -1
	s_cselect_b32 s0, ttmp9, s13
	s_cmp_eq_u32 s16, 0
	v_lshl_or_b32 v1, s0, 8, v0
	s_delay_alu instid0(VALU_DEP_1) | instskip(NEXT) | instid1(VALU_DEP_1)
	v_dual_lshrrev_b32 v2, 2, v1 :: v_dual_bitop2_b32 v0, 3, v0 bitop3:0x40
	v_cmp_gt_i32_e64 s0, s17, v2
	s_cbranch_scc0 .LBB248_11
; %bb.4:
	s_and_saveexec_b32 s13, s0
	s_cbranch_execz .LBB248_10
; %bb.5:
	v_dual_mov_b32 v1, 0 :: v_dual_mov_b32 v6, v2
	s_mov_b32 s3, 0
	s_delay_alu instid0(SALU_CYCLE_1) | instskip(NEXT) | instid1(VALU_DEP_1)
	s_mov_b32 s16, s3
	v_sub_nc_u64_e64 v[4:5], v[0:1], s[2:3]
	s_branch .LBB248_7
.LBB248_6:                              ;   in Loop: Header=BB248_7 Depth=1
	s_or_b32 exec_lo, exec_lo, s20
	v_add_nc_u32_e32 v6, s1, v6
	s_delay_alu instid0(VALU_DEP_1) | instskip(SKIP_1) | instid1(SALU_CYCLE_1)
	v_cmp_le_i32_e32 vcc_lo, s17, v6
	s_or_b32 s16, vcc_lo, s16
	s_and_not1_b32 exec_lo, exec_lo, s16
	s_cbranch_execz .LBB248_10
.LBB248_7:                              ; =>This Loop Header: Depth=1
                                        ;     Child Loop BB248_9 Depth 2
	s_clause 0x1
	global_load_b64 v[8:9], v6, s[4:5] scale_offset
	global_load_b64 v[10:11], v6, s[14:15] scale_offset
	s_mov_b32 s20, exec_lo
	s_wait_loadcnt 0x1
	v_sub_nc_u64_e64 v[8:9], v[8:9], s[2:3]
	s_wait_loadcnt 0x0
	v_add_nc_u64_e32 v[10:11], v[10:11], v[4:5]
	s_wait_xcnt 0x0
	s_delay_alu instid0(VALU_DEP_1)
	v_cmpx_lt_i64_e64 v[10:11], v[8:9]
	s_cbranch_execz .LBB248_6
; %bb.8:                                ;   in Loop: Header=BB248_7 Depth=1
	v_ashrrev_i32_e32 v7, 31, v6
	v_lshl_add_u64 v[14:15], v[10:11], 1, s[8:9]
	s_mov_b32 s21, 0
	s_delay_alu instid0(VALU_DEP_2)
	v_lshl_add_u64 v[12:13], v[6:7], 1, s[10:11]
	global_load_u16 v1, v[12:13], off
	s_wait_xcnt 0x0
	v_lshl_add_u64 v[12:13], v[10:11], 2, s[6:7]
	s_wait_loadcnt 0x0
	v_lshlrev_b32_e32 v1, 16, v1
	s_delay_alu instid0(VALU_DEP_1)
	v_mul_f32_e32 v1, s12, v1
.LBB248_9:                              ;   Parent Loop BB248_7 Depth=1
                                        ; =>  This Inner Loop Header: Depth=2
	global_load_u16 v3, v[14:15], off
	global_load_b32 v7, v[12:13], off
	v_add_nc_u64_e32 v[10:11], 4, v[10:11]
	s_wait_xcnt 0x0
	v_add_nc_u64_e32 v[12:13], 16, v[12:13]
	v_add_nc_u64_e32 v[14:15], 8, v[14:15]
	s_delay_alu instid0(VALU_DEP_3)
	v_cmp_ge_i64_e32 vcc_lo, v[10:11], v[8:9]
	s_or_b32 s21, vcc_lo, s21
	s_wait_loadcnt 0x1
	v_lshlrev_b32_e32 v3, 16, v3
	s_wait_loadcnt 0x0
	v_subrev_nc_u32_e32 v7, s2, v7
	s_delay_alu instid0(VALU_DEP_2)
	v_mul_f32_e32 v3, v1, v3
	global_atomic_add_f32 v7, v3, s[18:19] scale_offset scope:SCOPE_DEV
	s_wait_xcnt 0x0
	s_and_not1_b32 exec_lo, exec_lo, s21
	s_cbranch_execnz .LBB248_9
	s_branch .LBB248_6
.LBB248_10:
	s_or_b32 exec_lo, exec_lo, s13
	s_mov_b32 s3, 0
.LBB248_11:
	s_delay_alu instid0(SALU_CYCLE_1)
	s_and_not1_b32 vcc_lo, exec_lo, s3
	s_cbranch_vccnz .LBB248_20
; %bb.12:
	s_and_saveexec_b32 s3, s0
	s_cbranch_execz .LBB248_20
; %bb.13:
	v_mov_b32_e32 v1, 0
	s_mov_b32 s3, 0
	s_delay_alu instid0(SALU_CYCLE_1) | instskip(NEXT) | instid1(VALU_DEP_1)
	s_mov_b32 s0, s3
	v_sub_nc_u64_e64 v[0:1], v[0:1], s[2:3]
	s_branch .LBB248_15
.LBB248_14:                             ;   in Loop: Header=BB248_15 Depth=1
	s_or_b32 exec_lo, exec_lo, s13
	v_add_nc_u32_e32 v2, s1, v2
	s_delay_alu instid0(VALU_DEP_1) | instskip(SKIP_1) | instid1(SALU_CYCLE_1)
	v_cmp_le_i32_e32 vcc_lo, s17, v2
	s_or_b32 s0, vcc_lo, s0
	s_and_not1_b32 exec_lo, exec_lo, s0
	s_cbranch_execz .LBB248_20
.LBB248_15:                             ; =>This Loop Header: Depth=1
                                        ;     Child Loop BB248_18 Depth 2
	s_clause 0x1
	global_load_b64 v[4:5], v2, s[4:5] scale_offset
	global_load_b64 v[6:7], v2, s[14:15] scale_offset
	s_mov_b32 s13, exec_lo
	s_wait_loadcnt 0x1
	v_sub_nc_u64_e64 v[4:5], v[4:5], s[2:3]
	s_wait_loadcnt 0x0
	v_add_nc_u64_e32 v[6:7], v[6:7], v[0:1]
	s_wait_xcnt 0x0
	s_delay_alu instid0(VALU_DEP_1)
	v_cmpx_lt_i64_e64 v[6:7], v[4:5]
	s_cbranch_execz .LBB248_14
; %bb.16:                               ;   in Loop: Header=BB248_15 Depth=1
	v_ashrrev_i32_e32 v3, 31, v2
	v_lshl_add_u64 v[10:11], v[6:7], 1, s[8:9]
	s_mov_b32 s16, 0
	s_delay_alu instid0(VALU_DEP_2)
	v_lshl_add_u64 v[8:9], v[2:3], 1, s[10:11]
	global_load_u16 v3, v[8:9], off
	s_wait_xcnt 0x0
	v_lshl_add_u64 v[8:9], v[6:7], 2, s[6:7]
	s_wait_loadcnt 0x0
	v_lshlrev_b32_e32 v3, 16, v3
	s_delay_alu instid0(VALU_DEP_1)
	v_mul_f32_e32 v3, s12, v3
	s_branch .LBB248_18
.LBB248_17:                             ;   in Loop: Header=BB248_18 Depth=2
	s_wait_xcnt 0x0
	s_or_b32 exec_lo, exec_lo, s20
	v_add_nc_u64_e32 v[6:7], 4, v[6:7]
	v_add_nc_u64_e32 v[8:9], 16, v[8:9]
	;; [unrolled: 1-line block ×3, first 2 shown]
	s_delay_alu instid0(VALU_DEP_3) | instskip(SKIP_1) | instid1(SALU_CYCLE_1)
	v_cmp_ge_i64_e32 vcc_lo, v[6:7], v[4:5]
	s_or_b32 s16, vcc_lo, s16
	s_and_not1_b32 exec_lo, exec_lo, s16
	s_cbranch_execz .LBB248_14
.LBB248_18:                             ;   Parent Loop BB248_15 Depth=1
                                        ; =>  This Inner Loop Header: Depth=2
	global_load_b32 v12, v[8:9], off
	s_mov_b32 s20, exec_lo
	s_wait_loadcnt 0x0
	v_subrev_nc_u32_e32 v12, s2, v12
	s_wait_xcnt 0x0
	s_delay_alu instid0(VALU_DEP_1)
	v_cmpx_ne_u32_e64 v12, v2
	s_cbranch_execz .LBB248_17
; %bb.19:                               ;   in Loop: Header=BB248_18 Depth=2
	global_load_u16 v13, v[10:11], off
	s_wait_loadcnt 0x0
	v_lshlrev_b32_e32 v13, 16, v13
	s_delay_alu instid0(VALU_DEP_1)
	v_mul_f32_e32 v13, v3, v13
	s_wait_xcnt 0x0
	global_atomic_add_f32 v12, v13, s[18:19] scale_offset scope:SCOPE_DEV
	s_branch .LBB248_17
.LBB248_20:
	s_endpgm
	.section	.rodata,"a",@progbits
	.p2align	6, 0x0
	.amdhsa_kernel _ZN9rocsparseL21csrmvt_general_kernelILj256ELj4Eli18rocsparse_bfloat16S1_ffEEvbbT2_NS_24const_host_device_scalarIT6_EEPKT1_S8_PKS2_PKT3_PKT4_PT5_21rocsparse_index_base_b
		.amdhsa_group_segment_fixed_size 0
		.amdhsa_private_segment_fixed_size 0
		.amdhsa_kernarg_size 328
		.amdhsa_user_sgpr_count 2
		.amdhsa_user_sgpr_dispatch_ptr 0
		.amdhsa_user_sgpr_queue_ptr 0
		.amdhsa_user_sgpr_kernarg_segment_ptr 1
		.amdhsa_user_sgpr_dispatch_id 0
		.amdhsa_user_sgpr_kernarg_preload_length 0
		.amdhsa_user_sgpr_kernarg_preload_offset 0
		.amdhsa_user_sgpr_private_segment_size 0
		.amdhsa_wavefront_size32 1
		.amdhsa_uses_dynamic_stack 0
		.amdhsa_enable_private_segment 0
		.amdhsa_system_sgpr_workgroup_id_x 1
		.amdhsa_system_sgpr_workgroup_id_y 0
		.amdhsa_system_sgpr_workgroup_id_z 0
		.amdhsa_system_sgpr_workgroup_info 0
		.amdhsa_system_vgpr_workitem_id 0
		.amdhsa_next_free_vgpr 16
		.amdhsa_next_free_sgpr 22
		.amdhsa_named_barrier_count 0
		.amdhsa_reserve_vcc 1
		.amdhsa_float_round_mode_32 0
		.amdhsa_float_round_mode_16_64 0
		.amdhsa_float_denorm_mode_32 3
		.amdhsa_float_denorm_mode_16_64 3
		.amdhsa_fp16_overflow 0
		.amdhsa_memory_ordered 1
		.amdhsa_forward_progress 1
		.amdhsa_inst_pref_size 7
		.amdhsa_round_robin_scheduling 0
		.amdhsa_exception_fp_ieee_invalid_op 0
		.amdhsa_exception_fp_denorm_src 0
		.amdhsa_exception_fp_ieee_div_zero 0
		.amdhsa_exception_fp_ieee_overflow 0
		.amdhsa_exception_fp_ieee_underflow 0
		.amdhsa_exception_fp_ieee_inexact 0
		.amdhsa_exception_int_div_zero 0
	.end_amdhsa_kernel
	.section	.text._ZN9rocsparseL21csrmvt_general_kernelILj256ELj4Eli18rocsparse_bfloat16S1_ffEEvbbT2_NS_24const_host_device_scalarIT6_EEPKT1_S8_PKS2_PKT3_PKT4_PT5_21rocsparse_index_base_b,"axG",@progbits,_ZN9rocsparseL21csrmvt_general_kernelILj256ELj4Eli18rocsparse_bfloat16S1_ffEEvbbT2_NS_24const_host_device_scalarIT6_EEPKT1_S8_PKS2_PKT3_PKT4_PT5_21rocsparse_index_base_b,comdat
.Lfunc_end248:
	.size	_ZN9rocsparseL21csrmvt_general_kernelILj256ELj4Eli18rocsparse_bfloat16S1_ffEEvbbT2_NS_24const_host_device_scalarIT6_EEPKT1_S8_PKS2_PKT3_PKT4_PT5_21rocsparse_index_base_b, .Lfunc_end248-_ZN9rocsparseL21csrmvt_general_kernelILj256ELj4Eli18rocsparse_bfloat16S1_ffEEvbbT2_NS_24const_host_device_scalarIT6_EEPKT1_S8_PKS2_PKT3_PKT4_PT5_21rocsparse_index_base_b
                                        ; -- End function
	.set _ZN9rocsparseL21csrmvt_general_kernelILj256ELj4Eli18rocsparse_bfloat16S1_ffEEvbbT2_NS_24const_host_device_scalarIT6_EEPKT1_S8_PKS2_PKT3_PKT4_PT5_21rocsparse_index_base_b.num_vgpr, 16
	.set _ZN9rocsparseL21csrmvt_general_kernelILj256ELj4Eli18rocsparse_bfloat16S1_ffEEvbbT2_NS_24const_host_device_scalarIT6_EEPKT1_S8_PKS2_PKT3_PKT4_PT5_21rocsparse_index_base_b.num_agpr, 0
	.set _ZN9rocsparseL21csrmvt_general_kernelILj256ELj4Eli18rocsparse_bfloat16S1_ffEEvbbT2_NS_24const_host_device_scalarIT6_EEPKT1_S8_PKS2_PKT3_PKT4_PT5_21rocsparse_index_base_b.numbered_sgpr, 22
	.set _ZN9rocsparseL21csrmvt_general_kernelILj256ELj4Eli18rocsparse_bfloat16S1_ffEEvbbT2_NS_24const_host_device_scalarIT6_EEPKT1_S8_PKS2_PKT3_PKT4_PT5_21rocsparse_index_base_b.num_named_barrier, 0
	.set _ZN9rocsparseL21csrmvt_general_kernelILj256ELj4Eli18rocsparse_bfloat16S1_ffEEvbbT2_NS_24const_host_device_scalarIT6_EEPKT1_S8_PKS2_PKT3_PKT4_PT5_21rocsparse_index_base_b.private_seg_size, 0
	.set _ZN9rocsparseL21csrmvt_general_kernelILj256ELj4Eli18rocsparse_bfloat16S1_ffEEvbbT2_NS_24const_host_device_scalarIT6_EEPKT1_S8_PKS2_PKT3_PKT4_PT5_21rocsparse_index_base_b.uses_vcc, 1
	.set _ZN9rocsparseL21csrmvt_general_kernelILj256ELj4Eli18rocsparse_bfloat16S1_ffEEvbbT2_NS_24const_host_device_scalarIT6_EEPKT1_S8_PKS2_PKT3_PKT4_PT5_21rocsparse_index_base_b.uses_flat_scratch, 0
	.set _ZN9rocsparseL21csrmvt_general_kernelILj256ELj4Eli18rocsparse_bfloat16S1_ffEEvbbT2_NS_24const_host_device_scalarIT6_EEPKT1_S8_PKS2_PKT3_PKT4_PT5_21rocsparse_index_base_b.has_dyn_sized_stack, 0
	.set _ZN9rocsparseL21csrmvt_general_kernelILj256ELj4Eli18rocsparse_bfloat16S1_ffEEvbbT2_NS_24const_host_device_scalarIT6_EEPKT1_S8_PKS2_PKT3_PKT4_PT5_21rocsparse_index_base_b.has_recursion, 0
	.set _ZN9rocsparseL21csrmvt_general_kernelILj256ELj4Eli18rocsparse_bfloat16S1_ffEEvbbT2_NS_24const_host_device_scalarIT6_EEPKT1_S8_PKS2_PKT3_PKT4_PT5_21rocsparse_index_base_b.has_indirect_call, 0
	.section	.AMDGPU.csdata,"",@progbits
; Kernel info:
; codeLenInByte = 876
; TotalNumSgprs: 24
; NumVgprs: 16
; ScratchSize: 0
; MemoryBound: 0
; FloatMode: 240
; IeeeMode: 1
; LDSByteSize: 0 bytes/workgroup (compile time only)
; SGPRBlocks: 0
; VGPRBlocks: 0
; NumSGPRsForWavesPerEU: 24
; NumVGPRsForWavesPerEU: 16
; NamedBarCnt: 0
; Occupancy: 16
; WaveLimiterHint : 1
; COMPUTE_PGM_RSRC2:SCRATCH_EN: 0
; COMPUTE_PGM_RSRC2:USER_SGPR: 2
; COMPUTE_PGM_RSRC2:TRAP_HANDLER: 0
; COMPUTE_PGM_RSRC2:TGID_X_EN: 1
; COMPUTE_PGM_RSRC2:TGID_Y_EN: 0
; COMPUTE_PGM_RSRC2:TGID_Z_EN: 0
; COMPUTE_PGM_RSRC2:TIDIG_COMP_CNT: 0
	.section	.text._ZN9rocsparseL21csrmvt_general_kernelILj256ELj8Eli18rocsparse_bfloat16S1_ffEEvbbT2_NS_24const_host_device_scalarIT6_EEPKT1_S8_PKS2_PKT3_PKT4_PT5_21rocsparse_index_base_b,"axG",@progbits,_ZN9rocsparseL21csrmvt_general_kernelILj256ELj8Eli18rocsparse_bfloat16S1_ffEEvbbT2_NS_24const_host_device_scalarIT6_EEPKT1_S8_PKS2_PKT3_PKT4_PT5_21rocsparse_index_base_b,comdat
	.globl	_ZN9rocsparseL21csrmvt_general_kernelILj256ELj8Eli18rocsparse_bfloat16S1_ffEEvbbT2_NS_24const_host_device_scalarIT6_EEPKT1_S8_PKS2_PKT3_PKT4_PT5_21rocsparse_index_base_b ; -- Begin function _ZN9rocsparseL21csrmvt_general_kernelILj256ELj8Eli18rocsparse_bfloat16S1_ffEEvbbT2_NS_24const_host_device_scalarIT6_EEPKT1_S8_PKS2_PKT3_PKT4_PT5_21rocsparse_index_base_b
	.p2align	8
	.type	_ZN9rocsparseL21csrmvt_general_kernelILj256ELj8Eli18rocsparse_bfloat16S1_ffEEvbbT2_NS_24const_host_device_scalarIT6_EEPKT1_S8_PKS2_PKT3_PKT4_PT5_21rocsparse_index_base_b,@function
_ZN9rocsparseL21csrmvt_general_kernelILj256ELj8Eli18rocsparse_bfloat16S1_ffEEvbbT2_NS_24const_host_device_scalarIT6_EEPKT1_S8_PKS2_PKT3_PKT4_PT5_21rocsparse_index_base_b: ; @_ZN9rocsparseL21csrmvt_general_kernelILj256ELj8Eli18rocsparse_bfloat16S1_ffEEvbbT2_NS_24const_host_device_scalarIT6_EEPKT1_S8_PKS2_PKT3_PKT4_PT5_21rocsparse_index_base_b
; %bb.0:
	s_clause 0x1
	s_load_b64 s[2:3], s[0:1], 0x40
	s_load_b128 s[12:15], s[0:1], 0x8
	s_wait_kmcnt 0x0
	s_bitcmp1_b32 s3, 0
	s_cselect_b32 s3, -1, 0
	s_delay_alu instid0(SALU_CYCLE_1)
	s_and_b32 vcc_lo, exec_lo, s3
	s_cbranch_vccnz .LBB249_2
; %bb.1:
	s_load_b32 s12, s[12:13], 0x0
.LBB249_2:
	s_wait_kmcnt 0x0
	s_cmp_eq_f32 s12, 0
	s_cbranch_scc1 .LBB249_20
; %bb.3:
	s_clause 0x3
	s_load_b64 s[16:17], s[0:1], 0x0
	s_load_b32 s3, s[0:1], 0x48
	s_load_b64 s[18:19], s[0:1], 0x38
	s_load_b256 s[4:11], s[0:1], 0x18
	s_wait_xcnt 0x0
	s_bfe_u32 s0, ttmp6, 0x4000c
	s_and_b32 s13, ttmp6, 15
	s_add_co_i32 s0, s0, 1
	s_getreg_b32 s20, hwreg(HW_REG_IB_STS2, 6, 4)
	s_mul_i32 s0, ttmp9, s0
	s_delay_alu instid0(SALU_CYCLE_1)
	s_add_co_i32 s13, s13, s0
	s_wait_kmcnt 0x0
	s_and_b32 s16, s16, 1
	s_lshl_b32 s1, s3, 5
	s_cmp_eq_u32 s20, 0
	s_mov_b32 s3, -1
	s_cselect_b32 s0, ttmp9, s13
	s_cmp_eq_u32 s16, 0
	v_lshl_or_b32 v1, s0, 8, v0
	s_delay_alu instid0(VALU_DEP_1) | instskip(NEXT) | instid1(VALU_DEP_1)
	v_dual_lshrrev_b32 v2, 3, v1 :: v_dual_bitop2_b32 v0, 7, v0 bitop3:0x40
	v_cmp_gt_i32_e64 s0, s17, v2
	s_cbranch_scc0 .LBB249_11
; %bb.4:
	s_and_saveexec_b32 s13, s0
	s_cbranch_execz .LBB249_10
; %bb.5:
	v_dual_mov_b32 v1, 0 :: v_dual_mov_b32 v6, v2
	s_mov_b32 s3, 0
	s_delay_alu instid0(SALU_CYCLE_1) | instskip(NEXT) | instid1(VALU_DEP_1)
	s_mov_b32 s16, s3
	v_sub_nc_u64_e64 v[4:5], v[0:1], s[2:3]
	s_branch .LBB249_7
.LBB249_6:                              ;   in Loop: Header=BB249_7 Depth=1
	s_or_b32 exec_lo, exec_lo, s20
	v_add_nc_u32_e32 v6, s1, v6
	s_delay_alu instid0(VALU_DEP_1) | instskip(SKIP_1) | instid1(SALU_CYCLE_1)
	v_cmp_le_i32_e32 vcc_lo, s17, v6
	s_or_b32 s16, vcc_lo, s16
	s_and_not1_b32 exec_lo, exec_lo, s16
	s_cbranch_execz .LBB249_10
.LBB249_7:                              ; =>This Loop Header: Depth=1
                                        ;     Child Loop BB249_9 Depth 2
	s_clause 0x1
	global_load_b64 v[8:9], v6, s[4:5] scale_offset
	global_load_b64 v[10:11], v6, s[14:15] scale_offset
	s_mov_b32 s20, exec_lo
	s_wait_loadcnt 0x1
	v_sub_nc_u64_e64 v[8:9], v[8:9], s[2:3]
	s_wait_loadcnt 0x0
	v_add_nc_u64_e32 v[10:11], v[10:11], v[4:5]
	s_wait_xcnt 0x0
	s_delay_alu instid0(VALU_DEP_1)
	v_cmpx_lt_i64_e64 v[10:11], v[8:9]
	s_cbranch_execz .LBB249_6
; %bb.8:                                ;   in Loop: Header=BB249_7 Depth=1
	v_ashrrev_i32_e32 v7, 31, v6
	v_lshl_add_u64 v[14:15], v[10:11], 1, s[8:9]
	s_mov_b32 s21, 0
	s_delay_alu instid0(VALU_DEP_2)
	v_lshl_add_u64 v[12:13], v[6:7], 1, s[10:11]
	global_load_u16 v1, v[12:13], off
	s_wait_xcnt 0x0
	v_lshl_add_u64 v[12:13], v[10:11], 2, s[6:7]
	s_wait_loadcnt 0x0
	v_lshlrev_b32_e32 v1, 16, v1
	s_delay_alu instid0(VALU_DEP_1)
	v_mul_f32_e32 v1, s12, v1
.LBB249_9:                              ;   Parent Loop BB249_7 Depth=1
                                        ; =>  This Inner Loop Header: Depth=2
	global_load_u16 v3, v[14:15], off
	global_load_b32 v7, v[12:13], off
	v_add_nc_u64_e32 v[10:11], 8, v[10:11]
	s_wait_xcnt 0x0
	v_add_nc_u64_e32 v[12:13], 32, v[12:13]
	v_add_nc_u64_e32 v[14:15], 16, v[14:15]
	s_delay_alu instid0(VALU_DEP_3)
	v_cmp_ge_i64_e32 vcc_lo, v[10:11], v[8:9]
	s_or_b32 s21, vcc_lo, s21
	s_wait_loadcnt 0x1
	v_lshlrev_b32_e32 v3, 16, v3
	s_wait_loadcnt 0x0
	v_subrev_nc_u32_e32 v7, s2, v7
	s_delay_alu instid0(VALU_DEP_2)
	v_mul_f32_e32 v3, v1, v3
	global_atomic_add_f32 v7, v3, s[18:19] scale_offset scope:SCOPE_DEV
	s_wait_xcnt 0x0
	s_and_not1_b32 exec_lo, exec_lo, s21
	s_cbranch_execnz .LBB249_9
	s_branch .LBB249_6
.LBB249_10:
	s_or_b32 exec_lo, exec_lo, s13
	s_mov_b32 s3, 0
.LBB249_11:
	s_delay_alu instid0(SALU_CYCLE_1)
	s_and_not1_b32 vcc_lo, exec_lo, s3
	s_cbranch_vccnz .LBB249_20
; %bb.12:
	s_and_saveexec_b32 s3, s0
	s_cbranch_execz .LBB249_20
; %bb.13:
	v_mov_b32_e32 v1, 0
	s_mov_b32 s3, 0
	s_delay_alu instid0(SALU_CYCLE_1) | instskip(NEXT) | instid1(VALU_DEP_1)
	s_mov_b32 s0, s3
	v_sub_nc_u64_e64 v[0:1], v[0:1], s[2:3]
	s_branch .LBB249_15
.LBB249_14:                             ;   in Loop: Header=BB249_15 Depth=1
	s_or_b32 exec_lo, exec_lo, s13
	v_add_nc_u32_e32 v2, s1, v2
	s_delay_alu instid0(VALU_DEP_1) | instskip(SKIP_1) | instid1(SALU_CYCLE_1)
	v_cmp_le_i32_e32 vcc_lo, s17, v2
	s_or_b32 s0, vcc_lo, s0
	s_and_not1_b32 exec_lo, exec_lo, s0
	s_cbranch_execz .LBB249_20
.LBB249_15:                             ; =>This Loop Header: Depth=1
                                        ;     Child Loop BB249_18 Depth 2
	s_clause 0x1
	global_load_b64 v[4:5], v2, s[4:5] scale_offset
	global_load_b64 v[6:7], v2, s[14:15] scale_offset
	s_mov_b32 s13, exec_lo
	s_wait_loadcnt 0x1
	v_sub_nc_u64_e64 v[4:5], v[4:5], s[2:3]
	s_wait_loadcnt 0x0
	v_add_nc_u64_e32 v[6:7], v[6:7], v[0:1]
	s_wait_xcnt 0x0
	s_delay_alu instid0(VALU_DEP_1)
	v_cmpx_lt_i64_e64 v[6:7], v[4:5]
	s_cbranch_execz .LBB249_14
; %bb.16:                               ;   in Loop: Header=BB249_15 Depth=1
	v_ashrrev_i32_e32 v3, 31, v2
	v_lshl_add_u64 v[10:11], v[6:7], 1, s[8:9]
	s_mov_b32 s16, 0
	s_delay_alu instid0(VALU_DEP_2)
	v_lshl_add_u64 v[8:9], v[2:3], 1, s[10:11]
	global_load_u16 v3, v[8:9], off
	s_wait_xcnt 0x0
	v_lshl_add_u64 v[8:9], v[6:7], 2, s[6:7]
	s_wait_loadcnt 0x0
	v_lshlrev_b32_e32 v3, 16, v3
	s_delay_alu instid0(VALU_DEP_1)
	v_mul_f32_e32 v3, s12, v3
	s_branch .LBB249_18
.LBB249_17:                             ;   in Loop: Header=BB249_18 Depth=2
	s_wait_xcnt 0x0
	s_or_b32 exec_lo, exec_lo, s20
	v_add_nc_u64_e32 v[6:7], 8, v[6:7]
	v_add_nc_u64_e32 v[8:9], 32, v[8:9]
	;; [unrolled: 1-line block ×3, first 2 shown]
	s_delay_alu instid0(VALU_DEP_3) | instskip(SKIP_1) | instid1(SALU_CYCLE_1)
	v_cmp_ge_i64_e32 vcc_lo, v[6:7], v[4:5]
	s_or_b32 s16, vcc_lo, s16
	s_and_not1_b32 exec_lo, exec_lo, s16
	s_cbranch_execz .LBB249_14
.LBB249_18:                             ;   Parent Loop BB249_15 Depth=1
                                        ; =>  This Inner Loop Header: Depth=2
	global_load_b32 v12, v[8:9], off
	s_mov_b32 s20, exec_lo
	s_wait_loadcnt 0x0
	v_subrev_nc_u32_e32 v12, s2, v12
	s_wait_xcnt 0x0
	s_delay_alu instid0(VALU_DEP_1)
	v_cmpx_ne_u32_e64 v12, v2
	s_cbranch_execz .LBB249_17
; %bb.19:                               ;   in Loop: Header=BB249_18 Depth=2
	global_load_u16 v13, v[10:11], off
	s_wait_loadcnt 0x0
	v_lshlrev_b32_e32 v13, 16, v13
	s_delay_alu instid0(VALU_DEP_1)
	v_mul_f32_e32 v13, v3, v13
	s_wait_xcnt 0x0
	global_atomic_add_f32 v12, v13, s[18:19] scale_offset scope:SCOPE_DEV
	s_branch .LBB249_17
.LBB249_20:
	s_endpgm
	.section	.rodata,"a",@progbits
	.p2align	6, 0x0
	.amdhsa_kernel _ZN9rocsparseL21csrmvt_general_kernelILj256ELj8Eli18rocsparse_bfloat16S1_ffEEvbbT2_NS_24const_host_device_scalarIT6_EEPKT1_S8_PKS2_PKT3_PKT4_PT5_21rocsparse_index_base_b
		.amdhsa_group_segment_fixed_size 0
		.amdhsa_private_segment_fixed_size 0
		.amdhsa_kernarg_size 328
		.amdhsa_user_sgpr_count 2
		.amdhsa_user_sgpr_dispatch_ptr 0
		.amdhsa_user_sgpr_queue_ptr 0
		.amdhsa_user_sgpr_kernarg_segment_ptr 1
		.amdhsa_user_sgpr_dispatch_id 0
		.amdhsa_user_sgpr_kernarg_preload_length 0
		.amdhsa_user_sgpr_kernarg_preload_offset 0
		.amdhsa_user_sgpr_private_segment_size 0
		.amdhsa_wavefront_size32 1
		.amdhsa_uses_dynamic_stack 0
		.amdhsa_enable_private_segment 0
		.amdhsa_system_sgpr_workgroup_id_x 1
		.amdhsa_system_sgpr_workgroup_id_y 0
		.amdhsa_system_sgpr_workgroup_id_z 0
		.amdhsa_system_sgpr_workgroup_info 0
		.amdhsa_system_vgpr_workitem_id 0
		.amdhsa_next_free_vgpr 16
		.amdhsa_next_free_sgpr 22
		.amdhsa_named_barrier_count 0
		.amdhsa_reserve_vcc 1
		.amdhsa_float_round_mode_32 0
		.amdhsa_float_round_mode_16_64 0
		.amdhsa_float_denorm_mode_32 3
		.amdhsa_float_denorm_mode_16_64 3
		.amdhsa_fp16_overflow 0
		.amdhsa_memory_ordered 1
		.amdhsa_forward_progress 1
		.amdhsa_inst_pref_size 7
		.amdhsa_round_robin_scheduling 0
		.amdhsa_exception_fp_ieee_invalid_op 0
		.amdhsa_exception_fp_denorm_src 0
		.amdhsa_exception_fp_ieee_div_zero 0
		.amdhsa_exception_fp_ieee_overflow 0
		.amdhsa_exception_fp_ieee_underflow 0
		.amdhsa_exception_fp_ieee_inexact 0
		.amdhsa_exception_int_div_zero 0
	.end_amdhsa_kernel
	.section	.text._ZN9rocsparseL21csrmvt_general_kernelILj256ELj8Eli18rocsparse_bfloat16S1_ffEEvbbT2_NS_24const_host_device_scalarIT6_EEPKT1_S8_PKS2_PKT3_PKT4_PT5_21rocsparse_index_base_b,"axG",@progbits,_ZN9rocsparseL21csrmvt_general_kernelILj256ELj8Eli18rocsparse_bfloat16S1_ffEEvbbT2_NS_24const_host_device_scalarIT6_EEPKT1_S8_PKS2_PKT3_PKT4_PT5_21rocsparse_index_base_b,comdat
.Lfunc_end249:
	.size	_ZN9rocsparseL21csrmvt_general_kernelILj256ELj8Eli18rocsparse_bfloat16S1_ffEEvbbT2_NS_24const_host_device_scalarIT6_EEPKT1_S8_PKS2_PKT3_PKT4_PT5_21rocsparse_index_base_b, .Lfunc_end249-_ZN9rocsparseL21csrmvt_general_kernelILj256ELj8Eli18rocsparse_bfloat16S1_ffEEvbbT2_NS_24const_host_device_scalarIT6_EEPKT1_S8_PKS2_PKT3_PKT4_PT5_21rocsparse_index_base_b
                                        ; -- End function
	.set _ZN9rocsparseL21csrmvt_general_kernelILj256ELj8Eli18rocsparse_bfloat16S1_ffEEvbbT2_NS_24const_host_device_scalarIT6_EEPKT1_S8_PKS2_PKT3_PKT4_PT5_21rocsparse_index_base_b.num_vgpr, 16
	.set _ZN9rocsparseL21csrmvt_general_kernelILj256ELj8Eli18rocsparse_bfloat16S1_ffEEvbbT2_NS_24const_host_device_scalarIT6_EEPKT1_S8_PKS2_PKT3_PKT4_PT5_21rocsparse_index_base_b.num_agpr, 0
	.set _ZN9rocsparseL21csrmvt_general_kernelILj256ELj8Eli18rocsparse_bfloat16S1_ffEEvbbT2_NS_24const_host_device_scalarIT6_EEPKT1_S8_PKS2_PKT3_PKT4_PT5_21rocsparse_index_base_b.numbered_sgpr, 22
	.set _ZN9rocsparseL21csrmvt_general_kernelILj256ELj8Eli18rocsparse_bfloat16S1_ffEEvbbT2_NS_24const_host_device_scalarIT6_EEPKT1_S8_PKS2_PKT3_PKT4_PT5_21rocsparse_index_base_b.num_named_barrier, 0
	.set _ZN9rocsparseL21csrmvt_general_kernelILj256ELj8Eli18rocsparse_bfloat16S1_ffEEvbbT2_NS_24const_host_device_scalarIT6_EEPKT1_S8_PKS2_PKT3_PKT4_PT5_21rocsparse_index_base_b.private_seg_size, 0
	.set _ZN9rocsparseL21csrmvt_general_kernelILj256ELj8Eli18rocsparse_bfloat16S1_ffEEvbbT2_NS_24const_host_device_scalarIT6_EEPKT1_S8_PKS2_PKT3_PKT4_PT5_21rocsparse_index_base_b.uses_vcc, 1
	.set _ZN9rocsparseL21csrmvt_general_kernelILj256ELj8Eli18rocsparse_bfloat16S1_ffEEvbbT2_NS_24const_host_device_scalarIT6_EEPKT1_S8_PKS2_PKT3_PKT4_PT5_21rocsparse_index_base_b.uses_flat_scratch, 0
	.set _ZN9rocsparseL21csrmvt_general_kernelILj256ELj8Eli18rocsparse_bfloat16S1_ffEEvbbT2_NS_24const_host_device_scalarIT6_EEPKT1_S8_PKS2_PKT3_PKT4_PT5_21rocsparse_index_base_b.has_dyn_sized_stack, 0
	.set _ZN9rocsparseL21csrmvt_general_kernelILj256ELj8Eli18rocsparse_bfloat16S1_ffEEvbbT2_NS_24const_host_device_scalarIT6_EEPKT1_S8_PKS2_PKT3_PKT4_PT5_21rocsparse_index_base_b.has_recursion, 0
	.set _ZN9rocsparseL21csrmvt_general_kernelILj256ELj8Eli18rocsparse_bfloat16S1_ffEEvbbT2_NS_24const_host_device_scalarIT6_EEPKT1_S8_PKS2_PKT3_PKT4_PT5_21rocsparse_index_base_b.has_indirect_call, 0
	.section	.AMDGPU.csdata,"",@progbits
; Kernel info:
; codeLenInByte = 876
; TotalNumSgprs: 24
; NumVgprs: 16
; ScratchSize: 0
; MemoryBound: 0
; FloatMode: 240
; IeeeMode: 1
; LDSByteSize: 0 bytes/workgroup (compile time only)
; SGPRBlocks: 0
; VGPRBlocks: 0
; NumSGPRsForWavesPerEU: 24
; NumVGPRsForWavesPerEU: 16
; NamedBarCnt: 0
; Occupancy: 16
; WaveLimiterHint : 1
; COMPUTE_PGM_RSRC2:SCRATCH_EN: 0
; COMPUTE_PGM_RSRC2:USER_SGPR: 2
; COMPUTE_PGM_RSRC2:TRAP_HANDLER: 0
; COMPUTE_PGM_RSRC2:TGID_X_EN: 1
; COMPUTE_PGM_RSRC2:TGID_Y_EN: 0
; COMPUTE_PGM_RSRC2:TGID_Z_EN: 0
; COMPUTE_PGM_RSRC2:TIDIG_COMP_CNT: 0
	.section	.text._ZN9rocsparseL21csrmvt_general_kernelILj256ELj16Eli18rocsparse_bfloat16S1_ffEEvbbT2_NS_24const_host_device_scalarIT6_EEPKT1_S8_PKS2_PKT3_PKT4_PT5_21rocsparse_index_base_b,"axG",@progbits,_ZN9rocsparseL21csrmvt_general_kernelILj256ELj16Eli18rocsparse_bfloat16S1_ffEEvbbT2_NS_24const_host_device_scalarIT6_EEPKT1_S8_PKS2_PKT3_PKT4_PT5_21rocsparse_index_base_b,comdat
	.globl	_ZN9rocsparseL21csrmvt_general_kernelILj256ELj16Eli18rocsparse_bfloat16S1_ffEEvbbT2_NS_24const_host_device_scalarIT6_EEPKT1_S8_PKS2_PKT3_PKT4_PT5_21rocsparse_index_base_b ; -- Begin function _ZN9rocsparseL21csrmvt_general_kernelILj256ELj16Eli18rocsparse_bfloat16S1_ffEEvbbT2_NS_24const_host_device_scalarIT6_EEPKT1_S8_PKS2_PKT3_PKT4_PT5_21rocsparse_index_base_b
	.p2align	8
	.type	_ZN9rocsparseL21csrmvt_general_kernelILj256ELj16Eli18rocsparse_bfloat16S1_ffEEvbbT2_NS_24const_host_device_scalarIT6_EEPKT1_S8_PKS2_PKT3_PKT4_PT5_21rocsparse_index_base_b,@function
_ZN9rocsparseL21csrmvt_general_kernelILj256ELj16Eli18rocsparse_bfloat16S1_ffEEvbbT2_NS_24const_host_device_scalarIT6_EEPKT1_S8_PKS2_PKT3_PKT4_PT5_21rocsparse_index_base_b: ; @_ZN9rocsparseL21csrmvt_general_kernelILj256ELj16Eli18rocsparse_bfloat16S1_ffEEvbbT2_NS_24const_host_device_scalarIT6_EEPKT1_S8_PKS2_PKT3_PKT4_PT5_21rocsparse_index_base_b
; %bb.0:
	s_clause 0x1
	s_load_b64 s[2:3], s[0:1], 0x40
	s_load_b128 s[12:15], s[0:1], 0x8
	s_wait_kmcnt 0x0
	s_bitcmp1_b32 s3, 0
	s_cselect_b32 s3, -1, 0
	s_delay_alu instid0(SALU_CYCLE_1)
	s_and_b32 vcc_lo, exec_lo, s3
	s_cbranch_vccnz .LBB250_2
; %bb.1:
	s_load_b32 s12, s[12:13], 0x0
.LBB250_2:
	s_wait_kmcnt 0x0
	s_cmp_eq_f32 s12, 0
	s_cbranch_scc1 .LBB250_20
; %bb.3:
	s_clause 0x3
	s_load_b64 s[16:17], s[0:1], 0x0
	s_load_b32 s3, s[0:1], 0x48
	s_load_b64 s[18:19], s[0:1], 0x38
	s_load_b256 s[4:11], s[0:1], 0x18
	s_wait_xcnt 0x0
	s_bfe_u32 s0, ttmp6, 0x4000c
	s_and_b32 s13, ttmp6, 15
	s_add_co_i32 s0, s0, 1
	s_getreg_b32 s20, hwreg(HW_REG_IB_STS2, 6, 4)
	s_mul_i32 s0, ttmp9, s0
	s_delay_alu instid0(SALU_CYCLE_1)
	s_add_co_i32 s13, s13, s0
	s_wait_kmcnt 0x0
	s_and_b32 s16, s16, 1
	s_lshl_b32 s1, s3, 4
	s_cmp_eq_u32 s20, 0
	s_mov_b32 s3, -1
	s_cselect_b32 s0, ttmp9, s13
	s_cmp_eq_u32 s16, 0
	v_lshl_or_b32 v1, s0, 8, v0
	s_delay_alu instid0(VALU_DEP_1) | instskip(NEXT) | instid1(VALU_DEP_1)
	v_dual_lshrrev_b32 v2, 4, v1 :: v_dual_bitop2_b32 v0, 15, v0 bitop3:0x40
	v_cmp_gt_i32_e64 s0, s17, v2
	s_cbranch_scc0 .LBB250_11
; %bb.4:
	s_and_saveexec_b32 s13, s0
	s_cbranch_execz .LBB250_10
; %bb.5:
	v_dual_mov_b32 v1, 0 :: v_dual_mov_b32 v6, v2
	s_mov_b32 s3, 0
	s_delay_alu instid0(SALU_CYCLE_1) | instskip(NEXT) | instid1(VALU_DEP_1)
	s_mov_b32 s16, s3
	v_sub_nc_u64_e64 v[4:5], v[0:1], s[2:3]
	s_branch .LBB250_7
.LBB250_6:                              ;   in Loop: Header=BB250_7 Depth=1
	s_or_b32 exec_lo, exec_lo, s20
	v_add_nc_u32_e32 v6, s1, v6
	s_delay_alu instid0(VALU_DEP_1) | instskip(SKIP_1) | instid1(SALU_CYCLE_1)
	v_cmp_le_i32_e32 vcc_lo, s17, v6
	s_or_b32 s16, vcc_lo, s16
	s_and_not1_b32 exec_lo, exec_lo, s16
	s_cbranch_execz .LBB250_10
.LBB250_7:                              ; =>This Loop Header: Depth=1
                                        ;     Child Loop BB250_9 Depth 2
	s_clause 0x1
	global_load_b64 v[8:9], v6, s[4:5] scale_offset
	global_load_b64 v[10:11], v6, s[14:15] scale_offset
	s_mov_b32 s20, exec_lo
	s_wait_loadcnt 0x1
	v_sub_nc_u64_e64 v[8:9], v[8:9], s[2:3]
	s_wait_loadcnt 0x0
	v_add_nc_u64_e32 v[10:11], v[10:11], v[4:5]
	s_wait_xcnt 0x0
	s_delay_alu instid0(VALU_DEP_1)
	v_cmpx_lt_i64_e64 v[10:11], v[8:9]
	s_cbranch_execz .LBB250_6
; %bb.8:                                ;   in Loop: Header=BB250_7 Depth=1
	v_ashrrev_i32_e32 v7, 31, v6
	v_lshl_add_u64 v[14:15], v[10:11], 1, s[8:9]
	s_mov_b32 s21, 0
	s_delay_alu instid0(VALU_DEP_2)
	v_lshl_add_u64 v[12:13], v[6:7], 1, s[10:11]
	global_load_u16 v1, v[12:13], off
	s_wait_xcnt 0x0
	v_lshl_add_u64 v[12:13], v[10:11], 2, s[6:7]
	s_wait_loadcnt 0x0
	v_lshlrev_b32_e32 v1, 16, v1
	s_delay_alu instid0(VALU_DEP_1)
	v_mul_f32_e32 v1, s12, v1
.LBB250_9:                              ;   Parent Loop BB250_7 Depth=1
                                        ; =>  This Inner Loop Header: Depth=2
	global_load_u16 v3, v[14:15], off
	global_load_b32 v7, v[12:13], off
	v_add_nc_u64_e32 v[10:11], 16, v[10:11]
	s_wait_xcnt 0x0
	v_add_nc_u64_e32 v[12:13], 64, v[12:13]
	v_add_nc_u64_e32 v[14:15], 32, v[14:15]
	s_delay_alu instid0(VALU_DEP_3)
	v_cmp_ge_i64_e32 vcc_lo, v[10:11], v[8:9]
	s_or_b32 s21, vcc_lo, s21
	s_wait_loadcnt 0x1
	v_lshlrev_b32_e32 v3, 16, v3
	s_wait_loadcnt 0x0
	v_subrev_nc_u32_e32 v7, s2, v7
	s_delay_alu instid0(VALU_DEP_2)
	v_mul_f32_e32 v3, v1, v3
	global_atomic_add_f32 v7, v3, s[18:19] scale_offset scope:SCOPE_DEV
	s_wait_xcnt 0x0
	s_and_not1_b32 exec_lo, exec_lo, s21
	s_cbranch_execnz .LBB250_9
	s_branch .LBB250_6
.LBB250_10:
	s_or_b32 exec_lo, exec_lo, s13
	s_mov_b32 s3, 0
.LBB250_11:
	s_delay_alu instid0(SALU_CYCLE_1)
	s_and_not1_b32 vcc_lo, exec_lo, s3
	s_cbranch_vccnz .LBB250_20
; %bb.12:
	s_and_saveexec_b32 s3, s0
	s_cbranch_execz .LBB250_20
; %bb.13:
	v_mov_b32_e32 v1, 0
	s_mov_b32 s3, 0
	s_delay_alu instid0(SALU_CYCLE_1) | instskip(NEXT) | instid1(VALU_DEP_1)
	s_mov_b32 s0, s3
	v_sub_nc_u64_e64 v[0:1], v[0:1], s[2:3]
	s_branch .LBB250_15
.LBB250_14:                             ;   in Loop: Header=BB250_15 Depth=1
	s_or_b32 exec_lo, exec_lo, s13
	v_add_nc_u32_e32 v2, s1, v2
	s_delay_alu instid0(VALU_DEP_1) | instskip(SKIP_1) | instid1(SALU_CYCLE_1)
	v_cmp_le_i32_e32 vcc_lo, s17, v2
	s_or_b32 s0, vcc_lo, s0
	s_and_not1_b32 exec_lo, exec_lo, s0
	s_cbranch_execz .LBB250_20
.LBB250_15:                             ; =>This Loop Header: Depth=1
                                        ;     Child Loop BB250_18 Depth 2
	s_clause 0x1
	global_load_b64 v[4:5], v2, s[4:5] scale_offset
	global_load_b64 v[6:7], v2, s[14:15] scale_offset
	s_mov_b32 s13, exec_lo
	s_wait_loadcnt 0x1
	v_sub_nc_u64_e64 v[4:5], v[4:5], s[2:3]
	s_wait_loadcnt 0x0
	v_add_nc_u64_e32 v[6:7], v[6:7], v[0:1]
	s_wait_xcnt 0x0
	s_delay_alu instid0(VALU_DEP_1)
	v_cmpx_lt_i64_e64 v[6:7], v[4:5]
	s_cbranch_execz .LBB250_14
; %bb.16:                               ;   in Loop: Header=BB250_15 Depth=1
	v_ashrrev_i32_e32 v3, 31, v2
	v_lshl_add_u64 v[10:11], v[6:7], 1, s[8:9]
	s_mov_b32 s16, 0
	s_delay_alu instid0(VALU_DEP_2)
	v_lshl_add_u64 v[8:9], v[2:3], 1, s[10:11]
	global_load_u16 v3, v[8:9], off
	s_wait_xcnt 0x0
	v_lshl_add_u64 v[8:9], v[6:7], 2, s[6:7]
	s_wait_loadcnt 0x0
	v_lshlrev_b32_e32 v3, 16, v3
	s_delay_alu instid0(VALU_DEP_1)
	v_mul_f32_e32 v3, s12, v3
	s_branch .LBB250_18
.LBB250_17:                             ;   in Loop: Header=BB250_18 Depth=2
	s_wait_xcnt 0x0
	s_or_b32 exec_lo, exec_lo, s20
	v_add_nc_u64_e32 v[6:7], 16, v[6:7]
	v_add_nc_u64_e32 v[8:9], 64, v[8:9]
	;; [unrolled: 1-line block ×3, first 2 shown]
	s_delay_alu instid0(VALU_DEP_3) | instskip(SKIP_1) | instid1(SALU_CYCLE_1)
	v_cmp_ge_i64_e32 vcc_lo, v[6:7], v[4:5]
	s_or_b32 s16, vcc_lo, s16
	s_and_not1_b32 exec_lo, exec_lo, s16
	s_cbranch_execz .LBB250_14
.LBB250_18:                             ;   Parent Loop BB250_15 Depth=1
                                        ; =>  This Inner Loop Header: Depth=2
	global_load_b32 v12, v[8:9], off
	s_mov_b32 s20, exec_lo
	s_wait_loadcnt 0x0
	v_subrev_nc_u32_e32 v12, s2, v12
	s_wait_xcnt 0x0
	s_delay_alu instid0(VALU_DEP_1)
	v_cmpx_ne_u32_e64 v12, v2
	s_cbranch_execz .LBB250_17
; %bb.19:                               ;   in Loop: Header=BB250_18 Depth=2
	global_load_u16 v13, v[10:11], off
	s_wait_loadcnt 0x0
	v_lshlrev_b32_e32 v13, 16, v13
	s_delay_alu instid0(VALU_DEP_1)
	v_mul_f32_e32 v13, v3, v13
	s_wait_xcnt 0x0
	global_atomic_add_f32 v12, v13, s[18:19] scale_offset scope:SCOPE_DEV
	s_branch .LBB250_17
.LBB250_20:
	s_endpgm
	.section	.rodata,"a",@progbits
	.p2align	6, 0x0
	.amdhsa_kernel _ZN9rocsparseL21csrmvt_general_kernelILj256ELj16Eli18rocsparse_bfloat16S1_ffEEvbbT2_NS_24const_host_device_scalarIT6_EEPKT1_S8_PKS2_PKT3_PKT4_PT5_21rocsparse_index_base_b
		.amdhsa_group_segment_fixed_size 0
		.amdhsa_private_segment_fixed_size 0
		.amdhsa_kernarg_size 328
		.amdhsa_user_sgpr_count 2
		.amdhsa_user_sgpr_dispatch_ptr 0
		.amdhsa_user_sgpr_queue_ptr 0
		.amdhsa_user_sgpr_kernarg_segment_ptr 1
		.amdhsa_user_sgpr_dispatch_id 0
		.amdhsa_user_sgpr_kernarg_preload_length 0
		.amdhsa_user_sgpr_kernarg_preload_offset 0
		.amdhsa_user_sgpr_private_segment_size 0
		.amdhsa_wavefront_size32 1
		.amdhsa_uses_dynamic_stack 0
		.amdhsa_enable_private_segment 0
		.amdhsa_system_sgpr_workgroup_id_x 1
		.amdhsa_system_sgpr_workgroup_id_y 0
		.amdhsa_system_sgpr_workgroup_id_z 0
		.amdhsa_system_sgpr_workgroup_info 0
		.amdhsa_system_vgpr_workitem_id 0
		.amdhsa_next_free_vgpr 16
		.amdhsa_next_free_sgpr 22
		.amdhsa_named_barrier_count 0
		.amdhsa_reserve_vcc 1
		.amdhsa_float_round_mode_32 0
		.amdhsa_float_round_mode_16_64 0
		.amdhsa_float_denorm_mode_32 3
		.amdhsa_float_denorm_mode_16_64 3
		.amdhsa_fp16_overflow 0
		.amdhsa_memory_ordered 1
		.amdhsa_forward_progress 1
		.amdhsa_inst_pref_size 7
		.amdhsa_round_robin_scheduling 0
		.amdhsa_exception_fp_ieee_invalid_op 0
		.amdhsa_exception_fp_denorm_src 0
		.amdhsa_exception_fp_ieee_div_zero 0
		.amdhsa_exception_fp_ieee_overflow 0
		.amdhsa_exception_fp_ieee_underflow 0
		.amdhsa_exception_fp_ieee_inexact 0
		.amdhsa_exception_int_div_zero 0
	.end_amdhsa_kernel
	.section	.text._ZN9rocsparseL21csrmvt_general_kernelILj256ELj16Eli18rocsparse_bfloat16S1_ffEEvbbT2_NS_24const_host_device_scalarIT6_EEPKT1_S8_PKS2_PKT3_PKT4_PT5_21rocsparse_index_base_b,"axG",@progbits,_ZN9rocsparseL21csrmvt_general_kernelILj256ELj16Eli18rocsparse_bfloat16S1_ffEEvbbT2_NS_24const_host_device_scalarIT6_EEPKT1_S8_PKS2_PKT3_PKT4_PT5_21rocsparse_index_base_b,comdat
.Lfunc_end250:
	.size	_ZN9rocsparseL21csrmvt_general_kernelILj256ELj16Eli18rocsparse_bfloat16S1_ffEEvbbT2_NS_24const_host_device_scalarIT6_EEPKT1_S8_PKS2_PKT3_PKT4_PT5_21rocsparse_index_base_b, .Lfunc_end250-_ZN9rocsparseL21csrmvt_general_kernelILj256ELj16Eli18rocsparse_bfloat16S1_ffEEvbbT2_NS_24const_host_device_scalarIT6_EEPKT1_S8_PKS2_PKT3_PKT4_PT5_21rocsparse_index_base_b
                                        ; -- End function
	.set _ZN9rocsparseL21csrmvt_general_kernelILj256ELj16Eli18rocsparse_bfloat16S1_ffEEvbbT2_NS_24const_host_device_scalarIT6_EEPKT1_S8_PKS2_PKT3_PKT4_PT5_21rocsparse_index_base_b.num_vgpr, 16
	.set _ZN9rocsparseL21csrmvt_general_kernelILj256ELj16Eli18rocsparse_bfloat16S1_ffEEvbbT2_NS_24const_host_device_scalarIT6_EEPKT1_S8_PKS2_PKT3_PKT4_PT5_21rocsparse_index_base_b.num_agpr, 0
	.set _ZN9rocsparseL21csrmvt_general_kernelILj256ELj16Eli18rocsparse_bfloat16S1_ffEEvbbT2_NS_24const_host_device_scalarIT6_EEPKT1_S8_PKS2_PKT3_PKT4_PT5_21rocsparse_index_base_b.numbered_sgpr, 22
	.set _ZN9rocsparseL21csrmvt_general_kernelILj256ELj16Eli18rocsparse_bfloat16S1_ffEEvbbT2_NS_24const_host_device_scalarIT6_EEPKT1_S8_PKS2_PKT3_PKT4_PT5_21rocsparse_index_base_b.num_named_barrier, 0
	.set _ZN9rocsparseL21csrmvt_general_kernelILj256ELj16Eli18rocsparse_bfloat16S1_ffEEvbbT2_NS_24const_host_device_scalarIT6_EEPKT1_S8_PKS2_PKT3_PKT4_PT5_21rocsparse_index_base_b.private_seg_size, 0
	.set _ZN9rocsparseL21csrmvt_general_kernelILj256ELj16Eli18rocsparse_bfloat16S1_ffEEvbbT2_NS_24const_host_device_scalarIT6_EEPKT1_S8_PKS2_PKT3_PKT4_PT5_21rocsparse_index_base_b.uses_vcc, 1
	.set _ZN9rocsparseL21csrmvt_general_kernelILj256ELj16Eli18rocsparse_bfloat16S1_ffEEvbbT2_NS_24const_host_device_scalarIT6_EEPKT1_S8_PKS2_PKT3_PKT4_PT5_21rocsparse_index_base_b.uses_flat_scratch, 0
	.set _ZN9rocsparseL21csrmvt_general_kernelILj256ELj16Eli18rocsparse_bfloat16S1_ffEEvbbT2_NS_24const_host_device_scalarIT6_EEPKT1_S8_PKS2_PKT3_PKT4_PT5_21rocsparse_index_base_b.has_dyn_sized_stack, 0
	.set _ZN9rocsparseL21csrmvt_general_kernelILj256ELj16Eli18rocsparse_bfloat16S1_ffEEvbbT2_NS_24const_host_device_scalarIT6_EEPKT1_S8_PKS2_PKT3_PKT4_PT5_21rocsparse_index_base_b.has_recursion, 0
	.set _ZN9rocsparseL21csrmvt_general_kernelILj256ELj16Eli18rocsparse_bfloat16S1_ffEEvbbT2_NS_24const_host_device_scalarIT6_EEPKT1_S8_PKS2_PKT3_PKT4_PT5_21rocsparse_index_base_b.has_indirect_call, 0
	.section	.AMDGPU.csdata,"",@progbits
; Kernel info:
; codeLenInByte = 876
; TotalNumSgprs: 24
; NumVgprs: 16
; ScratchSize: 0
; MemoryBound: 0
; FloatMode: 240
; IeeeMode: 1
; LDSByteSize: 0 bytes/workgroup (compile time only)
; SGPRBlocks: 0
; VGPRBlocks: 0
; NumSGPRsForWavesPerEU: 24
; NumVGPRsForWavesPerEU: 16
; NamedBarCnt: 0
; Occupancy: 16
; WaveLimiterHint : 1
; COMPUTE_PGM_RSRC2:SCRATCH_EN: 0
; COMPUTE_PGM_RSRC2:USER_SGPR: 2
; COMPUTE_PGM_RSRC2:TRAP_HANDLER: 0
; COMPUTE_PGM_RSRC2:TGID_X_EN: 1
; COMPUTE_PGM_RSRC2:TGID_Y_EN: 0
; COMPUTE_PGM_RSRC2:TGID_Z_EN: 0
; COMPUTE_PGM_RSRC2:TIDIG_COMP_CNT: 0
	.section	.text._ZN9rocsparseL21csrmvt_general_kernelILj256ELj32Eli18rocsparse_bfloat16S1_ffEEvbbT2_NS_24const_host_device_scalarIT6_EEPKT1_S8_PKS2_PKT3_PKT4_PT5_21rocsparse_index_base_b,"axG",@progbits,_ZN9rocsparseL21csrmvt_general_kernelILj256ELj32Eli18rocsparse_bfloat16S1_ffEEvbbT2_NS_24const_host_device_scalarIT6_EEPKT1_S8_PKS2_PKT3_PKT4_PT5_21rocsparse_index_base_b,comdat
	.globl	_ZN9rocsparseL21csrmvt_general_kernelILj256ELj32Eli18rocsparse_bfloat16S1_ffEEvbbT2_NS_24const_host_device_scalarIT6_EEPKT1_S8_PKS2_PKT3_PKT4_PT5_21rocsparse_index_base_b ; -- Begin function _ZN9rocsparseL21csrmvt_general_kernelILj256ELj32Eli18rocsparse_bfloat16S1_ffEEvbbT2_NS_24const_host_device_scalarIT6_EEPKT1_S8_PKS2_PKT3_PKT4_PT5_21rocsparse_index_base_b
	.p2align	8
	.type	_ZN9rocsparseL21csrmvt_general_kernelILj256ELj32Eli18rocsparse_bfloat16S1_ffEEvbbT2_NS_24const_host_device_scalarIT6_EEPKT1_S8_PKS2_PKT3_PKT4_PT5_21rocsparse_index_base_b,@function
_ZN9rocsparseL21csrmvt_general_kernelILj256ELj32Eli18rocsparse_bfloat16S1_ffEEvbbT2_NS_24const_host_device_scalarIT6_EEPKT1_S8_PKS2_PKT3_PKT4_PT5_21rocsparse_index_base_b: ; @_ZN9rocsparseL21csrmvt_general_kernelILj256ELj32Eli18rocsparse_bfloat16S1_ffEEvbbT2_NS_24const_host_device_scalarIT6_EEPKT1_S8_PKS2_PKT3_PKT4_PT5_21rocsparse_index_base_b
; %bb.0:
	s_clause 0x1
	s_load_b64 s[2:3], s[0:1], 0x40
	s_load_b128 s[12:15], s[0:1], 0x8
	s_wait_kmcnt 0x0
	s_bitcmp1_b32 s3, 0
	s_cselect_b32 s3, -1, 0
	s_delay_alu instid0(SALU_CYCLE_1)
	s_and_b32 vcc_lo, exec_lo, s3
	s_cbranch_vccnz .LBB251_2
; %bb.1:
	s_load_b32 s12, s[12:13], 0x0
.LBB251_2:
	s_wait_kmcnt 0x0
	s_cmp_eq_f32 s12, 0
	s_cbranch_scc1 .LBB251_20
; %bb.3:
	s_clause 0x3
	s_load_b64 s[16:17], s[0:1], 0x0
	s_load_b32 s3, s[0:1], 0x48
	s_load_b64 s[18:19], s[0:1], 0x38
	s_load_b256 s[4:11], s[0:1], 0x18
	s_wait_xcnt 0x0
	s_bfe_u32 s0, ttmp6, 0x4000c
	s_and_b32 s13, ttmp6, 15
	s_add_co_i32 s0, s0, 1
	s_getreg_b32 s20, hwreg(HW_REG_IB_STS2, 6, 4)
	s_mul_i32 s0, ttmp9, s0
	s_delay_alu instid0(SALU_CYCLE_1)
	s_add_co_i32 s13, s13, s0
	s_wait_kmcnt 0x0
	s_and_b32 s16, s16, 1
	s_lshl_b32 s1, s3, 3
	s_cmp_eq_u32 s20, 0
	s_mov_b32 s3, -1
	s_cselect_b32 s0, ttmp9, s13
	s_cmp_eq_u32 s16, 0
	v_lshl_or_b32 v1, s0, 8, v0
	s_delay_alu instid0(VALU_DEP_1) | instskip(NEXT) | instid1(VALU_DEP_1)
	v_dual_lshrrev_b32 v2, 5, v1 :: v_dual_bitop2_b32 v0, 31, v0 bitop3:0x40
	v_cmp_gt_i32_e64 s0, s17, v2
	s_cbranch_scc0 .LBB251_11
; %bb.4:
	s_and_saveexec_b32 s13, s0
	s_cbranch_execz .LBB251_10
; %bb.5:
	v_dual_mov_b32 v1, 0 :: v_dual_mov_b32 v6, v2
	s_mov_b32 s3, 0
	s_delay_alu instid0(SALU_CYCLE_1) | instskip(NEXT) | instid1(VALU_DEP_1)
	s_mov_b32 s16, s3
	v_sub_nc_u64_e64 v[4:5], v[0:1], s[2:3]
	s_branch .LBB251_7
.LBB251_6:                              ;   in Loop: Header=BB251_7 Depth=1
	s_or_b32 exec_lo, exec_lo, s20
	v_add_nc_u32_e32 v6, s1, v6
	s_delay_alu instid0(VALU_DEP_1) | instskip(SKIP_1) | instid1(SALU_CYCLE_1)
	v_cmp_le_i32_e32 vcc_lo, s17, v6
	s_or_b32 s16, vcc_lo, s16
	s_and_not1_b32 exec_lo, exec_lo, s16
	s_cbranch_execz .LBB251_10
.LBB251_7:                              ; =>This Loop Header: Depth=1
                                        ;     Child Loop BB251_9 Depth 2
	s_clause 0x1
	global_load_b64 v[8:9], v6, s[4:5] scale_offset
	global_load_b64 v[10:11], v6, s[14:15] scale_offset
	s_mov_b32 s20, exec_lo
	s_wait_loadcnt 0x1
	v_sub_nc_u64_e64 v[8:9], v[8:9], s[2:3]
	s_wait_loadcnt 0x0
	v_add_nc_u64_e32 v[10:11], v[10:11], v[4:5]
	s_wait_xcnt 0x0
	s_delay_alu instid0(VALU_DEP_1)
	v_cmpx_lt_i64_e64 v[10:11], v[8:9]
	s_cbranch_execz .LBB251_6
; %bb.8:                                ;   in Loop: Header=BB251_7 Depth=1
	v_ashrrev_i32_e32 v7, 31, v6
	v_lshl_add_u64 v[14:15], v[10:11], 1, s[8:9]
	s_mov_b32 s21, 0
	s_delay_alu instid0(VALU_DEP_2)
	v_lshl_add_u64 v[12:13], v[6:7], 1, s[10:11]
	global_load_u16 v1, v[12:13], off
	s_wait_xcnt 0x0
	v_lshl_add_u64 v[12:13], v[10:11], 2, s[6:7]
	s_wait_loadcnt 0x0
	v_lshlrev_b32_e32 v1, 16, v1
	s_delay_alu instid0(VALU_DEP_1)
	v_mul_f32_e32 v1, s12, v1
.LBB251_9:                              ;   Parent Loop BB251_7 Depth=1
                                        ; =>  This Inner Loop Header: Depth=2
	global_load_u16 v3, v[14:15], off
	global_load_b32 v7, v[12:13], off
	v_add_nc_u64_e32 v[10:11], 32, v[10:11]
	s_wait_xcnt 0x0
	v_add_nc_u64_e32 v[12:13], 0x80, v[12:13]
	v_add_nc_u64_e32 v[14:15], 64, v[14:15]
	s_delay_alu instid0(VALU_DEP_3)
	v_cmp_ge_i64_e32 vcc_lo, v[10:11], v[8:9]
	s_or_b32 s21, vcc_lo, s21
	s_wait_loadcnt 0x1
	v_lshlrev_b32_e32 v3, 16, v3
	s_wait_loadcnt 0x0
	v_subrev_nc_u32_e32 v7, s2, v7
	s_delay_alu instid0(VALU_DEP_2)
	v_mul_f32_e32 v3, v1, v3
	global_atomic_add_f32 v7, v3, s[18:19] scale_offset scope:SCOPE_DEV
	s_wait_xcnt 0x0
	s_and_not1_b32 exec_lo, exec_lo, s21
	s_cbranch_execnz .LBB251_9
	s_branch .LBB251_6
.LBB251_10:
	s_or_b32 exec_lo, exec_lo, s13
	s_mov_b32 s3, 0
.LBB251_11:
	s_delay_alu instid0(SALU_CYCLE_1)
	s_and_not1_b32 vcc_lo, exec_lo, s3
	s_cbranch_vccnz .LBB251_20
; %bb.12:
	s_and_saveexec_b32 s3, s0
	s_cbranch_execz .LBB251_20
; %bb.13:
	v_mov_b32_e32 v1, 0
	s_mov_b32 s3, 0
	s_delay_alu instid0(SALU_CYCLE_1) | instskip(NEXT) | instid1(VALU_DEP_1)
	s_mov_b32 s0, s3
	v_sub_nc_u64_e64 v[0:1], v[0:1], s[2:3]
	s_branch .LBB251_15
.LBB251_14:                             ;   in Loop: Header=BB251_15 Depth=1
	s_or_b32 exec_lo, exec_lo, s13
	v_add_nc_u32_e32 v2, s1, v2
	s_delay_alu instid0(VALU_DEP_1) | instskip(SKIP_1) | instid1(SALU_CYCLE_1)
	v_cmp_le_i32_e32 vcc_lo, s17, v2
	s_or_b32 s0, vcc_lo, s0
	s_and_not1_b32 exec_lo, exec_lo, s0
	s_cbranch_execz .LBB251_20
.LBB251_15:                             ; =>This Loop Header: Depth=1
                                        ;     Child Loop BB251_18 Depth 2
	s_clause 0x1
	global_load_b64 v[4:5], v2, s[4:5] scale_offset
	global_load_b64 v[6:7], v2, s[14:15] scale_offset
	s_mov_b32 s13, exec_lo
	s_wait_loadcnt 0x1
	v_sub_nc_u64_e64 v[4:5], v[4:5], s[2:3]
	s_wait_loadcnt 0x0
	v_add_nc_u64_e32 v[6:7], v[6:7], v[0:1]
	s_wait_xcnt 0x0
	s_delay_alu instid0(VALU_DEP_1)
	v_cmpx_lt_i64_e64 v[6:7], v[4:5]
	s_cbranch_execz .LBB251_14
; %bb.16:                               ;   in Loop: Header=BB251_15 Depth=1
	v_ashrrev_i32_e32 v3, 31, v2
	v_lshl_add_u64 v[10:11], v[6:7], 1, s[8:9]
	s_mov_b32 s16, 0
	s_delay_alu instid0(VALU_DEP_2)
	v_lshl_add_u64 v[8:9], v[2:3], 1, s[10:11]
	global_load_u16 v3, v[8:9], off
	s_wait_xcnt 0x0
	v_lshl_add_u64 v[8:9], v[6:7], 2, s[6:7]
	s_wait_loadcnt 0x0
	v_lshlrev_b32_e32 v3, 16, v3
	s_delay_alu instid0(VALU_DEP_1)
	v_mul_f32_e32 v3, s12, v3
	s_branch .LBB251_18
.LBB251_17:                             ;   in Loop: Header=BB251_18 Depth=2
	s_wait_xcnt 0x0
	s_or_b32 exec_lo, exec_lo, s20
	v_add_nc_u64_e32 v[6:7], 32, v[6:7]
	v_add_nc_u64_e32 v[8:9], 0x80, v[8:9]
	;; [unrolled: 1-line block ×3, first 2 shown]
	s_delay_alu instid0(VALU_DEP_3) | instskip(SKIP_1) | instid1(SALU_CYCLE_1)
	v_cmp_ge_i64_e32 vcc_lo, v[6:7], v[4:5]
	s_or_b32 s16, vcc_lo, s16
	s_and_not1_b32 exec_lo, exec_lo, s16
	s_cbranch_execz .LBB251_14
.LBB251_18:                             ;   Parent Loop BB251_15 Depth=1
                                        ; =>  This Inner Loop Header: Depth=2
	global_load_b32 v12, v[8:9], off
	s_mov_b32 s20, exec_lo
	s_wait_loadcnt 0x0
	v_subrev_nc_u32_e32 v12, s2, v12
	s_wait_xcnt 0x0
	s_delay_alu instid0(VALU_DEP_1)
	v_cmpx_ne_u32_e64 v12, v2
	s_cbranch_execz .LBB251_17
; %bb.19:                               ;   in Loop: Header=BB251_18 Depth=2
	global_load_u16 v13, v[10:11], off
	s_wait_loadcnt 0x0
	v_lshlrev_b32_e32 v13, 16, v13
	s_delay_alu instid0(VALU_DEP_1)
	v_mul_f32_e32 v13, v3, v13
	s_wait_xcnt 0x0
	global_atomic_add_f32 v12, v13, s[18:19] scale_offset scope:SCOPE_DEV
	s_branch .LBB251_17
.LBB251_20:
	s_endpgm
	.section	.rodata,"a",@progbits
	.p2align	6, 0x0
	.amdhsa_kernel _ZN9rocsparseL21csrmvt_general_kernelILj256ELj32Eli18rocsparse_bfloat16S1_ffEEvbbT2_NS_24const_host_device_scalarIT6_EEPKT1_S8_PKS2_PKT3_PKT4_PT5_21rocsparse_index_base_b
		.amdhsa_group_segment_fixed_size 0
		.amdhsa_private_segment_fixed_size 0
		.amdhsa_kernarg_size 328
		.amdhsa_user_sgpr_count 2
		.amdhsa_user_sgpr_dispatch_ptr 0
		.amdhsa_user_sgpr_queue_ptr 0
		.amdhsa_user_sgpr_kernarg_segment_ptr 1
		.amdhsa_user_sgpr_dispatch_id 0
		.amdhsa_user_sgpr_kernarg_preload_length 0
		.amdhsa_user_sgpr_kernarg_preload_offset 0
		.amdhsa_user_sgpr_private_segment_size 0
		.amdhsa_wavefront_size32 1
		.amdhsa_uses_dynamic_stack 0
		.amdhsa_enable_private_segment 0
		.amdhsa_system_sgpr_workgroup_id_x 1
		.amdhsa_system_sgpr_workgroup_id_y 0
		.amdhsa_system_sgpr_workgroup_id_z 0
		.amdhsa_system_sgpr_workgroup_info 0
		.amdhsa_system_vgpr_workitem_id 0
		.amdhsa_next_free_vgpr 16
		.amdhsa_next_free_sgpr 22
		.amdhsa_named_barrier_count 0
		.amdhsa_reserve_vcc 1
		.amdhsa_float_round_mode_32 0
		.amdhsa_float_round_mode_16_64 0
		.amdhsa_float_denorm_mode_32 3
		.amdhsa_float_denorm_mode_16_64 3
		.amdhsa_fp16_overflow 0
		.amdhsa_memory_ordered 1
		.amdhsa_forward_progress 1
		.amdhsa_inst_pref_size 7
		.amdhsa_round_robin_scheduling 0
		.amdhsa_exception_fp_ieee_invalid_op 0
		.amdhsa_exception_fp_denorm_src 0
		.amdhsa_exception_fp_ieee_div_zero 0
		.amdhsa_exception_fp_ieee_overflow 0
		.amdhsa_exception_fp_ieee_underflow 0
		.amdhsa_exception_fp_ieee_inexact 0
		.amdhsa_exception_int_div_zero 0
	.end_amdhsa_kernel
	.section	.text._ZN9rocsparseL21csrmvt_general_kernelILj256ELj32Eli18rocsparse_bfloat16S1_ffEEvbbT2_NS_24const_host_device_scalarIT6_EEPKT1_S8_PKS2_PKT3_PKT4_PT5_21rocsparse_index_base_b,"axG",@progbits,_ZN9rocsparseL21csrmvt_general_kernelILj256ELj32Eli18rocsparse_bfloat16S1_ffEEvbbT2_NS_24const_host_device_scalarIT6_EEPKT1_S8_PKS2_PKT3_PKT4_PT5_21rocsparse_index_base_b,comdat
.Lfunc_end251:
	.size	_ZN9rocsparseL21csrmvt_general_kernelILj256ELj32Eli18rocsparse_bfloat16S1_ffEEvbbT2_NS_24const_host_device_scalarIT6_EEPKT1_S8_PKS2_PKT3_PKT4_PT5_21rocsparse_index_base_b, .Lfunc_end251-_ZN9rocsparseL21csrmvt_general_kernelILj256ELj32Eli18rocsparse_bfloat16S1_ffEEvbbT2_NS_24const_host_device_scalarIT6_EEPKT1_S8_PKS2_PKT3_PKT4_PT5_21rocsparse_index_base_b
                                        ; -- End function
	.set _ZN9rocsparseL21csrmvt_general_kernelILj256ELj32Eli18rocsparse_bfloat16S1_ffEEvbbT2_NS_24const_host_device_scalarIT6_EEPKT1_S8_PKS2_PKT3_PKT4_PT5_21rocsparse_index_base_b.num_vgpr, 16
	.set _ZN9rocsparseL21csrmvt_general_kernelILj256ELj32Eli18rocsparse_bfloat16S1_ffEEvbbT2_NS_24const_host_device_scalarIT6_EEPKT1_S8_PKS2_PKT3_PKT4_PT5_21rocsparse_index_base_b.num_agpr, 0
	.set _ZN9rocsparseL21csrmvt_general_kernelILj256ELj32Eli18rocsparse_bfloat16S1_ffEEvbbT2_NS_24const_host_device_scalarIT6_EEPKT1_S8_PKS2_PKT3_PKT4_PT5_21rocsparse_index_base_b.numbered_sgpr, 22
	.set _ZN9rocsparseL21csrmvt_general_kernelILj256ELj32Eli18rocsparse_bfloat16S1_ffEEvbbT2_NS_24const_host_device_scalarIT6_EEPKT1_S8_PKS2_PKT3_PKT4_PT5_21rocsparse_index_base_b.num_named_barrier, 0
	.set _ZN9rocsparseL21csrmvt_general_kernelILj256ELj32Eli18rocsparse_bfloat16S1_ffEEvbbT2_NS_24const_host_device_scalarIT6_EEPKT1_S8_PKS2_PKT3_PKT4_PT5_21rocsparse_index_base_b.private_seg_size, 0
	.set _ZN9rocsparseL21csrmvt_general_kernelILj256ELj32Eli18rocsparse_bfloat16S1_ffEEvbbT2_NS_24const_host_device_scalarIT6_EEPKT1_S8_PKS2_PKT3_PKT4_PT5_21rocsparse_index_base_b.uses_vcc, 1
	.set _ZN9rocsparseL21csrmvt_general_kernelILj256ELj32Eli18rocsparse_bfloat16S1_ffEEvbbT2_NS_24const_host_device_scalarIT6_EEPKT1_S8_PKS2_PKT3_PKT4_PT5_21rocsparse_index_base_b.uses_flat_scratch, 0
	.set _ZN9rocsparseL21csrmvt_general_kernelILj256ELj32Eli18rocsparse_bfloat16S1_ffEEvbbT2_NS_24const_host_device_scalarIT6_EEPKT1_S8_PKS2_PKT3_PKT4_PT5_21rocsparse_index_base_b.has_dyn_sized_stack, 0
	.set _ZN9rocsparseL21csrmvt_general_kernelILj256ELj32Eli18rocsparse_bfloat16S1_ffEEvbbT2_NS_24const_host_device_scalarIT6_EEPKT1_S8_PKS2_PKT3_PKT4_PT5_21rocsparse_index_base_b.has_recursion, 0
	.set _ZN9rocsparseL21csrmvt_general_kernelILj256ELj32Eli18rocsparse_bfloat16S1_ffEEvbbT2_NS_24const_host_device_scalarIT6_EEPKT1_S8_PKS2_PKT3_PKT4_PT5_21rocsparse_index_base_b.has_indirect_call, 0
	.section	.AMDGPU.csdata,"",@progbits
; Kernel info:
; codeLenInByte = 884
; TotalNumSgprs: 24
; NumVgprs: 16
; ScratchSize: 0
; MemoryBound: 0
; FloatMode: 240
; IeeeMode: 1
; LDSByteSize: 0 bytes/workgroup (compile time only)
; SGPRBlocks: 0
; VGPRBlocks: 0
; NumSGPRsForWavesPerEU: 24
; NumVGPRsForWavesPerEU: 16
; NamedBarCnt: 0
; Occupancy: 16
; WaveLimiterHint : 1
; COMPUTE_PGM_RSRC2:SCRATCH_EN: 0
; COMPUTE_PGM_RSRC2:USER_SGPR: 2
; COMPUTE_PGM_RSRC2:TRAP_HANDLER: 0
; COMPUTE_PGM_RSRC2:TGID_X_EN: 1
; COMPUTE_PGM_RSRC2:TGID_Y_EN: 0
; COMPUTE_PGM_RSRC2:TGID_Z_EN: 0
; COMPUTE_PGM_RSRC2:TIDIG_COMP_CNT: 0
	.section	.text._ZN9rocsparseL21csrmvt_general_kernelILj256ELj64Eli18rocsparse_bfloat16S1_ffEEvbbT2_NS_24const_host_device_scalarIT6_EEPKT1_S8_PKS2_PKT3_PKT4_PT5_21rocsparse_index_base_b,"axG",@progbits,_ZN9rocsparseL21csrmvt_general_kernelILj256ELj64Eli18rocsparse_bfloat16S1_ffEEvbbT2_NS_24const_host_device_scalarIT6_EEPKT1_S8_PKS2_PKT3_PKT4_PT5_21rocsparse_index_base_b,comdat
	.globl	_ZN9rocsparseL21csrmvt_general_kernelILj256ELj64Eli18rocsparse_bfloat16S1_ffEEvbbT2_NS_24const_host_device_scalarIT6_EEPKT1_S8_PKS2_PKT3_PKT4_PT5_21rocsparse_index_base_b ; -- Begin function _ZN9rocsparseL21csrmvt_general_kernelILj256ELj64Eli18rocsparse_bfloat16S1_ffEEvbbT2_NS_24const_host_device_scalarIT6_EEPKT1_S8_PKS2_PKT3_PKT4_PT5_21rocsparse_index_base_b
	.p2align	8
	.type	_ZN9rocsparseL21csrmvt_general_kernelILj256ELj64Eli18rocsparse_bfloat16S1_ffEEvbbT2_NS_24const_host_device_scalarIT6_EEPKT1_S8_PKS2_PKT3_PKT4_PT5_21rocsparse_index_base_b,@function
_ZN9rocsparseL21csrmvt_general_kernelILj256ELj64Eli18rocsparse_bfloat16S1_ffEEvbbT2_NS_24const_host_device_scalarIT6_EEPKT1_S8_PKS2_PKT3_PKT4_PT5_21rocsparse_index_base_b: ; @_ZN9rocsparseL21csrmvt_general_kernelILj256ELj64Eli18rocsparse_bfloat16S1_ffEEvbbT2_NS_24const_host_device_scalarIT6_EEPKT1_S8_PKS2_PKT3_PKT4_PT5_21rocsparse_index_base_b
; %bb.0:
	s_clause 0x1
	s_load_b64 s[2:3], s[0:1], 0x40
	s_load_b128 s[12:15], s[0:1], 0x8
	s_wait_kmcnt 0x0
	s_bitcmp1_b32 s3, 0
	s_cselect_b32 s3, -1, 0
	s_delay_alu instid0(SALU_CYCLE_1)
	s_and_b32 vcc_lo, exec_lo, s3
	s_cbranch_vccnz .LBB252_2
; %bb.1:
	s_load_b32 s12, s[12:13], 0x0
.LBB252_2:
	s_wait_kmcnt 0x0
	s_cmp_eq_f32 s12, 0
	s_cbranch_scc1 .LBB252_20
; %bb.3:
	s_clause 0x3
	s_load_b64 s[16:17], s[0:1], 0x0
	s_load_b32 s3, s[0:1], 0x48
	s_load_b64 s[18:19], s[0:1], 0x38
	s_load_b256 s[4:11], s[0:1], 0x18
	s_wait_xcnt 0x0
	s_bfe_u32 s0, ttmp6, 0x4000c
	s_and_b32 s13, ttmp6, 15
	s_add_co_i32 s0, s0, 1
	s_getreg_b32 s20, hwreg(HW_REG_IB_STS2, 6, 4)
	s_mul_i32 s0, ttmp9, s0
	s_delay_alu instid0(SALU_CYCLE_1)
	s_add_co_i32 s13, s13, s0
	s_wait_kmcnt 0x0
	s_and_b32 s16, s16, 1
	s_lshl_b32 s1, s3, 2
	s_cmp_eq_u32 s20, 0
	s_mov_b32 s3, -1
	s_cselect_b32 s0, ttmp9, s13
	s_cmp_eq_u32 s16, 0
	v_lshl_or_b32 v1, s0, 8, v0
	s_delay_alu instid0(VALU_DEP_1) | instskip(NEXT) | instid1(VALU_DEP_1)
	v_dual_lshrrev_b32 v2, 6, v1 :: v_dual_bitop2_b32 v0, 63, v0 bitop3:0x40
	v_cmp_gt_i32_e64 s0, s17, v2
	s_cbranch_scc0 .LBB252_11
; %bb.4:
	s_and_saveexec_b32 s13, s0
	s_cbranch_execz .LBB252_10
; %bb.5:
	v_dual_mov_b32 v1, 0 :: v_dual_mov_b32 v6, v2
	s_mov_b32 s3, 0
	s_delay_alu instid0(SALU_CYCLE_1) | instskip(NEXT) | instid1(VALU_DEP_1)
	s_mov_b32 s16, s3
	v_sub_nc_u64_e64 v[4:5], v[0:1], s[2:3]
	s_branch .LBB252_7
.LBB252_6:                              ;   in Loop: Header=BB252_7 Depth=1
	s_or_b32 exec_lo, exec_lo, s20
	v_add_nc_u32_e32 v6, s1, v6
	s_delay_alu instid0(VALU_DEP_1) | instskip(SKIP_1) | instid1(SALU_CYCLE_1)
	v_cmp_le_i32_e32 vcc_lo, s17, v6
	s_or_b32 s16, vcc_lo, s16
	s_and_not1_b32 exec_lo, exec_lo, s16
	s_cbranch_execz .LBB252_10
.LBB252_7:                              ; =>This Loop Header: Depth=1
                                        ;     Child Loop BB252_9 Depth 2
	s_clause 0x1
	global_load_b64 v[8:9], v6, s[4:5] scale_offset
	global_load_b64 v[10:11], v6, s[14:15] scale_offset
	s_mov_b32 s20, exec_lo
	s_wait_loadcnt 0x1
	v_sub_nc_u64_e64 v[8:9], v[8:9], s[2:3]
	s_wait_loadcnt 0x0
	v_add_nc_u64_e32 v[10:11], v[10:11], v[4:5]
	s_wait_xcnt 0x0
	s_delay_alu instid0(VALU_DEP_1)
	v_cmpx_lt_i64_e64 v[10:11], v[8:9]
	s_cbranch_execz .LBB252_6
; %bb.8:                                ;   in Loop: Header=BB252_7 Depth=1
	v_ashrrev_i32_e32 v7, 31, v6
	v_lshl_add_u64 v[14:15], v[10:11], 1, s[8:9]
	s_mov_b32 s21, 0
	s_delay_alu instid0(VALU_DEP_2)
	v_lshl_add_u64 v[12:13], v[6:7], 1, s[10:11]
	global_load_u16 v1, v[12:13], off
	s_wait_xcnt 0x0
	v_lshl_add_u64 v[12:13], v[10:11], 2, s[6:7]
	s_wait_loadcnt 0x0
	v_lshlrev_b32_e32 v1, 16, v1
	s_delay_alu instid0(VALU_DEP_1)
	v_mul_f32_e32 v1, s12, v1
.LBB252_9:                              ;   Parent Loop BB252_7 Depth=1
                                        ; =>  This Inner Loop Header: Depth=2
	global_load_u16 v3, v[14:15], off
	global_load_b32 v7, v[12:13], off
	v_add_nc_u64_e32 v[10:11], 64, v[10:11]
	s_wait_xcnt 0x0
	v_add_nc_u64_e32 v[12:13], 0x100, v[12:13]
	v_add_nc_u64_e32 v[14:15], 0x80, v[14:15]
	s_delay_alu instid0(VALU_DEP_3)
	v_cmp_ge_i64_e32 vcc_lo, v[10:11], v[8:9]
	s_or_b32 s21, vcc_lo, s21
	s_wait_loadcnt 0x1
	v_lshlrev_b32_e32 v3, 16, v3
	s_wait_loadcnt 0x0
	v_subrev_nc_u32_e32 v7, s2, v7
	s_delay_alu instid0(VALU_DEP_2)
	v_mul_f32_e32 v3, v1, v3
	global_atomic_add_f32 v7, v3, s[18:19] scale_offset scope:SCOPE_DEV
	s_wait_xcnt 0x0
	s_and_not1_b32 exec_lo, exec_lo, s21
	s_cbranch_execnz .LBB252_9
	s_branch .LBB252_6
.LBB252_10:
	s_or_b32 exec_lo, exec_lo, s13
	s_mov_b32 s3, 0
.LBB252_11:
	s_delay_alu instid0(SALU_CYCLE_1)
	s_and_not1_b32 vcc_lo, exec_lo, s3
	s_cbranch_vccnz .LBB252_20
; %bb.12:
	s_and_saveexec_b32 s3, s0
	s_cbranch_execz .LBB252_20
; %bb.13:
	v_mov_b32_e32 v1, 0
	s_mov_b32 s3, 0
	s_delay_alu instid0(SALU_CYCLE_1) | instskip(NEXT) | instid1(VALU_DEP_1)
	s_mov_b32 s0, s3
	v_sub_nc_u64_e64 v[0:1], v[0:1], s[2:3]
	s_branch .LBB252_15
.LBB252_14:                             ;   in Loop: Header=BB252_15 Depth=1
	s_or_b32 exec_lo, exec_lo, s13
	v_add_nc_u32_e32 v2, s1, v2
	s_delay_alu instid0(VALU_DEP_1) | instskip(SKIP_1) | instid1(SALU_CYCLE_1)
	v_cmp_le_i32_e32 vcc_lo, s17, v2
	s_or_b32 s0, vcc_lo, s0
	s_and_not1_b32 exec_lo, exec_lo, s0
	s_cbranch_execz .LBB252_20
.LBB252_15:                             ; =>This Loop Header: Depth=1
                                        ;     Child Loop BB252_18 Depth 2
	s_clause 0x1
	global_load_b64 v[4:5], v2, s[4:5] scale_offset
	global_load_b64 v[6:7], v2, s[14:15] scale_offset
	s_mov_b32 s13, exec_lo
	s_wait_loadcnt 0x1
	v_sub_nc_u64_e64 v[4:5], v[4:5], s[2:3]
	s_wait_loadcnt 0x0
	v_add_nc_u64_e32 v[6:7], v[6:7], v[0:1]
	s_wait_xcnt 0x0
	s_delay_alu instid0(VALU_DEP_1)
	v_cmpx_lt_i64_e64 v[6:7], v[4:5]
	s_cbranch_execz .LBB252_14
; %bb.16:                               ;   in Loop: Header=BB252_15 Depth=1
	v_ashrrev_i32_e32 v3, 31, v2
	v_lshl_add_u64 v[10:11], v[6:7], 1, s[8:9]
	s_mov_b32 s16, 0
	s_delay_alu instid0(VALU_DEP_2)
	v_lshl_add_u64 v[8:9], v[2:3], 1, s[10:11]
	global_load_u16 v3, v[8:9], off
	s_wait_xcnt 0x0
	v_lshl_add_u64 v[8:9], v[6:7], 2, s[6:7]
	s_wait_loadcnt 0x0
	v_lshlrev_b32_e32 v3, 16, v3
	s_delay_alu instid0(VALU_DEP_1)
	v_mul_f32_e32 v3, s12, v3
	s_branch .LBB252_18
.LBB252_17:                             ;   in Loop: Header=BB252_18 Depth=2
	s_wait_xcnt 0x0
	s_or_b32 exec_lo, exec_lo, s20
	v_add_nc_u64_e32 v[6:7], 64, v[6:7]
	v_add_nc_u64_e32 v[8:9], 0x100, v[8:9]
	;; [unrolled: 1-line block ×3, first 2 shown]
	s_delay_alu instid0(VALU_DEP_3) | instskip(SKIP_1) | instid1(SALU_CYCLE_1)
	v_cmp_ge_i64_e32 vcc_lo, v[6:7], v[4:5]
	s_or_b32 s16, vcc_lo, s16
	s_and_not1_b32 exec_lo, exec_lo, s16
	s_cbranch_execz .LBB252_14
.LBB252_18:                             ;   Parent Loop BB252_15 Depth=1
                                        ; =>  This Inner Loop Header: Depth=2
	global_load_b32 v12, v[8:9], off
	s_mov_b32 s20, exec_lo
	s_wait_loadcnt 0x0
	v_subrev_nc_u32_e32 v12, s2, v12
	s_wait_xcnt 0x0
	s_delay_alu instid0(VALU_DEP_1)
	v_cmpx_ne_u32_e64 v12, v2
	s_cbranch_execz .LBB252_17
; %bb.19:                               ;   in Loop: Header=BB252_18 Depth=2
	global_load_u16 v13, v[10:11], off
	s_wait_loadcnt 0x0
	v_lshlrev_b32_e32 v13, 16, v13
	s_delay_alu instid0(VALU_DEP_1)
	v_mul_f32_e32 v13, v3, v13
	s_wait_xcnt 0x0
	global_atomic_add_f32 v12, v13, s[18:19] scale_offset scope:SCOPE_DEV
	s_branch .LBB252_17
.LBB252_20:
	s_endpgm
	.section	.rodata,"a",@progbits
	.p2align	6, 0x0
	.amdhsa_kernel _ZN9rocsparseL21csrmvt_general_kernelILj256ELj64Eli18rocsparse_bfloat16S1_ffEEvbbT2_NS_24const_host_device_scalarIT6_EEPKT1_S8_PKS2_PKT3_PKT4_PT5_21rocsparse_index_base_b
		.amdhsa_group_segment_fixed_size 0
		.amdhsa_private_segment_fixed_size 0
		.amdhsa_kernarg_size 328
		.amdhsa_user_sgpr_count 2
		.amdhsa_user_sgpr_dispatch_ptr 0
		.amdhsa_user_sgpr_queue_ptr 0
		.amdhsa_user_sgpr_kernarg_segment_ptr 1
		.amdhsa_user_sgpr_dispatch_id 0
		.amdhsa_user_sgpr_kernarg_preload_length 0
		.amdhsa_user_sgpr_kernarg_preload_offset 0
		.amdhsa_user_sgpr_private_segment_size 0
		.amdhsa_wavefront_size32 1
		.amdhsa_uses_dynamic_stack 0
		.amdhsa_enable_private_segment 0
		.amdhsa_system_sgpr_workgroup_id_x 1
		.amdhsa_system_sgpr_workgroup_id_y 0
		.amdhsa_system_sgpr_workgroup_id_z 0
		.amdhsa_system_sgpr_workgroup_info 0
		.amdhsa_system_vgpr_workitem_id 0
		.amdhsa_next_free_vgpr 16
		.amdhsa_next_free_sgpr 22
		.amdhsa_named_barrier_count 0
		.amdhsa_reserve_vcc 1
		.amdhsa_float_round_mode_32 0
		.amdhsa_float_round_mode_16_64 0
		.amdhsa_float_denorm_mode_32 3
		.amdhsa_float_denorm_mode_16_64 3
		.amdhsa_fp16_overflow 0
		.amdhsa_memory_ordered 1
		.amdhsa_forward_progress 1
		.amdhsa_inst_pref_size 7
		.amdhsa_round_robin_scheduling 0
		.amdhsa_exception_fp_ieee_invalid_op 0
		.amdhsa_exception_fp_denorm_src 0
		.amdhsa_exception_fp_ieee_div_zero 0
		.amdhsa_exception_fp_ieee_overflow 0
		.amdhsa_exception_fp_ieee_underflow 0
		.amdhsa_exception_fp_ieee_inexact 0
		.amdhsa_exception_int_div_zero 0
	.end_amdhsa_kernel
	.section	.text._ZN9rocsparseL21csrmvt_general_kernelILj256ELj64Eli18rocsparse_bfloat16S1_ffEEvbbT2_NS_24const_host_device_scalarIT6_EEPKT1_S8_PKS2_PKT3_PKT4_PT5_21rocsparse_index_base_b,"axG",@progbits,_ZN9rocsparseL21csrmvt_general_kernelILj256ELj64Eli18rocsparse_bfloat16S1_ffEEvbbT2_NS_24const_host_device_scalarIT6_EEPKT1_S8_PKS2_PKT3_PKT4_PT5_21rocsparse_index_base_b,comdat
.Lfunc_end252:
	.size	_ZN9rocsparseL21csrmvt_general_kernelILj256ELj64Eli18rocsparse_bfloat16S1_ffEEvbbT2_NS_24const_host_device_scalarIT6_EEPKT1_S8_PKS2_PKT3_PKT4_PT5_21rocsparse_index_base_b, .Lfunc_end252-_ZN9rocsparseL21csrmvt_general_kernelILj256ELj64Eli18rocsparse_bfloat16S1_ffEEvbbT2_NS_24const_host_device_scalarIT6_EEPKT1_S8_PKS2_PKT3_PKT4_PT5_21rocsparse_index_base_b
                                        ; -- End function
	.set _ZN9rocsparseL21csrmvt_general_kernelILj256ELj64Eli18rocsparse_bfloat16S1_ffEEvbbT2_NS_24const_host_device_scalarIT6_EEPKT1_S8_PKS2_PKT3_PKT4_PT5_21rocsparse_index_base_b.num_vgpr, 16
	.set _ZN9rocsparseL21csrmvt_general_kernelILj256ELj64Eli18rocsparse_bfloat16S1_ffEEvbbT2_NS_24const_host_device_scalarIT6_EEPKT1_S8_PKS2_PKT3_PKT4_PT5_21rocsparse_index_base_b.num_agpr, 0
	.set _ZN9rocsparseL21csrmvt_general_kernelILj256ELj64Eli18rocsparse_bfloat16S1_ffEEvbbT2_NS_24const_host_device_scalarIT6_EEPKT1_S8_PKS2_PKT3_PKT4_PT5_21rocsparse_index_base_b.numbered_sgpr, 22
	.set _ZN9rocsparseL21csrmvt_general_kernelILj256ELj64Eli18rocsparse_bfloat16S1_ffEEvbbT2_NS_24const_host_device_scalarIT6_EEPKT1_S8_PKS2_PKT3_PKT4_PT5_21rocsparse_index_base_b.num_named_barrier, 0
	.set _ZN9rocsparseL21csrmvt_general_kernelILj256ELj64Eli18rocsparse_bfloat16S1_ffEEvbbT2_NS_24const_host_device_scalarIT6_EEPKT1_S8_PKS2_PKT3_PKT4_PT5_21rocsparse_index_base_b.private_seg_size, 0
	.set _ZN9rocsparseL21csrmvt_general_kernelILj256ELj64Eli18rocsparse_bfloat16S1_ffEEvbbT2_NS_24const_host_device_scalarIT6_EEPKT1_S8_PKS2_PKT3_PKT4_PT5_21rocsparse_index_base_b.uses_vcc, 1
	.set _ZN9rocsparseL21csrmvt_general_kernelILj256ELj64Eli18rocsparse_bfloat16S1_ffEEvbbT2_NS_24const_host_device_scalarIT6_EEPKT1_S8_PKS2_PKT3_PKT4_PT5_21rocsparse_index_base_b.uses_flat_scratch, 0
	.set _ZN9rocsparseL21csrmvt_general_kernelILj256ELj64Eli18rocsparse_bfloat16S1_ffEEvbbT2_NS_24const_host_device_scalarIT6_EEPKT1_S8_PKS2_PKT3_PKT4_PT5_21rocsparse_index_base_b.has_dyn_sized_stack, 0
	.set _ZN9rocsparseL21csrmvt_general_kernelILj256ELj64Eli18rocsparse_bfloat16S1_ffEEvbbT2_NS_24const_host_device_scalarIT6_EEPKT1_S8_PKS2_PKT3_PKT4_PT5_21rocsparse_index_base_b.has_recursion, 0
	.set _ZN9rocsparseL21csrmvt_general_kernelILj256ELj64Eli18rocsparse_bfloat16S1_ffEEvbbT2_NS_24const_host_device_scalarIT6_EEPKT1_S8_PKS2_PKT3_PKT4_PT5_21rocsparse_index_base_b.has_indirect_call, 0
	.section	.AMDGPU.csdata,"",@progbits
; Kernel info:
; codeLenInByte = 892
; TotalNumSgprs: 24
; NumVgprs: 16
; ScratchSize: 0
; MemoryBound: 0
; FloatMode: 240
; IeeeMode: 1
; LDSByteSize: 0 bytes/workgroup (compile time only)
; SGPRBlocks: 0
; VGPRBlocks: 0
; NumSGPRsForWavesPerEU: 24
; NumVGPRsForWavesPerEU: 16
; NamedBarCnt: 0
; Occupancy: 16
; WaveLimiterHint : 1
; COMPUTE_PGM_RSRC2:SCRATCH_EN: 0
; COMPUTE_PGM_RSRC2:USER_SGPR: 2
; COMPUTE_PGM_RSRC2:TRAP_HANDLER: 0
; COMPUTE_PGM_RSRC2:TGID_X_EN: 1
; COMPUTE_PGM_RSRC2:TGID_Y_EN: 0
; COMPUTE_PGM_RSRC2:TGID_Z_EN: 0
; COMPUTE_PGM_RSRC2:TIDIG_COMP_CNT: 0
	.section	.text._ZN9rocsparseL21csrmvn_general_kernelILj256ELj2Ell18rocsparse_bfloat16S1_ffEEvbT2_NS_24const_host_device_scalarIT6_EEPKT1_S8_PKS2_PKT3_PKT4_S5_PT5_21rocsparse_index_base_b,"axG",@progbits,_ZN9rocsparseL21csrmvn_general_kernelILj256ELj2Ell18rocsparse_bfloat16S1_ffEEvbT2_NS_24const_host_device_scalarIT6_EEPKT1_S8_PKS2_PKT3_PKT4_S5_PT5_21rocsparse_index_base_b,comdat
	.globl	_ZN9rocsparseL21csrmvn_general_kernelILj256ELj2Ell18rocsparse_bfloat16S1_ffEEvbT2_NS_24const_host_device_scalarIT6_EEPKT1_S8_PKS2_PKT3_PKT4_S5_PT5_21rocsparse_index_base_b ; -- Begin function _ZN9rocsparseL21csrmvn_general_kernelILj256ELj2Ell18rocsparse_bfloat16S1_ffEEvbT2_NS_24const_host_device_scalarIT6_EEPKT1_S8_PKS2_PKT3_PKT4_S5_PT5_21rocsparse_index_base_b
	.p2align	8
	.type	_ZN9rocsparseL21csrmvn_general_kernelILj256ELj2Ell18rocsparse_bfloat16S1_ffEEvbT2_NS_24const_host_device_scalarIT6_EEPKT1_S8_PKS2_PKT3_PKT4_S5_PT5_21rocsparse_index_base_b,@function
_ZN9rocsparseL21csrmvn_general_kernelILj256ELj2Ell18rocsparse_bfloat16S1_ffEEvbT2_NS_24const_host_device_scalarIT6_EEPKT1_S8_PKS2_PKT3_PKT4_S5_PT5_21rocsparse_index_base_b: ; @_ZN9rocsparseL21csrmvn_general_kernelILj256ELj2Ell18rocsparse_bfloat16S1_ffEEvbT2_NS_24const_host_device_scalarIT6_EEPKT1_S8_PKS2_PKT3_PKT4_S5_PT5_21rocsparse_index_base_b
; %bb.0:
	s_clause 0x2
	s_load_b64 s[2:3], s[0:1], 0x50
	s_load_b64 s[16:17], s[0:1], 0x40
	s_load_b256 s[4:11], s[0:1], 0x8
	s_wait_kmcnt 0x0
	s_bitcmp1_b32 s3, 0
	s_cselect_b32 s3, -1, 0
	s_delay_alu instid0(SALU_CYCLE_1)
	s_and_b32 vcc_lo, exec_lo, s3
	s_xor_b32 s3, s3, -1
	s_cbranch_vccnz .LBB253_2
; %bb.1:
	s_load_b32 s6, s[6:7], 0x0
.LBB253_2:
	s_and_not1_b32 vcc_lo, exec_lo, s3
	s_cbranch_vccnz .LBB253_4
; %bb.3:
	s_load_b32 s16, s[16:17], 0x0
.LBB253_4:
	s_wait_kmcnt 0x0
	s_cmp_neq_f32 s6, 0
	s_cselect_b32 s3, -1, 0
	s_cmp_neq_f32 s16, 1.0
	s_cselect_b32 s7, -1, 0
	s_delay_alu instid0(SALU_CYCLE_1) | instskip(NEXT) | instid1(SALU_CYCLE_1)
	s_or_b32 s3, s3, s7
	s_and_not1_b32 vcc_lo, exec_lo, s3
	s_cbranch_vccnz .LBB253_16
; %bb.5:
	s_bfe_u32 s3, ttmp6, 0x4000c
	s_and_b32 s7, ttmp6, 15
	s_add_co_i32 s3, s3, 1
	s_getreg_b32 s12, hwreg(HW_REG_IB_STS2, 6, 4)
	s_mul_i32 s3, ttmp9, s3
	v_mov_b32_e32 v3, 0
	s_add_co_i32 s7, s7, s3
	s_cmp_eq_u32 s12, 0
	s_cselect_b32 s3, ttmp9, s7
	s_delay_alu instid0(SALU_CYCLE_1) | instskip(SKIP_1) | instid1(VALU_DEP_1)
	v_lshl_or_b32 v1, s3, 8, v0
	s_mov_b32 s3, exec_lo
	v_lshrrev_b32_e32 v2, 1, v1
	s_delay_alu instid0(VALU_DEP_1)
	v_cmpx_gt_i64_e64 s[4:5], v[2:3]
	s_cbranch_execz .LBB253_16
; %bb.6:
	s_clause 0x1
	s_load_b32 s7, s[0:1], 0x58
	s_load_b64 s[18:19], s[0:1], 0x48
	v_mbcnt_lo_u32_b32 v1, -1, 0
	s_clause 0x1
	s_load_b64 s[22:23], s[0:1], 0x38
	s_load_b128 s[12:15], s[0:1], 0x28
	v_dual_mov_b32 v5, v3 :: v_dual_bitop2_b32 v4, 1, v0 bitop3:0x40
	s_mov_b32 s21, 0
	v_xor_b32_e32 v0, 1, v1
	s_wait_xcnt 0x0
	s_ashr_i32 s1, s2, 31
	s_mov_b32 s0, s2
	s_mov_b32 s3, s21
	s_lshl_b64 s[24:25], s[0:1], 1
	v_cmp_gt_i32_e32 vcc_lo, 32, v0
	v_cmp_eq_u32_e64 s0, 1, v4
	v_cndmask_b32_e32 v6, v1, v0, vcc_lo
	v_sub_nc_u64_e64 v[0:1], v[4:5], s[2:3]
	s_wait_kmcnt 0x0
	s_lshl_b32 s20, s7, 7
	s_cmp_neq_f32 s16, 0
	v_lshlrev_b32_e32 v12, 2, v6
	s_sub_nc_u64 s[22:23], s[22:23], s[24:25]
	s_mov_b32 s7, s21
	s_cselect_b32 s1, -1, 0
	s_branch .LBB253_9
.LBB253_7:                              ;   in Loop: Header=BB253_9 Depth=1
	global_store_b32 v[4:5], v6, off
.LBB253_8:                              ;   in Loop: Header=BB253_9 Depth=1
	s_wait_xcnt 0x0
	s_or_b32 exec_lo, exec_lo, s17
	v_add_nc_u64_e32 v[2:3], s[20:21], v[2:3]
	s_delay_alu instid0(VALU_DEP_1) | instskip(SKIP_1) | instid1(SALU_CYCLE_1)
	v_cmp_le_i64_e32 vcc_lo, s[4:5], v[2:3]
	s_or_b32 s7, vcc_lo, s7
	s_and_not1_b32 exec_lo, exec_lo, s7
	s_cbranch_execz .LBB253_16
.LBB253_9:                              ; =>This Loop Header: Depth=1
                                        ;     Child Loop BB253_11 Depth 2
	s_wait_dscnt 0x0
	v_lshlrev_b64_e32 v[4:5], 3, v[2:3]
	v_mov_b32_e32 v13, 0
	s_mov_b32 s17, exec_lo
	s_delay_alu instid0(VALU_DEP_2)
	v_add_nc_u64_e32 v[6:7], s[10:11], v[4:5]
	v_add_nc_u64_e32 v[4:5], s[8:9], v[4:5]
	global_load_b64 v[8:9], v[6:7], off
	global_load_b64 v[10:11], v[4:5], off
	s_wait_loadcnt 0x1
	s_wait_xcnt 0x0
	v_sub_nc_u64_e64 v[4:5], v[8:9], s[2:3]
	s_wait_loadcnt 0x0
	v_add_nc_u64_e32 v[6:7], v[10:11], v[0:1]
	s_delay_alu instid0(VALU_DEP_1)
	v_cmpx_lt_i64_e64 v[6:7], v[4:5]
	s_cbranch_execz .LBB253_13
; %bb.10:                               ;   in Loop: Header=BB253_9 Depth=1
	v_lshl_add_u64 v[8:9], v[6:7], 1, s[14:15]
	v_lshl_add_u64 v[10:11], v[6:7], 3, s[12:13]
	v_mov_b32_e32 v13, 0
	s_mov_b32 s24, 0
.LBB253_11:                             ;   Parent Loop BB253_9 Depth=1
                                        ; =>  This Inner Loop Header: Depth=2
	global_load_b64 v[14:15], v[10:11], off
	global_load_u16 v16, v[8:9], off
	v_add_nc_u64_e32 v[6:7], 2, v[6:7]
	s_wait_xcnt 0x0
	v_add_nc_u64_e32 v[8:9], 4, v[8:9]
	v_add_nc_u64_e32 v[10:11], 16, v[10:11]
	s_delay_alu instid0(VALU_DEP_3)
	v_cmp_ge_i64_e32 vcc_lo, v[6:7], v[4:5]
	s_or_b32 s24, vcc_lo, s24
	s_wait_loadcnt 0x1
	v_lshl_add_u64 v[14:15], v[14:15], 1, s[22:23]
	global_load_u16 v14, v[14:15], off
	s_wait_loadcnt 0x1
	s_wait_xcnt 0x0
	v_lshlrev_b32_e32 v15, 16, v16
	s_delay_alu instid0(VALU_DEP_1) | instskip(SKIP_1) | instid1(VALU_DEP_1)
	v_mul_f32_e32 v15, s6, v15
	s_wait_loadcnt 0x0
	v_fma_mix_f32_bf16 v13, v15, v14, v13 op_sel_hi:[0,1,0]
	s_and_not1_b32 exec_lo, exec_lo, s24
	s_cbranch_execnz .LBB253_11
; %bb.12:                               ;   in Loop: Header=BB253_9 Depth=1
	s_or_b32 exec_lo, exec_lo, s24
.LBB253_13:                             ;   in Loop: Header=BB253_9 Depth=1
	s_delay_alu instid0(SALU_CYCLE_1)
	s_or_b32 exec_lo, exec_lo, s17
	ds_bpermute_b32 v4, v12, v13
	s_and_saveexec_b32 s17, s0
	s_cbranch_execz .LBB253_8
; %bb.14:                               ;   in Loop: Header=BB253_9 Depth=1
	s_wait_dscnt 0x0
	v_add_f32_e32 v6, v13, v4
	v_lshl_add_u64 v[4:5], v[2:3], 2, s[18:19]
	s_and_not1_b32 vcc_lo, exec_lo, s1
	s_cbranch_vccnz .LBB253_7
; %bb.15:                               ;   in Loop: Header=BB253_9 Depth=1
	global_load_b32 v7, v[4:5], off
	s_wait_loadcnt 0x0
	v_fmac_f32_e32 v6, s16, v7
	s_branch .LBB253_7
.LBB253_16:
	s_endpgm
	.section	.rodata,"a",@progbits
	.p2align	6, 0x0
	.amdhsa_kernel _ZN9rocsparseL21csrmvn_general_kernelILj256ELj2Ell18rocsparse_bfloat16S1_ffEEvbT2_NS_24const_host_device_scalarIT6_EEPKT1_S8_PKS2_PKT3_PKT4_S5_PT5_21rocsparse_index_base_b
		.amdhsa_group_segment_fixed_size 0
		.amdhsa_private_segment_fixed_size 0
		.amdhsa_kernarg_size 344
		.amdhsa_user_sgpr_count 2
		.amdhsa_user_sgpr_dispatch_ptr 0
		.amdhsa_user_sgpr_queue_ptr 0
		.amdhsa_user_sgpr_kernarg_segment_ptr 1
		.amdhsa_user_sgpr_dispatch_id 0
		.amdhsa_user_sgpr_kernarg_preload_length 0
		.amdhsa_user_sgpr_kernarg_preload_offset 0
		.amdhsa_user_sgpr_private_segment_size 0
		.amdhsa_wavefront_size32 1
		.amdhsa_uses_dynamic_stack 0
		.amdhsa_enable_private_segment 0
		.amdhsa_system_sgpr_workgroup_id_x 1
		.amdhsa_system_sgpr_workgroup_id_y 0
		.amdhsa_system_sgpr_workgroup_id_z 0
		.amdhsa_system_sgpr_workgroup_info 0
		.amdhsa_system_vgpr_workitem_id 0
		.amdhsa_next_free_vgpr 17
		.amdhsa_next_free_sgpr 26
		.amdhsa_named_barrier_count 0
		.amdhsa_reserve_vcc 1
		.amdhsa_float_round_mode_32 0
		.amdhsa_float_round_mode_16_64 0
		.amdhsa_float_denorm_mode_32 3
		.amdhsa_float_denorm_mode_16_64 3
		.amdhsa_fp16_overflow 0
		.amdhsa_memory_ordered 1
		.amdhsa_forward_progress 1
		.amdhsa_inst_pref_size 6
		.amdhsa_round_robin_scheduling 0
		.amdhsa_exception_fp_ieee_invalid_op 0
		.amdhsa_exception_fp_denorm_src 0
		.amdhsa_exception_fp_ieee_div_zero 0
		.amdhsa_exception_fp_ieee_overflow 0
		.amdhsa_exception_fp_ieee_underflow 0
		.amdhsa_exception_fp_ieee_inexact 0
		.amdhsa_exception_int_div_zero 0
	.end_amdhsa_kernel
	.section	.text._ZN9rocsparseL21csrmvn_general_kernelILj256ELj2Ell18rocsparse_bfloat16S1_ffEEvbT2_NS_24const_host_device_scalarIT6_EEPKT1_S8_PKS2_PKT3_PKT4_S5_PT5_21rocsparse_index_base_b,"axG",@progbits,_ZN9rocsparseL21csrmvn_general_kernelILj256ELj2Ell18rocsparse_bfloat16S1_ffEEvbT2_NS_24const_host_device_scalarIT6_EEPKT1_S8_PKS2_PKT3_PKT4_S5_PT5_21rocsparse_index_base_b,comdat
.Lfunc_end253:
	.size	_ZN9rocsparseL21csrmvn_general_kernelILj256ELj2Ell18rocsparse_bfloat16S1_ffEEvbT2_NS_24const_host_device_scalarIT6_EEPKT1_S8_PKS2_PKT3_PKT4_S5_PT5_21rocsparse_index_base_b, .Lfunc_end253-_ZN9rocsparseL21csrmvn_general_kernelILj256ELj2Ell18rocsparse_bfloat16S1_ffEEvbT2_NS_24const_host_device_scalarIT6_EEPKT1_S8_PKS2_PKT3_PKT4_S5_PT5_21rocsparse_index_base_b
                                        ; -- End function
	.set _ZN9rocsparseL21csrmvn_general_kernelILj256ELj2Ell18rocsparse_bfloat16S1_ffEEvbT2_NS_24const_host_device_scalarIT6_EEPKT1_S8_PKS2_PKT3_PKT4_S5_PT5_21rocsparse_index_base_b.num_vgpr, 17
	.set _ZN9rocsparseL21csrmvn_general_kernelILj256ELj2Ell18rocsparse_bfloat16S1_ffEEvbT2_NS_24const_host_device_scalarIT6_EEPKT1_S8_PKS2_PKT3_PKT4_S5_PT5_21rocsparse_index_base_b.num_agpr, 0
	.set _ZN9rocsparseL21csrmvn_general_kernelILj256ELj2Ell18rocsparse_bfloat16S1_ffEEvbT2_NS_24const_host_device_scalarIT6_EEPKT1_S8_PKS2_PKT3_PKT4_S5_PT5_21rocsparse_index_base_b.numbered_sgpr, 26
	.set _ZN9rocsparseL21csrmvn_general_kernelILj256ELj2Ell18rocsparse_bfloat16S1_ffEEvbT2_NS_24const_host_device_scalarIT6_EEPKT1_S8_PKS2_PKT3_PKT4_S5_PT5_21rocsparse_index_base_b.num_named_barrier, 0
	.set _ZN9rocsparseL21csrmvn_general_kernelILj256ELj2Ell18rocsparse_bfloat16S1_ffEEvbT2_NS_24const_host_device_scalarIT6_EEPKT1_S8_PKS2_PKT3_PKT4_S5_PT5_21rocsparse_index_base_b.private_seg_size, 0
	.set _ZN9rocsparseL21csrmvn_general_kernelILj256ELj2Ell18rocsparse_bfloat16S1_ffEEvbT2_NS_24const_host_device_scalarIT6_EEPKT1_S8_PKS2_PKT3_PKT4_S5_PT5_21rocsparse_index_base_b.uses_vcc, 1
	.set _ZN9rocsparseL21csrmvn_general_kernelILj256ELj2Ell18rocsparse_bfloat16S1_ffEEvbT2_NS_24const_host_device_scalarIT6_EEPKT1_S8_PKS2_PKT3_PKT4_S5_PT5_21rocsparse_index_base_b.uses_flat_scratch, 0
	.set _ZN9rocsparseL21csrmvn_general_kernelILj256ELj2Ell18rocsparse_bfloat16S1_ffEEvbT2_NS_24const_host_device_scalarIT6_EEPKT1_S8_PKS2_PKT3_PKT4_S5_PT5_21rocsparse_index_base_b.has_dyn_sized_stack, 0
	.set _ZN9rocsparseL21csrmvn_general_kernelILj256ELj2Ell18rocsparse_bfloat16S1_ffEEvbT2_NS_24const_host_device_scalarIT6_EEPKT1_S8_PKS2_PKT3_PKT4_S5_PT5_21rocsparse_index_base_b.has_recursion, 0
	.set _ZN9rocsparseL21csrmvn_general_kernelILj256ELj2Ell18rocsparse_bfloat16S1_ffEEvbT2_NS_24const_host_device_scalarIT6_EEPKT1_S8_PKS2_PKT3_PKT4_S5_PT5_21rocsparse_index_base_b.has_indirect_call, 0
	.section	.AMDGPU.csdata,"",@progbits
; Kernel info:
; codeLenInByte = 692
; TotalNumSgprs: 28
; NumVgprs: 17
; ScratchSize: 0
; MemoryBound: 0
; FloatMode: 240
; IeeeMode: 1
; LDSByteSize: 0 bytes/workgroup (compile time only)
; SGPRBlocks: 0
; VGPRBlocks: 1
; NumSGPRsForWavesPerEU: 28
; NumVGPRsForWavesPerEU: 17
; NamedBarCnt: 0
; Occupancy: 16
; WaveLimiterHint : 1
; COMPUTE_PGM_RSRC2:SCRATCH_EN: 0
; COMPUTE_PGM_RSRC2:USER_SGPR: 2
; COMPUTE_PGM_RSRC2:TRAP_HANDLER: 0
; COMPUTE_PGM_RSRC2:TGID_X_EN: 1
; COMPUTE_PGM_RSRC2:TGID_Y_EN: 0
; COMPUTE_PGM_RSRC2:TGID_Z_EN: 0
; COMPUTE_PGM_RSRC2:TIDIG_COMP_CNT: 0
	.section	.text._ZN9rocsparseL21csrmvn_general_kernelILj256ELj4Ell18rocsparse_bfloat16S1_ffEEvbT2_NS_24const_host_device_scalarIT6_EEPKT1_S8_PKS2_PKT3_PKT4_S5_PT5_21rocsparse_index_base_b,"axG",@progbits,_ZN9rocsparseL21csrmvn_general_kernelILj256ELj4Ell18rocsparse_bfloat16S1_ffEEvbT2_NS_24const_host_device_scalarIT6_EEPKT1_S8_PKS2_PKT3_PKT4_S5_PT5_21rocsparse_index_base_b,comdat
	.globl	_ZN9rocsparseL21csrmvn_general_kernelILj256ELj4Ell18rocsparse_bfloat16S1_ffEEvbT2_NS_24const_host_device_scalarIT6_EEPKT1_S8_PKS2_PKT3_PKT4_S5_PT5_21rocsparse_index_base_b ; -- Begin function _ZN9rocsparseL21csrmvn_general_kernelILj256ELj4Ell18rocsparse_bfloat16S1_ffEEvbT2_NS_24const_host_device_scalarIT6_EEPKT1_S8_PKS2_PKT3_PKT4_S5_PT5_21rocsparse_index_base_b
	.p2align	8
	.type	_ZN9rocsparseL21csrmvn_general_kernelILj256ELj4Ell18rocsparse_bfloat16S1_ffEEvbT2_NS_24const_host_device_scalarIT6_EEPKT1_S8_PKS2_PKT3_PKT4_S5_PT5_21rocsparse_index_base_b,@function
_ZN9rocsparseL21csrmvn_general_kernelILj256ELj4Ell18rocsparse_bfloat16S1_ffEEvbT2_NS_24const_host_device_scalarIT6_EEPKT1_S8_PKS2_PKT3_PKT4_S5_PT5_21rocsparse_index_base_b: ; @_ZN9rocsparseL21csrmvn_general_kernelILj256ELj4Ell18rocsparse_bfloat16S1_ffEEvbT2_NS_24const_host_device_scalarIT6_EEPKT1_S8_PKS2_PKT3_PKT4_S5_PT5_21rocsparse_index_base_b
; %bb.0:
	s_clause 0x2
	s_load_b64 s[2:3], s[0:1], 0x50
	s_load_b64 s[16:17], s[0:1], 0x40
	s_load_b256 s[4:11], s[0:1], 0x8
	s_wait_kmcnt 0x0
	s_bitcmp1_b32 s3, 0
	s_cselect_b32 s3, -1, 0
	s_delay_alu instid0(SALU_CYCLE_1)
	s_and_b32 vcc_lo, exec_lo, s3
	s_xor_b32 s3, s3, -1
	s_cbranch_vccnz .LBB254_2
; %bb.1:
	s_load_b32 s6, s[6:7], 0x0
.LBB254_2:
	s_and_not1_b32 vcc_lo, exec_lo, s3
	s_cbranch_vccnz .LBB254_4
; %bb.3:
	s_load_b32 s16, s[16:17], 0x0
.LBB254_4:
	s_wait_kmcnt 0x0
	s_cmp_neq_f32 s6, 0
	s_cselect_b32 s3, -1, 0
	s_cmp_neq_f32 s16, 1.0
	s_cselect_b32 s7, -1, 0
	s_delay_alu instid0(SALU_CYCLE_1) | instskip(NEXT) | instid1(SALU_CYCLE_1)
	s_or_b32 s3, s3, s7
	s_and_not1_b32 vcc_lo, exec_lo, s3
	s_cbranch_vccnz .LBB254_16
; %bb.5:
	s_bfe_u32 s3, ttmp6, 0x4000c
	s_and_b32 s7, ttmp6, 15
	s_add_co_i32 s3, s3, 1
	s_getreg_b32 s12, hwreg(HW_REG_IB_STS2, 6, 4)
	s_mul_i32 s3, ttmp9, s3
	v_mov_b32_e32 v3, 0
	s_add_co_i32 s7, s7, s3
	s_cmp_eq_u32 s12, 0
	s_cselect_b32 s3, ttmp9, s7
	s_delay_alu instid0(SALU_CYCLE_1) | instskip(SKIP_1) | instid1(VALU_DEP_1)
	v_lshl_or_b32 v1, s3, 8, v0
	s_mov_b32 s3, exec_lo
	v_lshrrev_b32_e32 v2, 2, v1
	s_delay_alu instid0(VALU_DEP_1)
	v_cmpx_gt_i64_e64 s[4:5], v[2:3]
	s_cbranch_execz .LBB254_16
; %bb.6:
	v_mbcnt_lo_u32_b32 v6, -1, 0
	s_clause 0x3
	s_load_b32 s7, s[0:1], 0x58
	s_load_b64 s[18:19], s[0:1], 0x48
	s_load_b128 s[12:15], s[0:1], 0x28
	s_load_b64 s[22:23], s[0:1], 0x38
	v_dual_mov_b32 v5, v3 :: v_dual_bitop2_b32 v4, 3, v0 bitop3:0x40
	s_mov_b32 s21, 0
	v_xor_b32_e32 v8, 1, v6
	v_xor_b32_e32 v7, 2, v6
	s_mov_b32 s3, s21
	s_wait_xcnt 0x0
	s_ashr_i32 s1, s2, 31
	v_sub_nc_u64_e64 v[0:1], v[4:5], s[2:3]
	s_mov_b32 s0, s2
	v_cmp_gt_i32_e32 vcc_lo, 32, v7
	s_lshl_b64 s[24:25], s[0:1], 1
	v_cmp_eq_u32_e64 s0, 3, v4
	v_cndmask_b32_e32 v5, v6, v7, vcc_lo
	v_cmp_gt_i32_e32 vcc_lo, 32, v8
	s_wait_kmcnt 0x0
	s_lshl_b32 s20, s7, 6
	s_cmp_neq_f32 s16, 0
	s_mov_b32 s7, s21
	s_sub_nc_u64 s[22:23], s[22:23], s[24:25]
	v_dual_cndmask_b32 v6, v6, v8, vcc_lo :: v_dual_lshlrev_b32 v12, 2, v5
	s_cselect_b32 s1, -1, 0
	s_delay_alu instid0(VALU_DEP_1)
	v_lshlrev_b32_e32 v13, 2, v6
	s_branch .LBB254_9
.LBB254_7:                              ;   in Loop: Header=BB254_9 Depth=1
	global_store_b32 v[4:5], v6, off
.LBB254_8:                              ;   in Loop: Header=BB254_9 Depth=1
	s_wait_xcnt 0x0
	s_or_b32 exec_lo, exec_lo, s17
	v_add_nc_u64_e32 v[2:3], s[20:21], v[2:3]
	s_delay_alu instid0(VALU_DEP_1) | instskip(SKIP_1) | instid1(SALU_CYCLE_1)
	v_cmp_le_i64_e32 vcc_lo, s[4:5], v[2:3]
	s_or_b32 s7, vcc_lo, s7
	s_and_not1_b32 exec_lo, exec_lo, s7
	s_cbranch_execz .LBB254_16
.LBB254_9:                              ; =>This Loop Header: Depth=1
                                        ;     Child Loop BB254_11 Depth 2
	s_wait_dscnt 0x0
	v_lshlrev_b64_e32 v[4:5], 3, v[2:3]
	v_mov_b32_e32 v14, 0
	s_mov_b32 s17, exec_lo
	s_delay_alu instid0(VALU_DEP_2)
	v_add_nc_u64_e32 v[6:7], s[10:11], v[4:5]
	v_add_nc_u64_e32 v[4:5], s[8:9], v[4:5]
	global_load_b64 v[8:9], v[6:7], off
	global_load_b64 v[10:11], v[4:5], off
	s_wait_loadcnt 0x1
	s_wait_xcnt 0x0
	v_sub_nc_u64_e64 v[4:5], v[8:9], s[2:3]
	s_wait_loadcnt 0x0
	v_add_nc_u64_e32 v[6:7], v[10:11], v[0:1]
	s_delay_alu instid0(VALU_DEP_1)
	v_cmpx_lt_i64_e64 v[6:7], v[4:5]
	s_cbranch_execz .LBB254_13
; %bb.10:                               ;   in Loop: Header=BB254_9 Depth=1
	v_lshl_add_u64 v[8:9], v[6:7], 1, s[14:15]
	v_lshl_add_u64 v[10:11], v[6:7], 3, s[12:13]
	v_mov_b32_e32 v14, 0
	s_mov_b32 s24, 0
.LBB254_11:                             ;   Parent Loop BB254_9 Depth=1
                                        ; =>  This Inner Loop Header: Depth=2
	global_load_b64 v[16:17], v[10:11], off
	global_load_u16 v15, v[8:9], off
	v_add_nc_u64_e32 v[6:7], 4, v[6:7]
	s_wait_xcnt 0x0
	v_add_nc_u64_e32 v[8:9], 8, v[8:9]
	v_add_nc_u64_e32 v[10:11], 32, v[10:11]
	s_delay_alu instid0(VALU_DEP_3)
	v_cmp_ge_i64_e32 vcc_lo, v[6:7], v[4:5]
	s_or_b32 s24, vcc_lo, s24
	s_wait_loadcnt 0x1
	v_lshl_add_u64 v[16:17], v[16:17], 1, s[22:23]
	s_wait_loadcnt 0x0
	v_lshlrev_b32_e32 v15, 16, v15
	global_load_u16 v16, v[16:17], off
	v_mul_f32_e32 v15, s6, v15
	s_wait_loadcnt 0x0
	s_delay_alu instid0(VALU_DEP_1)
	v_fma_mix_f32_bf16 v14, v15, v16, v14 op_sel_hi:[0,1,0]
	s_wait_xcnt 0x0
	s_and_not1_b32 exec_lo, exec_lo, s24
	s_cbranch_execnz .LBB254_11
; %bb.12:                               ;   in Loop: Header=BB254_9 Depth=1
	s_or_b32 exec_lo, exec_lo, s24
.LBB254_13:                             ;   in Loop: Header=BB254_9 Depth=1
	s_delay_alu instid0(SALU_CYCLE_1)
	s_or_b32 exec_lo, exec_lo, s17
	ds_bpermute_b32 v4, v12, v14
	s_wait_dscnt 0x0
	v_add_f32_e32 v4, v14, v4
	ds_bpermute_b32 v5, v13, v4
	s_and_saveexec_b32 s17, s0
	s_cbranch_execz .LBB254_8
; %bb.14:                               ;   in Loop: Header=BB254_9 Depth=1
	s_wait_dscnt 0x0
	v_add_f32_e32 v6, v4, v5
	v_lshl_add_u64 v[4:5], v[2:3], 2, s[18:19]
	s_and_not1_b32 vcc_lo, exec_lo, s1
	s_cbranch_vccnz .LBB254_7
; %bb.15:                               ;   in Loop: Header=BB254_9 Depth=1
	global_load_b32 v7, v[4:5], off
	s_wait_loadcnt 0x0
	v_fmac_f32_e32 v6, s16, v7
	s_branch .LBB254_7
.LBB254_16:
	s_endpgm
	.section	.rodata,"a",@progbits
	.p2align	6, 0x0
	.amdhsa_kernel _ZN9rocsparseL21csrmvn_general_kernelILj256ELj4Ell18rocsparse_bfloat16S1_ffEEvbT2_NS_24const_host_device_scalarIT6_EEPKT1_S8_PKS2_PKT3_PKT4_S5_PT5_21rocsparse_index_base_b
		.amdhsa_group_segment_fixed_size 0
		.amdhsa_private_segment_fixed_size 0
		.amdhsa_kernarg_size 344
		.amdhsa_user_sgpr_count 2
		.amdhsa_user_sgpr_dispatch_ptr 0
		.amdhsa_user_sgpr_queue_ptr 0
		.amdhsa_user_sgpr_kernarg_segment_ptr 1
		.amdhsa_user_sgpr_dispatch_id 0
		.amdhsa_user_sgpr_kernarg_preload_length 0
		.amdhsa_user_sgpr_kernarg_preload_offset 0
		.amdhsa_user_sgpr_private_segment_size 0
		.amdhsa_wavefront_size32 1
		.amdhsa_uses_dynamic_stack 0
		.amdhsa_enable_private_segment 0
		.amdhsa_system_sgpr_workgroup_id_x 1
		.amdhsa_system_sgpr_workgroup_id_y 0
		.amdhsa_system_sgpr_workgroup_id_z 0
		.amdhsa_system_sgpr_workgroup_info 0
		.amdhsa_system_vgpr_workitem_id 0
		.amdhsa_next_free_vgpr 18
		.amdhsa_next_free_sgpr 26
		.amdhsa_named_barrier_count 0
		.amdhsa_reserve_vcc 1
		.amdhsa_float_round_mode_32 0
		.amdhsa_float_round_mode_16_64 0
		.amdhsa_float_denorm_mode_32 3
		.amdhsa_float_denorm_mode_16_64 3
		.amdhsa_fp16_overflow 0
		.amdhsa_memory_ordered 1
		.amdhsa_forward_progress 1
		.amdhsa_inst_pref_size 6
		.amdhsa_round_robin_scheduling 0
		.amdhsa_exception_fp_ieee_invalid_op 0
		.amdhsa_exception_fp_denorm_src 0
		.amdhsa_exception_fp_ieee_div_zero 0
		.amdhsa_exception_fp_ieee_overflow 0
		.amdhsa_exception_fp_ieee_underflow 0
		.amdhsa_exception_fp_ieee_inexact 0
		.amdhsa_exception_int_div_zero 0
	.end_amdhsa_kernel
	.section	.text._ZN9rocsparseL21csrmvn_general_kernelILj256ELj4Ell18rocsparse_bfloat16S1_ffEEvbT2_NS_24const_host_device_scalarIT6_EEPKT1_S8_PKS2_PKT3_PKT4_S5_PT5_21rocsparse_index_base_b,"axG",@progbits,_ZN9rocsparseL21csrmvn_general_kernelILj256ELj4Ell18rocsparse_bfloat16S1_ffEEvbT2_NS_24const_host_device_scalarIT6_EEPKT1_S8_PKS2_PKT3_PKT4_S5_PT5_21rocsparse_index_base_b,comdat
.Lfunc_end254:
	.size	_ZN9rocsparseL21csrmvn_general_kernelILj256ELj4Ell18rocsparse_bfloat16S1_ffEEvbT2_NS_24const_host_device_scalarIT6_EEPKT1_S8_PKS2_PKT3_PKT4_S5_PT5_21rocsparse_index_base_b, .Lfunc_end254-_ZN9rocsparseL21csrmvn_general_kernelILj256ELj4Ell18rocsparse_bfloat16S1_ffEEvbT2_NS_24const_host_device_scalarIT6_EEPKT1_S8_PKS2_PKT3_PKT4_S5_PT5_21rocsparse_index_base_b
                                        ; -- End function
	.set _ZN9rocsparseL21csrmvn_general_kernelILj256ELj4Ell18rocsparse_bfloat16S1_ffEEvbT2_NS_24const_host_device_scalarIT6_EEPKT1_S8_PKS2_PKT3_PKT4_S5_PT5_21rocsparse_index_base_b.num_vgpr, 18
	.set _ZN9rocsparseL21csrmvn_general_kernelILj256ELj4Ell18rocsparse_bfloat16S1_ffEEvbT2_NS_24const_host_device_scalarIT6_EEPKT1_S8_PKS2_PKT3_PKT4_S5_PT5_21rocsparse_index_base_b.num_agpr, 0
	.set _ZN9rocsparseL21csrmvn_general_kernelILj256ELj4Ell18rocsparse_bfloat16S1_ffEEvbT2_NS_24const_host_device_scalarIT6_EEPKT1_S8_PKS2_PKT3_PKT4_S5_PT5_21rocsparse_index_base_b.numbered_sgpr, 26
	.set _ZN9rocsparseL21csrmvn_general_kernelILj256ELj4Ell18rocsparse_bfloat16S1_ffEEvbT2_NS_24const_host_device_scalarIT6_EEPKT1_S8_PKS2_PKT3_PKT4_S5_PT5_21rocsparse_index_base_b.num_named_barrier, 0
	.set _ZN9rocsparseL21csrmvn_general_kernelILj256ELj4Ell18rocsparse_bfloat16S1_ffEEvbT2_NS_24const_host_device_scalarIT6_EEPKT1_S8_PKS2_PKT3_PKT4_S5_PT5_21rocsparse_index_base_b.private_seg_size, 0
	.set _ZN9rocsparseL21csrmvn_general_kernelILj256ELj4Ell18rocsparse_bfloat16S1_ffEEvbT2_NS_24const_host_device_scalarIT6_EEPKT1_S8_PKS2_PKT3_PKT4_S5_PT5_21rocsparse_index_base_b.uses_vcc, 1
	.set _ZN9rocsparseL21csrmvn_general_kernelILj256ELj4Ell18rocsparse_bfloat16S1_ffEEvbT2_NS_24const_host_device_scalarIT6_EEPKT1_S8_PKS2_PKT3_PKT4_S5_PT5_21rocsparse_index_base_b.uses_flat_scratch, 0
	.set _ZN9rocsparseL21csrmvn_general_kernelILj256ELj4Ell18rocsparse_bfloat16S1_ffEEvbT2_NS_24const_host_device_scalarIT6_EEPKT1_S8_PKS2_PKT3_PKT4_S5_PT5_21rocsparse_index_base_b.has_dyn_sized_stack, 0
	.set _ZN9rocsparseL21csrmvn_general_kernelILj256ELj4Ell18rocsparse_bfloat16S1_ffEEvbT2_NS_24const_host_device_scalarIT6_EEPKT1_S8_PKS2_PKT3_PKT4_S5_PT5_21rocsparse_index_base_b.has_recursion, 0
	.set _ZN9rocsparseL21csrmvn_general_kernelILj256ELj4Ell18rocsparse_bfloat16S1_ffEEvbT2_NS_24const_host_device_scalarIT6_EEPKT1_S8_PKS2_PKT3_PKT4_S5_PT5_21rocsparse_index_base_b.has_indirect_call, 0
	.section	.AMDGPU.csdata,"",@progbits
; Kernel info:
; codeLenInByte = 728
; TotalNumSgprs: 28
; NumVgprs: 18
; ScratchSize: 0
; MemoryBound: 0
; FloatMode: 240
; IeeeMode: 1
; LDSByteSize: 0 bytes/workgroup (compile time only)
; SGPRBlocks: 0
; VGPRBlocks: 1
; NumSGPRsForWavesPerEU: 28
; NumVGPRsForWavesPerEU: 18
; NamedBarCnt: 0
; Occupancy: 16
; WaveLimiterHint : 1
; COMPUTE_PGM_RSRC2:SCRATCH_EN: 0
; COMPUTE_PGM_RSRC2:USER_SGPR: 2
; COMPUTE_PGM_RSRC2:TRAP_HANDLER: 0
; COMPUTE_PGM_RSRC2:TGID_X_EN: 1
; COMPUTE_PGM_RSRC2:TGID_Y_EN: 0
; COMPUTE_PGM_RSRC2:TGID_Z_EN: 0
; COMPUTE_PGM_RSRC2:TIDIG_COMP_CNT: 0
	.section	.text._ZN9rocsparseL21csrmvn_general_kernelILj256ELj8Ell18rocsparse_bfloat16S1_ffEEvbT2_NS_24const_host_device_scalarIT6_EEPKT1_S8_PKS2_PKT3_PKT4_S5_PT5_21rocsparse_index_base_b,"axG",@progbits,_ZN9rocsparseL21csrmvn_general_kernelILj256ELj8Ell18rocsparse_bfloat16S1_ffEEvbT2_NS_24const_host_device_scalarIT6_EEPKT1_S8_PKS2_PKT3_PKT4_S5_PT5_21rocsparse_index_base_b,comdat
	.globl	_ZN9rocsparseL21csrmvn_general_kernelILj256ELj8Ell18rocsparse_bfloat16S1_ffEEvbT2_NS_24const_host_device_scalarIT6_EEPKT1_S8_PKS2_PKT3_PKT4_S5_PT5_21rocsparse_index_base_b ; -- Begin function _ZN9rocsparseL21csrmvn_general_kernelILj256ELj8Ell18rocsparse_bfloat16S1_ffEEvbT2_NS_24const_host_device_scalarIT6_EEPKT1_S8_PKS2_PKT3_PKT4_S5_PT5_21rocsparse_index_base_b
	.p2align	8
	.type	_ZN9rocsparseL21csrmvn_general_kernelILj256ELj8Ell18rocsparse_bfloat16S1_ffEEvbT2_NS_24const_host_device_scalarIT6_EEPKT1_S8_PKS2_PKT3_PKT4_S5_PT5_21rocsparse_index_base_b,@function
_ZN9rocsparseL21csrmvn_general_kernelILj256ELj8Ell18rocsparse_bfloat16S1_ffEEvbT2_NS_24const_host_device_scalarIT6_EEPKT1_S8_PKS2_PKT3_PKT4_S5_PT5_21rocsparse_index_base_b: ; @_ZN9rocsparseL21csrmvn_general_kernelILj256ELj8Ell18rocsparse_bfloat16S1_ffEEvbT2_NS_24const_host_device_scalarIT6_EEPKT1_S8_PKS2_PKT3_PKT4_S5_PT5_21rocsparse_index_base_b
; %bb.0:
	s_clause 0x2
	s_load_b64 s[2:3], s[0:1], 0x50
	s_load_b64 s[16:17], s[0:1], 0x40
	s_load_b256 s[4:11], s[0:1], 0x8
	s_wait_kmcnt 0x0
	s_bitcmp1_b32 s3, 0
	s_cselect_b32 s3, -1, 0
	s_delay_alu instid0(SALU_CYCLE_1)
	s_and_b32 vcc_lo, exec_lo, s3
	s_xor_b32 s3, s3, -1
	s_cbranch_vccnz .LBB255_2
; %bb.1:
	s_load_b32 s6, s[6:7], 0x0
.LBB255_2:
	s_and_not1_b32 vcc_lo, exec_lo, s3
	s_cbranch_vccnz .LBB255_4
; %bb.3:
	s_load_b32 s16, s[16:17], 0x0
.LBB255_4:
	s_wait_kmcnt 0x0
	s_cmp_neq_f32 s6, 0
	s_cselect_b32 s3, -1, 0
	s_cmp_neq_f32 s16, 1.0
	s_cselect_b32 s7, -1, 0
	s_delay_alu instid0(SALU_CYCLE_1) | instskip(NEXT) | instid1(SALU_CYCLE_1)
	s_or_b32 s3, s3, s7
	s_and_not1_b32 vcc_lo, exec_lo, s3
	s_cbranch_vccnz .LBB255_16
; %bb.5:
	s_bfe_u32 s3, ttmp6, 0x4000c
	s_and_b32 s7, ttmp6, 15
	s_add_co_i32 s3, s3, 1
	s_getreg_b32 s12, hwreg(HW_REG_IB_STS2, 6, 4)
	s_mul_i32 s3, ttmp9, s3
	v_mov_b32_e32 v3, 0
	s_add_co_i32 s7, s7, s3
	s_cmp_eq_u32 s12, 0
	s_cselect_b32 s3, ttmp9, s7
	s_delay_alu instid0(SALU_CYCLE_1) | instskip(SKIP_1) | instid1(VALU_DEP_1)
	v_lshl_or_b32 v1, s3, 8, v0
	s_mov_b32 s3, exec_lo
	v_lshrrev_b32_e32 v2, 3, v1
	s_delay_alu instid0(VALU_DEP_1)
	v_cmpx_gt_i64_e64 s[4:5], v[2:3]
	s_cbranch_execz .LBB255_16
; %bb.6:
	v_mbcnt_lo_u32_b32 v6, -1, 0
	v_dual_mov_b32 v5, v3 :: v_dual_bitop2_b32 v4, 7, v0 bitop3:0x40
	s_clause 0x3
	s_load_b32 s7, s[0:1], 0x58
	s_load_b64 s[18:19], s[0:1], 0x48
	s_load_b128 s[12:15], s[0:1], 0x28
	s_load_b64 s[22:23], s[0:1], 0x38
	s_mov_b32 s21, 0
	v_xor_b32_e32 v8, 2, v6
	v_xor_b32_e32 v7, 4, v6
	s_mov_b32 s3, s21
	s_wait_xcnt 0x0
	s_ashr_i32 s1, s2, 31
	v_sub_nc_u64_e64 v[0:1], v[4:5], s[2:3]
	s_mov_b32 s0, s2
	v_cmp_gt_i32_e32 vcc_lo, 32, v7
	s_lshl_b64 s[24:25], s[0:1], 1
	v_cmp_eq_u32_e64 s0, 7, v4
	v_dual_cndmask_b32 v7, v6, v7, vcc_lo :: v_dual_bitop2_b32 v5, 1, v6 bitop3:0x14
	v_cmp_gt_i32_e32 vcc_lo, 32, v8
	s_wait_kmcnt 0x0
	s_lshl_b32 s20, s7, 5
	s_delay_alu instid0(VALU_DEP_2)
	v_lshlrev_b32_e32 v12, 2, v7
	s_cmp_neq_f32 s16, 0
	v_cndmask_b32_e32 v8, v6, v8, vcc_lo
	v_cmp_gt_i32_e32 vcc_lo, 32, v5
	s_sub_nc_u64 s[22:23], s[22:23], s[24:25]
	s_cselect_b32 s1, -1, 0
	s_mov_b32 s7, s21
	v_dual_lshlrev_b32 v13, 2, v8 :: v_dual_cndmask_b32 v5, v6, v5, vcc_lo
	s_delay_alu instid0(VALU_DEP_1)
	v_lshlrev_b32_e32 v14, 2, v5
	s_branch .LBB255_9
.LBB255_7:                              ;   in Loop: Header=BB255_9 Depth=1
	global_store_b32 v[4:5], v6, off
.LBB255_8:                              ;   in Loop: Header=BB255_9 Depth=1
	s_wait_xcnt 0x0
	s_or_b32 exec_lo, exec_lo, s17
	v_add_nc_u64_e32 v[2:3], s[20:21], v[2:3]
	s_delay_alu instid0(VALU_DEP_1) | instskip(SKIP_1) | instid1(SALU_CYCLE_1)
	v_cmp_le_i64_e32 vcc_lo, s[4:5], v[2:3]
	s_or_b32 s7, vcc_lo, s7
	s_and_not1_b32 exec_lo, exec_lo, s7
	s_cbranch_execz .LBB255_16
.LBB255_9:                              ; =>This Loop Header: Depth=1
                                        ;     Child Loop BB255_11 Depth 2
	s_wait_dscnt 0x0
	v_lshlrev_b64_e32 v[4:5], 3, v[2:3]
	v_mov_b32_e32 v15, 0
	s_mov_b32 s17, exec_lo
	s_delay_alu instid0(VALU_DEP_2)
	v_add_nc_u64_e32 v[6:7], s[10:11], v[4:5]
	v_add_nc_u64_e32 v[4:5], s[8:9], v[4:5]
	global_load_b64 v[8:9], v[6:7], off
	global_load_b64 v[10:11], v[4:5], off
	s_wait_loadcnt 0x1
	s_wait_xcnt 0x0
	v_sub_nc_u64_e64 v[4:5], v[8:9], s[2:3]
	s_wait_loadcnt 0x0
	v_add_nc_u64_e32 v[6:7], v[10:11], v[0:1]
	s_delay_alu instid0(VALU_DEP_1)
	v_cmpx_lt_i64_e64 v[6:7], v[4:5]
	s_cbranch_execz .LBB255_13
; %bb.10:                               ;   in Loop: Header=BB255_9 Depth=1
	v_lshl_add_u64 v[8:9], v[6:7], 1, s[14:15]
	v_lshl_add_u64 v[10:11], v[6:7], 3, s[12:13]
	v_mov_b32_e32 v15, 0
	s_mov_b32 s24, 0
.LBB255_11:                             ;   Parent Loop BB255_9 Depth=1
                                        ; =>  This Inner Loop Header: Depth=2
	global_load_b64 v[16:17], v[10:11], off
	global_load_u16 v18, v[8:9], off
	v_add_nc_u64_e32 v[6:7], 8, v[6:7]
	s_wait_xcnt 0x0
	v_add_nc_u64_e32 v[8:9], 16, v[8:9]
	v_add_nc_u64_e32 v[10:11], 64, v[10:11]
	s_delay_alu instid0(VALU_DEP_3)
	v_cmp_ge_i64_e32 vcc_lo, v[6:7], v[4:5]
	s_or_b32 s24, vcc_lo, s24
	s_wait_loadcnt 0x1
	v_lshl_add_u64 v[16:17], v[16:17], 1, s[22:23]
	global_load_u16 v16, v[16:17], off
	s_wait_loadcnt 0x1
	s_wait_xcnt 0x0
	v_lshlrev_b32_e32 v17, 16, v18
	s_delay_alu instid0(VALU_DEP_1) | instskip(SKIP_1) | instid1(VALU_DEP_1)
	v_mul_f32_e32 v17, s6, v17
	s_wait_loadcnt 0x0
	v_fma_mix_f32_bf16 v15, v17, v16, v15 op_sel_hi:[0,1,0]
	s_and_not1_b32 exec_lo, exec_lo, s24
	s_cbranch_execnz .LBB255_11
; %bb.12:                               ;   in Loop: Header=BB255_9 Depth=1
	s_or_b32 exec_lo, exec_lo, s24
.LBB255_13:                             ;   in Loop: Header=BB255_9 Depth=1
	s_delay_alu instid0(SALU_CYCLE_1)
	s_or_b32 exec_lo, exec_lo, s17
	ds_bpermute_b32 v4, v12, v15
	s_wait_dscnt 0x0
	v_add_f32_e32 v4, v15, v4
	ds_bpermute_b32 v5, v13, v4
	s_wait_dscnt 0x0
	v_add_f32_e32 v4, v4, v5
	ds_bpermute_b32 v5, v14, v4
	s_and_saveexec_b32 s17, s0
	s_cbranch_execz .LBB255_8
; %bb.14:                               ;   in Loop: Header=BB255_9 Depth=1
	s_wait_dscnt 0x0
	v_add_f32_e32 v6, v4, v5
	v_lshl_add_u64 v[4:5], v[2:3], 2, s[18:19]
	s_and_not1_b32 vcc_lo, exec_lo, s1
	s_cbranch_vccnz .LBB255_7
; %bb.15:                               ;   in Loop: Header=BB255_9 Depth=1
	global_load_b32 v7, v[4:5], off
	s_wait_loadcnt 0x0
	v_fmac_f32_e32 v6, s16, v7
	s_branch .LBB255_7
.LBB255_16:
	s_endpgm
	.section	.rodata,"a",@progbits
	.p2align	6, 0x0
	.amdhsa_kernel _ZN9rocsparseL21csrmvn_general_kernelILj256ELj8Ell18rocsparse_bfloat16S1_ffEEvbT2_NS_24const_host_device_scalarIT6_EEPKT1_S8_PKS2_PKT3_PKT4_S5_PT5_21rocsparse_index_base_b
		.amdhsa_group_segment_fixed_size 0
		.amdhsa_private_segment_fixed_size 0
		.amdhsa_kernarg_size 344
		.amdhsa_user_sgpr_count 2
		.amdhsa_user_sgpr_dispatch_ptr 0
		.amdhsa_user_sgpr_queue_ptr 0
		.amdhsa_user_sgpr_kernarg_segment_ptr 1
		.amdhsa_user_sgpr_dispatch_id 0
		.amdhsa_user_sgpr_kernarg_preload_length 0
		.amdhsa_user_sgpr_kernarg_preload_offset 0
		.amdhsa_user_sgpr_private_segment_size 0
		.amdhsa_wavefront_size32 1
		.amdhsa_uses_dynamic_stack 0
		.amdhsa_enable_private_segment 0
		.amdhsa_system_sgpr_workgroup_id_x 1
		.amdhsa_system_sgpr_workgroup_id_y 0
		.amdhsa_system_sgpr_workgroup_id_z 0
		.amdhsa_system_sgpr_workgroup_info 0
		.amdhsa_system_vgpr_workitem_id 0
		.amdhsa_next_free_vgpr 19
		.amdhsa_next_free_sgpr 26
		.amdhsa_named_barrier_count 0
		.amdhsa_reserve_vcc 1
		.amdhsa_float_round_mode_32 0
		.amdhsa_float_round_mode_16_64 0
		.amdhsa_float_denorm_mode_32 3
		.amdhsa_float_denorm_mode_16_64 3
		.amdhsa_fp16_overflow 0
		.amdhsa_memory_ordered 1
		.amdhsa_forward_progress 1
		.amdhsa_inst_pref_size 6
		.amdhsa_round_robin_scheduling 0
		.amdhsa_exception_fp_ieee_invalid_op 0
		.amdhsa_exception_fp_denorm_src 0
		.amdhsa_exception_fp_ieee_div_zero 0
		.amdhsa_exception_fp_ieee_overflow 0
		.amdhsa_exception_fp_ieee_underflow 0
		.amdhsa_exception_fp_ieee_inexact 0
		.amdhsa_exception_int_div_zero 0
	.end_amdhsa_kernel
	.section	.text._ZN9rocsparseL21csrmvn_general_kernelILj256ELj8Ell18rocsparse_bfloat16S1_ffEEvbT2_NS_24const_host_device_scalarIT6_EEPKT1_S8_PKS2_PKT3_PKT4_S5_PT5_21rocsparse_index_base_b,"axG",@progbits,_ZN9rocsparseL21csrmvn_general_kernelILj256ELj8Ell18rocsparse_bfloat16S1_ffEEvbT2_NS_24const_host_device_scalarIT6_EEPKT1_S8_PKS2_PKT3_PKT4_S5_PT5_21rocsparse_index_base_b,comdat
.Lfunc_end255:
	.size	_ZN9rocsparseL21csrmvn_general_kernelILj256ELj8Ell18rocsparse_bfloat16S1_ffEEvbT2_NS_24const_host_device_scalarIT6_EEPKT1_S8_PKS2_PKT3_PKT4_S5_PT5_21rocsparse_index_base_b, .Lfunc_end255-_ZN9rocsparseL21csrmvn_general_kernelILj256ELj8Ell18rocsparse_bfloat16S1_ffEEvbT2_NS_24const_host_device_scalarIT6_EEPKT1_S8_PKS2_PKT3_PKT4_S5_PT5_21rocsparse_index_base_b
                                        ; -- End function
	.set _ZN9rocsparseL21csrmvn_general_kernelILj256ELj8Ell18rocsparse_bfloat16S1_ffEEvbT2_NS_24const_host_device_scalarIT6_EEPKT1_S8_PKS2_PKT3_PKT4_S5_PT5_21rocsparse_index_base_b.num_vgpr, 19
	.set _ZN9rocsparseL21csrmvn_general_kernelILj256ELj8Ell18rocsparse_bfloat16S1_ffEEvbT2_NS_24const_host_device_scalarIT6_EEPKT1_S8_PKS2_PKT3_PKT4_S5_PT5_21rocsparse_index_base_b.num_agpr, 0
	.set _ZN9rocsparseL21csrmvn_general_kernelILj256ELj8Ell18rocsparse_bfloat16S1_ffEEvbT2_NS_24const_host_device_scalarIT6_EEPKT1_S8_PKS2_PKT3_PKT4_S5_PT5_21rocsparse_index_base_b.numbered_sgpr, 26
	.set _ZN9rocsparseL21csrmvn_general_kernelILj256ELj8Ell18rocsparse_bfloat16S1_ffEEvbT2_NS_24const_host_device_scalarIT6_EEPKT1_S8_PKS2_PKT3_PKT4_S5_PT5_21rocsparse_index_base_b.num_named_barrier, 0
	.set _ZN9rocsparseL21csrmvn_general_kernelILj256ELj8Ell18rocsparse_bfloat16S1_ffEEvbT2_NS_24const_host_device_scalarIT6_EEPKT1_S8_PKS2_PKT3_PKT4_S5_PT5_21rocsparse_index_base_b.private_seg_size, 0
	.set _ZN9rocsparseL21csrmvn_general_kernelILj256ELj8Ell18rocsparse_bfloat16S1_ffEEvbT2_NS_24const_host_device_scalarIT6_EEPKT1_S8_PKS2_PKT3_PKT4_S5_PT5_21rocsparse_index_base_b.uses_vcc, 1
	.set _ZN9rocsparseL21csrmvn_general_kernelILj256ELj8Ell18rocsparse_bfloat16S1_ffEEvbT2_NS_24const_host_device_scalarIT6_EEPKT1_S8_PKS2_PKT3_PKT4_S5_PT5_21rocsparse_index_base_b.uses_flat_scratch, 0
	.set _ZN9rocsparseL21csrmvn_general_kernelILj256ELj8Ell18rocsparse_bfloat16S1_ffEEvbT2_NS_24const_host_device_scalarIT6_EEPKT1_S8_PKS2_PKT3_PKT4_S5_PT5_21rocsparse_index_base_b.has_dyn_sized_stack, 0
	.set _ZN9rocsparseL21csrmvn_general_kernelILj256ELj8Ell18rocsparse_bfloat16S1_ffEEvbT2_NS_24const_host_device_scalarIT6_EEPKT1_S8_PKS2_PKT3_PKT4_S5_PT5_21rocsparse_index_base_b.has_recursion, 0
	.set _ZN9rocsparseL21csrmvn_general_kernelILj256ELj8Ell18rocsparse_bfloat16S1_ffEEvbT2_NS_24const_host_device_scalarIT6_EEPKT1_S8_PKS2_PKT3_PKT4_S5_PT5_21rocsparse_index_base_b.has_indirect_call, 0
	.section	.AMDGPU.csdata,"",@progbits
; Kernel info:
; codeLenInByte = 768
; TotalNumSgprs: 28
; NumVgprs: 19
; ScratchSize: 0
; MemoryBound: 0
; FloatMode: 240
; IeeeMode: 1
; LDSByteSize: 0 bytes/workgroup (compile time only)
; SGPRBlocks: 0
; VGPRBlocks: 1
; NumSGPRsForWavesPerEU: 28
; NumVGPRsForWavesPerEU: 19
; NamedBarCnt: 0
; Occupancy: 16
; WaveLimiterHint : 1
; COMPUTE_PGM_RSRC2:SCRATCH_EN: 0
; COMPUTE_PGM_RSRC2:USER_SGPR: 2
; COMPUTE_PGM_RSRC2:TRAP_HANDLER: 0
; COMPUTE_PGM_RSRC2:TGID_X_EN: 1
; COMPUTE_PGM_RSRC2:TGID_Y_EN: 0
; COMPUTE_PGM_RSRC2:TGID_Z_EN: 0
; COMPUTE_PGM_RSRC2:TIDIG_COMP_CNT: 0
	.section	.text._ZN9rocsparseL21csrmvn_general_kernelILj256ELj16Ell18rocsparse_bfloat16S1_ffEEvbT2_NS_24const_host_device_scalarIT6_EEPKT1_S8_PKS2_PKT3_PKT4_S5_PT5_21rocsparse_index_base_b,"axG",@progbits,_ZN9rocsparseL21csrmvn_general_kernelILj256ELj16Ell18rocsparse_bfloat16S1_ffEEvbT2_NS_24const_host_device_scalarIT6_EEPKT1_S8_PKS2_PKT3_PKT4_S5_PT5_21rocsparse_index_base_b,comdat
	.globl	_ZN9rocsparseL21csrmvn_general_kernelILj256ELj16Ell18rocsparse_bfloat16S1_ffEEvbT2_NS_24const_host_device_scalarIT6_EEPKT1_S8_PKS2_PKT3_PKT4_S5_PT5_21rocsparse_index_base_b ; -- Begin function _ZN9rocsparseL21csrmvn_general_kernelILj256ELj16Ell18rocsparse_bfloat16S1_ffEEvbT2_NS_24const_host_device_scalarIT6_EEPKT1_S8_PKS2_PKT3_PKT4_S5_PT5_21rocsparse_index_base_b
	.p2align	8
	.type	_ZN9rocsparseL21csrmvn_general_kernelILj256ELj16Ell18rocsparse_bfloat16S1_ffEEvbT2_NS_24const_host_device_scalarIT6_EEPKT1_S8_PKS2_PKT3_PKT4_S5_PT5_21rocsparse_index_base_b,@function
_ZN9rocsparseL21csrmvn_general_kernelILj256ELj16Ell18rocsparse_bfloat16S1_ffEEvbT2_NS_24const_host_device_scalarIT6_EEPKT1_S8_PKS2_PKT3_PKT4_S5_PT5_21rocsparse_index_base_b: ; @_ZN9rocsparseL21csrmvn_general_kernelILj256ELj16Ell18rocsparse_bfloat16S1_ffEEvbT2_NS_24const_host_device_scalarIT6_EEPKT1_S8_PKS2_PKT3_PKT4_S5_PT5_21rocsparse_index_base_b
; %bb.0:
	s_clause 0x2
	s_load_b64 s[2:3], s[0:1], 0x50
	s_load_b64 s[16:17], s[0:1], 0x40
	s_load_b256 s[4:11], s[0:1], 0x8
	s_wait_kmcnt 0x0
	s_bitcmp1_b32 s3, 0
	s_cselect_b32 s3, -1, 0
	s_delay_alu instid0(SALU_CYCLE_1)
	s_and_b32 vcc_lo, exec_lo, s3
	s_xor_b32 s3, s3, -1
	s_cbranch_vccnz .LBB256_2
; %bb.1:
	s_load_b32 s6, s[6:7], 0x0
.LBB256_2:
	s_and_not1_b32 vcc_lo, exec_lo, s3
	s_cbranch_vccnz .LBB256_4
; %bb.3:
	s_load_b32 s16, s[16:17], 0x0
.LBB256_4:
	s_wait_kmcnt 0x0
	s_cmp_neq_f32 s6, 0
	s_cselect_b32 s3, -1, 0
	s_cmp_neq_f32 s16, 1.0
	s_cselect_b32 s7, -1, 0
	s_delay_alu instid0(SALU_CYCLE_1) | instskip(NEXT) | instid1(SALU_CYCLE_1)
	s_or_b32 s3, s3, s7
	s_and_not1_b32 vcc_lo, exec_lo, s3
	s_cbranch_vccnz .LBB256_16
; %bb.5:
	s_bfe_u32 s3, ttmp6, 0x4000c
	s_and_b32 s7, ttmp6, 15
	s_add_co_i32 s3, s3, 1
	s_getreg_b32 s12, hwreg(HW_REG_IB_STS2, 6, 4)
	s_mul_i32 s3, ttmp9, s3
	v_mov_b32_e32 v3, 0
	s_add_co_i32 s7, s7, s3
	s_cmp_eq_u32 s12, 0
	s_cselect_b32 s3, ttmp9, s7
	s_delay_alu instid0(SALU_CYCLE_1) | instskip(SKIP_1) | instid1(VALU_DEP_1)
	v_lshl_or_b32 v1, s3, 8, v0
	s_mov_b32 s3, exec_lo
	v_lshrrev_b32_e32 v2, 4, v1
	s_delay_alu instid0(VALU_DEP_1)
	v_cmpx_gt_i64_e64 s[4:5], v[2:3]
	s_cbranch_execz .LBB256_16
; %bb.6:
	v_dual_mov_b32 v5, v3 :: v_dual_bitop2_b32 v4, 15, v0 bitop3:0x40
	v_mbcnt_lo_u32_b32 v6, -1, 0
	s_mov_b32 s21, 0
	s_clause 0x3
	s_load_b32 s7, s[0:1], 0x58
	s_load_b64 s[18:19], s[0:1], 0x48
	s_load_b128 s[12:15], s[0:1], 0x28
	s_load_b64 s[22:23], s[0:1], 0x38
	s_mov_b32 s3, s21
	s_wait_xcnt 0x0
	s_ashr_i32 s1, s2, 31
	v_sub_nc_u64_e64 v[0:1], v[4:5], s[2:3]
	v_xor_b32_e32 v5, 4, v6
	v_xor_b32_e32 v7, 8, v6
	v_xor_b32_e32 v9, 1, v6
	v_xor_b32_e32 v8, 2, v6
	s_mov_b32 s0, s2
	s_delay_alu instid0(VALU_DEP_3)
	v_cmp_gt_i32_e32 vcc_lo, 32, v7
	s_lshl_b64 s[24:25], s[0:1], 1
	v_cmp_eq_u32_e64 s0, 15, v4
	v_cndmask_b32_e32 v7, v6, v7, vcc_lo
	v_cmp_gt_i32_e32 vcc_lo, 32, v5
	s_wait_kmcnt 0x0
	s_lshl_b32 s20, s7, 4
	s_cmp_neq_f32 s16, 0
	s_mov_b32 s7, s21
	s_sub_nc_u64 s[22:23], s[22:23], s[24:25]
	v_cndmask_b32_e32 v5, v6, v5, vcc_lo
	v_cmp_gt_i32_e32 vcc_lo, 32, v8
	v_lshlrev_b32_e32 v12, 2, v7
	s_cselect_b32 s1, -1, 0
	s_delay_alu instid0(VALU_DEP_3) | instskip(SKIP_1) | instid1(VALU_DEP_2)
	v_dual_cndmask_b32 v8, v6, v8 :: v_dual_lshlrev_b32 v13, 2, v5
	v_cmp_gt_i32_e32 vcc_lo, 32, v9
	v_dual_cndmask_b32 v6, v6, v9, vcc_lo :: v_dual_lshlrev_b32 v14, 2, v8
	s_delay_alu instid0(VALU_DEP_1)
	v_lshlrev_b32_e32 v15, 2, v6
	s_branch .LBB256_9
.LBB256_7:                              ;   in Loop: Header=BB256_9 Depth=1
	global_store_b32 v[4:5], v6, off
.LBB256_8:                              ;   in Loop: Header=BB256_9 Depth=1
	s_wait_xcnt 0x0
	s_or_b32 exec_lo, exec_lo, s17
	v_add_nc_u64_e32 v[2:3], s[20:21], v[2:3]
	s_delay_alu instid0(VALU_DEP_1) | instskip(SKIP_1) | instid1(SALU_CYCLE_1)
	v_cmp_le_i64_e32 vcc_lo, s[4:5], v[2:3]
	s_or_b32 s7, vcc_lo, s7
	s_and_not1_b32 exec_lo, exec_lo, s7
	s_cbranch_execz .LBB256_16
.LBB256_9:                              ; =>This Loop Header: Depth=1
                                        ;     Child Loop BB256_11 Depth 2
	s_wait_dscnt 0x0
	v_lshlrev_b64_e32 v[4:5], 3, v[2:3]
	v_mov_b32_e32 v16, 0
	s_mov_b32 s17, exec_lo
	s_delay_alu instid0(VALU_DEP_2)
	v_add_nc_u64_e32 v[6:7], s[10:11], v[4:5]
	v_add_nc_u64_e32 v[4:5], s[8:9], v[4:5]
	global_load_b64 v[8:9], v[6:7], off
	global_load_b64 v[10:11], v[4:5], off
	s_wait_loadcnt 0x1
	s_wait_xcnt 0x0
	v_sub_nc_u64_e64 v[4:5], v[8:9], s[2:3]
	s_wait_loadcnt 0x0
	v_add_nc_u64_e32 v[6:7], v[10:11], v[0:1]
	s_delay_alu instid0(VALU_DEP_1)
	v_cmpx_lt_i64_e64 v[6:7], v[4:5]
	s_cbranch_execz .LBB256_13
; %bb.10:                               ;   in Loop: Header=BB256_9 Depth=1
	v_lshl_add_u64 v[8:9], v[6:7], 1, s[14:15]
	v_lshl_add_u64 v[10:11], v[6:7], 3, s[12:13]
	v_mov_b32_e32 v16, 0
	s_mov_b32 s24, 0
.LBB256_11:                             ;   Parent Loop BB256_9 Depth=1
                                        ; =>  This Inner Loop Header: Depth=2
	global_load_b64 v[18:19], v[10:11], off
	global_load_u16 v17, v[8:9], off
	v_add_nc_u64_e32 v[6:7], 16, v[6:7]
	s_wait_xcnt 0x0
	v_add_nc_u64_e32 v[8:9], 32, v[8:9]
	v_add_nc_u64_e32 v[10:11], 0x80, v[10:11]
	s_delay_alu instid0(VALU_DEP_3)
	v_cmp_ge_i64_e32 vcc_lo, v[6:7], v[4:5]
	s_or_b32 s24, vcc_lo, s24
	s_wait_loadcnt 0x1
	v_lshl_add_u64 v[18:19], v[18:19], 1, s[22:23]
	s_wait_loadcnt 0x0
	v_lshlrev_b32_e32 v17, 16, v17
	global_load_u16 v18, v[18:19], off
	v_mul_f32_e32 v17, s6, v17
	s_wait_loadcnt 0x0
	s_delay_alu instid0(VALU_DEP_1)
	v_fma_mix_f32_bf16 v16, v17, v18, v16 op_sel_hi:[0,1,0]
	s_wait_xcnt 0x0
	s_and_not1_b32 exec_lo, exec_lo, s24
	s_cbranch_execnz .LBB256_11
; %bb.12:                               ;   in Loop: Header=BB256_9 Depth=1
	s_or_b32 exec_lo, exec_lo, s24
.LBB256_13:                             ;   in Loop: Header=BB256_9 Depth=1
	s_delay_alu instid0(SALU_CYCLE_1)
	s_or_b32 exec_lo, exec_lo, s17
	ds_bpermute_b32 v4, v12, v16
	s_wait_dscnt 0x0
	v_add_f32_e32 v4, v16, v4
	ds_bpermute_b32 v5, v13, v4
	s_wait_dscnt 0x0
	v_add_f32_e32 v4, v4, v5
	;; [unrolled: 3-line block ×3, first 2 shown]
	ds_bpermute_b32 v5, v15, v4
	s_and_saveexec_b32 s17, s0
	s_cbranch_execz .LBB256_8
; %bb.14:                               ;   in Loop: Header=BB256_9 Depth=1
	s_wait_dscnt 0x0
	v_add_f32_e32 v6, v4, v5
	v_lshl_add_u64 v[4:5], v[2:3], 2, s[18:19]
	s_and_not1_b32 vcc_lo, exec_lo, s1
	s_cbranch_vccnz .LBB256_7
; %bb.15:                               ;   in Loop: Header=BB256_9 Depth=1
	global_load_b32 v7, v[4:5], off
	s_wait_loadcnt 0x0
	v_fmac_f32_e32 v6, s16, v7
	s_branch .LBB256_7
.LBB256_16:
	s_endpgm
	.section	.rodata,"a",@progbits
	.p2align	6, 0x0
	.amdhsa_kernel _ZN9rocsparseL21csrmvn_general_kernelILj256ELj16Ell18rocsparse_bfloat16S1_ffEEvbT2_NS_24const_host_device_scalarIT6_EEPKT1_S8_PKS2_PKT3_PKT4_S5_PT5_21rocsparse_index_base_b
		.amdhsa_group_segment_fixed_size 0
		.amdhsa_private_segment_fixed_size 0
		.amdhsa_kernarg_size 344
		.amdhsa_user_sgpr_count 2
		.amdhsa_user_sgpr_dispatch_ptr 0
		.amdhsa_user_sgpr_queue_ptr 0
		.amdhsa_user_sgpr_kernarg_segment_ptr 1
		.amdhsa_user_sgpr_dispatch_id 0
		.amdhsa_user_sgpr_kernarg_preload_length 0
		.amdhsa_user_sgpr_kernarg_preload_offset 0
		.amdhsa_user_sgpr_private_segment_size 0
		.amdhsa_wavefront_size32 1
		.amdhsa_uses_dynamic_stack 0
		.amdhsa_enable_private_segment 0
		.amdhsa_system_sgpr_workgroup_id_x 1
		.amdhsa_system_sgpr_workgroup_id_y 0
		.amdhsa_system_sgpr_workgroup_id_z 0
		.amdhsa_system_sgpr_workgroup_info 0
		.amdhsa_system_vgpr_workitem_id 0
		.amdhsa_next_free_vgpr 20
		.amdhsa_next_free_sgpr 26
		.amdhsa_named_barrier_count 0
		.amdhsa_reserve_vcc 1
		.amdhsa_float_round_mode_32 0
		.amdhsa_float_round_mode_16_64 0
		.amdhsa_float_denorm_mode_32 3
		.amdhsa_float_denorm_mode_16_64 3
		.amdhsa_fp16_overflow 0
		.amdhsa_memory_ordered 1
		.amdhsa_forward_progress 1
		.amdhsa_inst_pref_size 7
		.amdhsa_round_robin_scheduling 0
		.amdhsa_exception_fp_ieee_invalid_op 0
		.amdhsa_exception_fp_denorm_src 0
		.amdhsa_exception_fp_ieee_div_zero 0
		.amdhsa_exception_fp_ieee_overflow 0
		.amdhsa_exception_fp_ieee_underflow 0
		.amdhsa_exception_fp_ieee_inexact 0
		.amdhsa_exception_int_div_zero 0
	.end_amdhsa_kernel
	.section	.text._ZN9rocsparseL21csrmvn_general_kernelILj256ELj16Ell18rocsparse_bfloat16S1_ffEEvbT2_NS_24const_host_device_scalarIT6_EEPKT1_S8_PKS2_PKT3_PKT4_S5_PT5_21rocsparse_index_base_b,"axG",@progbits,_ZN9rocsparseL21csrmvn_general_kernelILj256ELj16Ell18rocsparse_bfloat16S1_ffEEvbT2_NS_24const_host_device_scalarIT6_EEPKT1_S8_PKS2_PKT3_PKT4_S5_PT5_21rocsparse_index_base_b,comdat
.Lfunc_end256:
	.size	_ZN9rocsparseL21csrmvn_general_kernelILj256ELj16Ell18rocsparse_bfloat16S1_ffEEvbT2_NS_24const_host_device_scalarIT6_EEPKT1_S8_PKS2_PKT3_PKT4_S5_PT5_21rocsparse_index_base_b, .Lfunc_end256-_ZN9rocsparseL21csrmvn_general_kernelILj256ELj16Ell18rocsparse_bfloat16S1_ffEEvbT2_NS_24const_host_device_scalarIT6_EEPKT1_S8_PKS2_PKT3_PKT4_S5_PT5_21rocsparse_index_base_b
                                        ; -- End function
	.set _ZN9rocsparseL21csrmvn_general_kernelILj256ELj16Ell18rocsparse_bfloat16S1_ffEEvbT2_NS_24const_host_device_scalarIT6_EEPKT1_S8_PKS2_PKT3_PKT4_S5_PT5_21rocsparse_index_base_b.num_vgpr, 20
	.set _ZN9rocsparseL21csrmvn_general_kernelILj256ELj16Ell18rocsparse_bfloat16S1_ffEEvbT2_NS_24const_host_device_scalarIT6_EEPKT1_S8_PKS2_PKT3_PKT4_S5_PT5_21rocsparse_index_base_b.num_agpr, 0
	.set _ZN9rocsparseL21csrmvn_general_kernelILj256ELj16Ell18rocsparse_bfloat16S1_ffEEvbT2_NS_24const_host_device_scalarIT6_EEPKT1_S8_PKS2_PKT3_PKT4_S5_PT5_21rocsparse_index_base_b.numbered_sgpr, 26
	.set _ZN9rocsparseL21csrmvn_general_kernelILj256ELj16Ell18rocsparse_bfloat16S1_ffEEvbT2_NS_24const_host_device_scalarIT6_EEPKT1_S8_PKS2_PKT3_PKT4_S5_PT5_21rocsparse_index_base_b.num_named_barrier, 0
	.set _ZN9rocsparseL21csrmvn_general_kernelILj256ELj16Ell18rocsparse_bfloat16S1_ffEEvbT2_NS_24const_host_device_scalarIT6_EEPKT1_S8_PKS2_PKT3_PKT4_S5_PT5_21rocsparse_index_base_b.private_seg_size, 0
	.set _ZN9rocsparseL21csrmvn_general_kernelILj256ELj16Ell18rocsparse_bfloat16S1_ffEEvbT2_NS_24const_host_device_scalarIT6_EEPKT1_S8_PKS2_PKT3_PKT4_S5_PT5_21rocsparse_index_base_b.uses_vcc, 1
	.set _ZN9rocsparseL21csrmvn_general_kernelILj256ELj16Ell18rocsparse_bfloat16S1_ffEEvbT2_NS_24const_host_device_scalarIT6_EEPKT1_S8_PKS2_PKT3_PKT4_S5_PT5_21rocsparse_index_base_b.uses_flat_scratch, 0
	.set _ZN9rocsparseL21csrmvn_general_kernelILj256ELj16Ell18rocsparse_bfloat16S1_ffEEvbT2_NS_24const_host_device_scalarIT6_EEPKT1_S8_PKS2_PKT3_PKT4_S5_PT5_21rocsparse_index_base_b.has_dyn_sized_stack, 0
	.set _ZN9rocsparseL21csrmvn_general_kernelILj256ELj16Ell18rocsparse_bfloat16S1_ffEEvbT2_NS_24const_host_device_scalarIT6_EEPKT1_S8_PKS2_PKT3_PKT4_S5_PT5_21rocsparse_index_base_b.has_recursion, 0
	.set _ZN9rocsparseL21csrmvn_general_kernelILj256ELj16Ell18rocsparse_bfloat16S1_ffEEvbT2_NS_24const_host_device_scalarIT6_EEPKT1_S8_PKS2_PKT3_PKT4_S5_PT5_21rocsparse_index_base_b.has_indirect_call, 0
	.section	.AMDGPU.csdata,"",@progbits
; Kernel info:
; codeLenInByte = 804
; TotalNumSgprs: 28
; NumVgprs: 20
; ScratchSize: 0
; MemoryBound: 0
; FloatMode: 240
; IeeeMode: 1
; LDSByteSize: 0 bytes/workgroup (compile time only)
; SGPRBlocks: 0
; VGPRBlocks: 1
; NumSGPRsForWavesPerEU: 28
; NumVGPRsForWavesPerEU: 20
; NamedBarCnt: 0
; Occupancy: 16
; WaveLimiterHint : 1
; COMPUTE_PGM_RSRC2:SCRATCH_EN: 0
; COMPUTE_PGM_RSRC2:USER_SGPR: 2
; COMPUTE_PGM_RSRC2:TRAP_HANDLER: 0
; COMPUTE_PGM_RSRC2:TGID_X_EN: 1
; COMPUTE_PGM_RSRC2:TGID_Y_EN: 0
; COMPUTE_PGM_RSRC2:TGID_Z_EN: 0
; COMPUTE_PGM_RSRC2:TIDIG_COMP_CNT: 0
	.section	.text._ZN9rocsparseL21csrmvn_general_kernelILj256ELj32Ell18rocsparse_bfloat16S1_ffEEvbT2_NS_24const_host_device_scalarIT6_EEPKT1_S8_PKS2_PKT3_PKT4_S5_PT5_21rocsparse_index_base_b,"axG",@progbits,_ZN9rocsparseL21csrmvn_general_kernelILj256ELj32Ell18rocsparse_bfloat16S1_ffEEvbT2_NS_24const_host_device_scalarIT6_EEPKT1_S8_PKS2_PKT3_PKT4_S5_PT5_21rocsparse_index_base_b,comdat
	.globl	_ZN9rocsparseL21csrmvn_general_kernelILj256ELj32Ell18rocsparse_bfloat16S1_ffEEvbT2_NS_24const_host_device_scalarIT6_EEPKT1_S8_PKS2_PKT3_PKT4_S5_PT5_21rocsparse_index_base_b ; -- Begin function _ZN9rocsparseL21csrmvn_general_kernelILj256ELj32Ell18rocsparse_bfloat16S1_ffEEvbT2_NS_24const_host_device_scalarIT6_EEPKT1_S8_PKS2_PKT3_PKT4_S5_PT5_21rocsparse_index_base_b
	.p2align	8
	.type	_ZN9rocsparseL21csrmvn_general_kernelILj256ELj32Ell18rocsparse_bfloat16S1_ffEEvbT2_NS_24const_host_device_scalarIT6_EEPKT1_S8_PKS2_PKT3_PKT4_S5_PT5_21rocsparse_index_base_b,@function
_ZN9rocsparseL21csrmvn_general_kernelILj256ELj32Ell18rocsparse_bfloat16S1_ffEEvbT2_NS_24const_host_device_scalarIT6_EEPKT1_S8_PKS2_PKT3_PKT4_S5_PT5_21rocsparse_index_base_b: ; @_ZN9rocsparseL21csrmvn_general_kernelILj256ELj32Ell18rocsparse_bfloat16S1_ffEEvbT2_NS_24const_host_device_scalarIT6_EEPKT1_S8_PKS2_PKT3_PKT4_S5_PT5_21rocsparse_index_base_b
; %bb.0:
	s_clause 0x2
	s_load_b64 s[2:3], s[0:1], 0x50
	s_load_b64 s[16:17], s[0:1], 0x40
	s_load_b256 s[4:11], s[0:1], 0x8
	s_wait_kmcnt 0x0
	s_bitcmp1_b32 s3, 0
	s_cselect_b32 s3, -1, 0
	s_delay_alu instid0(SALU_CYCLE_1)
	s_and_b32 vcc_lo, exec_lo, s3
	s_xor_b32 s3, s3, -1
	s_cbranch_vccnz .LBB257_2
; %bb.1:
	s_load_b32 s6, s[6:7], 0x0
.LBB257_2:
	s_and_not1_b32 vcc_lo, exec_lo, s3
	s_cbranch_vccnz .LBB257_4
; %bb.3:
	s_load_b32 s16, s[16:17], 0x0
.LBB257_4:
	s_wait_kmcnt 0x0
	s_cmp_neq_f32 s6, 0
	s_cselect_b32 s3, -1, 0
	s_cmp_neq_f32 s16, 1.0
	s_cselect_b32 s7, -1, 0
	s_delay_alu instid0(SALU_CYCLE_1) | instskip(NEXT) | instid1(SALU_CYCLE_1)
	s_or_b32 s3, s3, s7
	s_and_not1_b32 vcc_lo, exec_lo, s3
	s_cbranch_vccnz .LBB257_16
; %bb.5:
	s_bfe_u32 s3, ttmp6, 0x4000c
	s_and_b32 s7, ttmp6, 15
	s_add_co_i32 s3, s3, 1
	s_getreg_b32 s12, hwreg(HW_REG_IB_STS2, 6, 4)
	s_mul_i32 s3, ttmp9, s3
	v_mov_b32_e32 v3, 0
	s_add_co_i32 s7, s7, s3
	s_cmp_eq_u32 s12, 0
	s_cselect_b32 s3, ttmp9, s7
	s_delay_alu instid0(SALU_CYCLE_1) | instskip(SKIP_1) | instid1(VALU_DEP_1)
	v_lshl_or_b32 v1, s3, 8, v0
	s_mov_b32 s3, exec_lo
	v_lshrrev_b32_e32 v2, 5, v1
	s_delay_alu instid0(VALU_DEP_1)
	v_cmpx_gt_i64_e64 s[4:5], v[2:3]
	s_cbranch_execz .LBB257_16
; %bb.6:
	v_mbcnt_lo_u32_b32 v6, -1, 0
	v_dual_mov_b32 v5, v3 :: v_dual_bitop2_b32 v4, 31, v0 bitop3:0x40
	s_mov_b32 s21, 0
	s_clause 0x1
	s_load_b32 s7, s[0:1], 0x58
	s_load_b64 s[18:19], s[0:1], 0x48
	v_xor_b32_e32 v0, 16, v6
	s_mov_b32 s3, s21
	s_clause 0x1
	s_load_b128 s[12:15], s[0:1], 0x28
	s_load_b64 s[22:23], s[0:1], 0x38
	s_wait_xcnt 0x0
	s_ashr_i32 s1, s2, 31
	s_mov_b32 s0, s2
	v_cmp_gt_i32_e32 vcc_lo, 32, v0
	s_lshl_b64 s[24:25], s[0:1], 1
	v_cmp_eq_u32_e64 s0, 31, v4
	v_cndmask_b32_e32 v7, v6, v0, vcc_lo
	v_sub_nc_u64_e64 v[0:1], v[4:5], s[2:3]
	s_delay_alu instid0(VALU_DEP_2) | instskip(NEXT) | instid1(VALU_DEP_1)
	v_dual_lshlrev_b32 v12, 2, v7 :: v_dual_bitop2_b32 v5, 8, v6 bitop3:0x14
	v_cmp_gt_i32_e32 vcc_lo, 32, v5
	v_xor_b32_e32 v8, 4, v6
	s_wait_kmcnt 0x0
	s_lshl_b32 s20, s7, 3
	s_cmp_neq_f32 s16, 0
	s_mov_b32 s7, s21
	v_cndmask_b32_e32 v5, v6, v5, vcc_lo
	v_cmp_gt_i32_e32 vcc_lo, 32, v8
	v_xor_b32_e32 v9, 2, v6
	s_cselect_b32 s1, -1, 0
	s_sub_nc_u64 s[22:23], s[22:23], s[24:25]
	v_dual_cndmask_b32 v8, v6, v8 :: v_dual_lshlrev_b32 v13, 2, v5
	s_delay_alu instid0(VALU_DEP_2) | instskip(SKIP_1) | instid1(VALU_DEP_1)
	v_cmp_gt_i32_e32 vcc_lo, 32, v9
	v_dual_cndmask_b32 v9, v6, v9, vcc_lo :: v_dual_bitop2_b32 v7, 1, v6 bitop3:0x14
	v_cmp_gt_i32_e32 vcc_lo, 32, v7
	s_delay_alu instid0(VALU_DEP_2) | instskip(SKIP_1) | instid1(VALU_DEP_1)
	v_dual_lshlrev_b32 v14, 2, v8 :: v_dual_lshlrev_b32 v15, 2, v9
	v_cndmask_b32_e32 v6, v6, v7, vcc_lo
	v_lshlrev_b32_e32 v16, 2, v6
	s_branch .LBB257_9
.LBB257_7:                              ;   in Loop: Header=BB257_9 Depth=1
	global_store_b32 v[4:5], v6, off
.LBB257_8:                              ;   in Loop: Header=BB257_9 Depth=1
	s_wait_xcnt 0x0
	s_or_b32 exec_lo, exec_lo, s17
	v_add_nc_u64_e32 v[2:3], s[20:21], v[2:3]
	s_delay_alu instid0(VALU_DEP_1) | instskip(SKIP_1) | instid1(SALU_CYCLE_1)
	v_cmp_le_i64_e32 vcc_lo, s[4:5], v[2:3]
	s_or_b32 s7, vcc_lo, s7
	s_and_not1_b32 exec_lo, exec_lo, s7
	s_cbranch_execz .LBB257_16
.LBB257_9:                              ; =>This Loop Header: Depth=1
                                        ;     Child Loop BB257_11 Depth 2
	s_wait_dscnt 0x0
	v_lshlrev_b64_e32 v[4:5], 3, v[2:3]
	v_mov_b32_e32 v17, 0
	s_mov_b32 s17, exec_lo
	s_delay_alu instid0(VALU_DEP_2)
	v_add_nc_u64_e32 v[6:7], s[10:11], v[4:5]
	v_add_nc_u64_e32 v[4:5], s[8:9], v[4:5]
	global_load_b64 v[8:9], v[6:7], off
	global_load_b64 v[10:11], v[4:5], off
	s_wait_loadcnt 0x1
	s_wait_xcnt 0x0
	v_sub_nc_u64_e64 v[4:5], v[8:9], s[2:3]
	s_wait_loadcnt 0x0
	v_add_nc_u64_e32 v[6:7], v[10:11], v[0:1]
	s_delay_alu instid0(VALU_DEP_1)
	v_cmpx_lt_i64_e64 v[6:7], v[4:5]
	s_cbranch_execz .LBB257_13
; %bb.10:                               ;   in Loop: Header=BB257_9 Depth=1
	v_lshl_add_u64 v[8:9], v[6:7], 1, s[14:15]
	v_lshl_add_u64 v[10:11], v[6:7], 3, s[12:13]
	v_mov_b32_e32 v17, 0
	s_mov_b32 s24, 0
.LBB257_11:                             ;   Parent Loop BB257_9 Depth=1
                                        ; =>  This Inner Loop Header: Depth=2
	global_load_b64 v[18:19], v[10:11], off
	global_load_u16 v20, v[8:9], off
	v_add_nc_u64_e32 v[6:7], 32, v[6:7]
	s_wait_xcnt 0x0
	v_add_nc_u64_e32 v[8:9], 64, v[8:9]
	v_add_nc_u64_e32 v[10:11], 0x100, v[10:11]
	s_delay_alu instid0(VALU_DEP_3)
	v_cmp_ge_i64_e32 vcc_lo, v[6:7], v[4:5]
	s_or_b32 s24, vcc_lo, s24
	s_wait_loadcnt 0x1
	v_lshl_add_u64 v[18:19], v[18:19], 1, s[22:23]
	global_load_u16 v18, v[18:19], off
	s_wait_loadcnt 0x1
	s_wait_xcnt 0x0
	v_lshlrev_b32_e32 v19, 16, v20
	s_delay_alu instid0(VALU_DEP_1) | instskip(SKIP_1) | instid1(VALU_DEP_1)
	v_mul_f32_e32 v19, s6, v19
	s_wait_loadcnt 0x0
	v_fma_mix_f32_bf16 v17, v19, v18, v17 op_sel_hi:[0,1,0]
	s_and_not1_b32 exec_lo, exec_lo, s24
	s_cbranch_execnz .LBB257_11
; %bb.12:                               ;   in Loop: Header=BB257_9 Depth=1
	s_or_b32 exec_lo, exec_lo, s24
.LBB257_13:                             ;   in Loop: Header=BB257_9 Depth=1
	s_delay_alu instid0(SALU_CYCLE_1)
	s_or_b32 exec_lo, exec_lo, s17
	ds_bpermute_b32 v4, v12, v17
	s_wait_dscnt 0x0
	v_add_f32_e32 v4, v17, v4
	ds_bpermute_b32 v5, v13, v4
	s_wait_dscnt 0x0
	v_add_f32_e32 v4, v4, v5
	;; [unrolled: 3-line block ×4, first 2 shown]
	ds_bpermute_b32 v5, v16, v4
	s_and_saveexec_b32 s17, s0
	s_cbranch_execz .LBB257_8
; %bb.14:                               ;   in Loop: Header=BB257_9 Depth=1
	s_wait_dscnt 0x0
	v_add_f32_e32 v6, v4, v5
	v_lshl_add_u64 v[4:5], v[2:3], 2, s[18:19]
	s_and_not1_b32 vcc_lo, exec_lo, s1
	s_cbranch_vccnz .LBB257_7
; %bb.15:                               ;   in Loop: Header=BB257_9 Depth=1
	global_load_b32 v7, v[4:5], off
	s_wait_loadcnt 0x0
	v_fmac_f32_e32 v6, s16, v7
	s_branch .LBB257_7
.LBB257_16:
	s_endpgm
	.section	.rodata,"a",@progbits
	.p2align	6, 0x0
	.amdhsa_kernel _ZN9rocsparseL21csrmvn_general_kernelILj256ELj32Ell18rocsparse_bfloat16S1_ffEEvbT2_NS_24const_host_device_scalarIT6_EEPKT1_S8_PKS2_PKT3_PKT4_S5_PT5_21rocsparse_index_base_b
		.amdhsa_group_segment_fixed_size 0
		.amdhsa_private_segment_fixed_size 0
		.amdhsa_kernarg_size 344
		.amdhsa_user_sgpr_count 2
		.amdhsa_user_sgpr_dispatch_ptr 0
		.amdhsa_user_sgpr_queue_ptr 0
		.amdhsa_user_sgpr_kernarg_segment_ptr 1
		.amdhsa_user_sgpr_dispatch_id 0
		.amdhsa_user_sgpr_kernarg_preload_length 0
		.amdhsa_user_sgpr_kernarg_preload_offset 0
		.amdhsa_user_sgpr_private_segment_size 0
		.amdhsa_wavefront_size32 1
		.amdhsa_uses_dynamic_stack 0
		.amdhsa_enable_private_segment 0
		.amdhsa_system_sgpr_workgroup_id_x 1
		.amdhsa_system_sgpr_workgroup_id_y 0
		.amdhsa_system_sgpr_workgroup_id_z 0
		.amdhsa_system_sgpr_workgroup_info 0
		.amdhsa_system_vgpr_workitem_id 0
		.amdhsa_next_free_vgpr 21
		.amdhsa_next_free_sgpr 26
		.amdhsa_named_barrier_count 0
		.amdhsa_reserve_vcc 1
		.amdhsa_float_round_mode_32 0
		.amdhsa_float_round_mode_16_64 0
		.amdhsa_float_denorm_mode_32 3
		.amdhsa_float_denorm_mode_16_64 3
		.amdhsa_fp16_overflow 0
		.amdhsa_memory_ordered 1
		.amdhsa_forward_progress 1
		.amdhsa_inst_pref_size 7
		.amdhsa_round_robin_scheduling 0
		.amdhsa_exception_fp_ieee_invalid_op 0
		.amdhsa_exception_fp_denorm_src 0
		.amdhsa_exception_fp_ieee_div_zero 0
		.amdhsa_exception_fp_ieee_overflow 0
		.amdhsa_exception_fp_ieee_underflow 0
		.amdhsa_exception_fp_ieee_inexact 0
		.amdhsa_exception_int_div_zero 0
	.end_amdhsa_kernel
	.section	.text._ZN9rocsparseL21csrmvn_general_kernelILj256ELj32Ell18rocsparse_bfloat16S1_ffEEvbT2_NS_24const_host_device_scalarIT6_EEPKT1_S8_PKS2_PKT3_PKT4_S5_PT5_21rocsparse_index_base_b,"axG",@progbits,_ZN9rocsparseL21csrmvn_general_kernelILj256ELj32Ell18rocsparse_bfloat16S1_ffEEvbT2_NS_24const_host_device_scalarIT6_EEPKT1_S8_PKS2_PKT3_PKT4_S5_PT5_21rocsparse_index_base_b,comdat
.Lfunc_end257:
	.size	_ZN9rocsparseL21csrmvn_general_kernelILj256ELj32Ell18rocsparse_bfloat16S1_ffEEvbT2_NS_24const_host_device_scalarIT6_EEPKT1_S8_PKS2_PKT3_PKT4_S5_PT5_21rocsparse_index_base_b, .Lfunc_end257-_ZN9rocsparseL21csrmvn_general_kernelILj256ELj32Ell18rocsparse_bfloat16S1_ffEEvbT2_NS_24const_host_device_scalarIT6_EEPKT1_S8_PKS2_PKT3_PKT4_S5_PT5_21rocsparse_index_base_b
                                        ; -- End function
	.set _ZN9rocsparseL21csrmvn_general_kernelILj256ELj32Ell18rocsparse_bfloat16S1_ffEEvbT2_NS_24const_host_device_scalarIT6_EEPKT1_S8_PKS2_PKT3_PKT4_S5_PT5_21rocsparse_index_base_b.num_vgpr, 21
	.set _ZN9rocsparseL21csrmvn_general_kernelILj256ELj32Ell18rocsparse_bfloat16S1_ffEEvbT2_NS_24const_host_device_scalarIT6_EEPKT1_S8_PKS2_PKT3_PKT4_S5_PT5_21rocsparse_index_base_b.num_agpr, 0
	.set _ZN9rocsparseL21csrmvn_general_kernelILj256ELj32Ell18rocsparse_bfloat16S1_ffEEvbT2_NS_24const_host_device_scalarIT6_EEPKT1_S8_PKS2_PKT3_PKT4_S5_PT5_21rocsparse_index_base_b.numbered_sgpr, 26
	.set _ZN9rocsparseL21csrmvn_general_kernelILj256ELj32Ell18rocsparse_bfloat16S1_ffEEvbT2_NS_24const_host_device_scalarIT6_EEPKT1_S8_PKS2_PKT3_PKT4_S5_PT5_21rocsparse_index_base_b.num_named_barrier, 0
	.set _ZN9rocsparseL21csrmvn_general_kernelILj256ELj32Ell18rocsparse_bfloat16S1_ffEEvbT2_NS_24const_host_device_scalarIT6_EEPKT1_S8_PKS2_PKT3_PKT4_S5_PT5_21rocsparse_index_base_b.private_seg_size, 0
	.set _ZN9rocsparseL21csrmvn_general_kernelILj256ELj32Ell18rocsparse_bfloat16S1_ffEEvbT2_NS_24const_host_device_scalarIT6_EEPKT1_S8_PKS2_PKT3_PKT4_S5_PT5_21rocsparse_index_base_b.uses_vcc, 1
	.set _ZN9rocsparseL21csrmvn_general_kernelILj256ELj32Ell18rocsparse_bfloat16S1_ffEEvbT2_NS_24const_host_device_scalarIT6_EEPKT1_S8_PKS2_PKT3_PKT4_S5_PT5_21rocsparse_index_base_b.uses_flat_scratch, 0
	.set _ZN9rocsparseL21csrmvn_general_kernelILj256ELj32Ell18rocsparse_bfloat16S1_ffEEvbT2_NS_24const_host_device_scalarIT6_EEPKT1_S8_PKS2_PKT3_PKT4_S5_PT5_21rocsparse_index_base_b.has_dyn_sized_stack, 0
	.set _ZN9rocsparseL21csrmvn_general_kernelILj256ELj32Ell18rocsparse_bfloat16S1_ffEEvbT2_NS_24const_host_device_scalarIT6_EEPKT1_S8_PKS2_PKT3_PKT4_S5_PT5_21rocsparse_index_base_b.has_recursion, 0
	.set _ZN9rocsparseL21csrmvn_general_kernelILj256ELj32Ell18rocsparse_bfloat16S1_ffEEvbT2_NS_24const_host_device_scalarIT6_EEPKT1_S8_PKS2_PKT3_PKT4_S5_PT5_21rocsparse_index_base_b.has_indirect_call, 0
	.section	.AMDGPU.csdata,"",@progbits
; Kernel info:
; codeLenInByte = 848
; TotalNumSgprs: 28
; NumVgprs: 21
; ScratchSize: 0
; MemoryBound: 0
; FloatMode: 240
; IeeeMode: 1
; LDSByteSize: 0 bytes/workgroup (compile time only)
; SGPRBlocks: 0
; VGPRBlocks: 1
; NumSGPRsForWavesPerEU: 28
; NumVGPRsForWavesPerEU: 21
; NamedBarCnt: 0
; Occupancy: 16
; WaveLimiterHint : 1
; COMPUTE_PGM_RSRC2:SCRATCH_EN: 0
; COMPUTE_PGM_RSRC2:USER_SGPR: 2
; COMPUTE_PGM_RSRC2:TRAP_HANDLER: 0
; COMPUTE_PGM_RSRC2:TGID_X_EN: 1
; COMPUTE_PGM_RSRC2:TGID_Y_EN: 0
; COMPUTE_PGM_RSRC2:TGID_Z_EN: 0
; COMPUTE_PGM_RSRC2:TIDIG_COMP_CNT: 0
	.section	.text._ZN9rocsparseL21csrmvn_general_kernelILj256ELj64Ell18rocsparse_bfloat16S1_ffEEvbT2_NS_24const_host_device_scalarIT6_EEPKT1_S8_PKS2_PKT3_PKT4_S5_PT5_21rocsparse_index_base_b,"axG",@progbits,_ZN9rocsparseL21csrmvn_general_kernelILj256ELj64Ell18rocsparse_bfloat16S1_ffEEvbT2_NS_24const_host_device_scalarIT6_EEPKT1_S8_PKS2_PKT3_PKT4_S5_PT5_21rocsparse_index_base_b,comdat
	.globl	_ZN9rocsparseL21csrmvn_general_kernelILj256ELj64Ell18rocsparse_bfloat16S1_ffEEvbT2_NS_24const_host_device_scalarIT6_EEPKT1_S8_PKS2_PKT3_PKT4_S5_PT5_21rocsparse_index_base_b ; -- Begin function _ZN9rocsparseL21csrmvn_general_kernelILj256ELj64Ell18rocsparse_bfloat16S1_ffEEvbT2_NS_24const_host_device_scalarIT6_EEPKT1_S8_PKS2_PKT3_PKT4_S5_PT5_21rocsparse_index_base_b
	.p2align	8
	.type	_ZN9rocsparseL21csrmvn_general_kernelILj256ELj64Ell18rocsparse_bfloat16S1_ffEEvbT2_NS_24const_host_device_scalarIT6_EEPKT1_S8_PKS2_PKT3_PKT4_S5_PT5_21rocsparse_index_base_b,@function
_ZN9rocsparseL21csrmvn_general_kernelILj256ELj64Ell18rocsparse_bfloat16S1_ffEEvbT2_NS_24const_host_device_scalarIT6_EEPKT1_S8_PKS2_PKT3_PKT4_S5_PT5_21rocsparse_index_base_b: ; @_ZN9rocsparseL21csrmvn_general_kernelILj256ELj64Ell18rocsparse_bfloat16S1_ffEEvbT2_NS_24const_host_device_scalarIT6_EEPKT1_S8_PKS2_PKT3_PKT4_S5_PT5_21rocsparse_index_base_b
; %bb.0:
	s_clause 0x2
	s_load_b64 s[2:3], s[0:1], 0x50
	s_load_b64 s[16:17], s[0:1], 0x40
	s_load_b256 s[4:11], s[0:1], 0x8
	s_wait_kmcnt 0x0
	s_bitcmp1_b32 s3, 0
	s_cselect_b32 s3, -1, 0
	s_delay_alu instid0(SALU_CYCLE_1)
	s_and_b32 vcc_lo, exec_lo, s3
	s_xor_b32 s3, s3, -1
	s_cbranch_vccnz .LBB258_2
; %bb.1:
	s_load_b32 s6, s[6:7], 0x0
.LBB258_2:
	s_and_not1_b32 vcc_lo, exec_lo, s3
	s_cbranch_vccnz .LBB258_4
; %bb.3:
	s_load_b32 s16, s[16:17], 0x0
.LBB258_4:
	s_wait_kmcnt 0x0
	s_cmp_neq_f32 s6, 0
	s_cselect_b32 s3, -1, 0
	s_cmp_neq_f32 s16, 1.0
	s_cselect_b32 s7, -1, 0
	s_delay_alu instid0(SALU_CYCLE_1) | instskip(NEXT) | instid1(SALU_CYCLE_1)
	s_or_b32 s3, s3, s7
	s_and_not1_b32 vcc_lo, exec_lo, s3
	s_cbranch_vccnz .LBB258_16
; %bb.5:
	s_bfe_u32 s3, ttmp6, 0x4000c
	s_and_b32 s7, ttmp6, 15
	s_add_co_i32 s3, s3, 1
	s_getreg_b32 s12, hwreg(HW_REG_IB_STS2, 6, 4)
	s_mul_i32 s3, ttmp9, s3
	v_mov_b32_e32 v3, 0
	s_add_co_i32 s7, s7, s3
	s_cmp_eq_u32 s12, 0
	s_cselect_b32 s3, ttmp9, s7
	s_delay_alu instid0(SALU_CYCLE_1) | instskip(SKIP_1) | instid1(VALU_DEP_1)
	v_lshl_or_b32 v1, s3, 8, v0
	s_mov_b32 s3, exec_lo
	v_lshrrev_b32_e32 v2, 6, v1
	s_delay_alu instid0(VALU_DEP_1)
	v_cmpx_gt_i64_e64 s[4:5], v[2:3]
	s_cbranch_execz .LBB258_16
; %bb.6:
	v_mbcnt_lo_u32_b32 v6, -1, 0
	v_dual_mov_b32 v5, v3 :: v_dual_bitop2_b32 v4, 63, v0 bitop3:0x40
	s_mov_b32 s21, 0
	s_clause 0x3
	s_load_b32 s7, s[0:1], 0x58
	s_load_b64 s[18:19], s[0:1], 0x48
	s_load_b128 s[12:15], s[0:1], 0x28
	s_load_b64 s[22:23], s[0:1], 0x38
	v_xor_b32_e32 v1, 16, v6
	v_or_b32_e32 v0, 32, v6
	s_mov_b32 s3, s21
	s_wait_xcnt 0x0
	s_ashr_i32 s1, s2, 31
	s_mov_b32 s0, s2
	v_cmp_gt_i32_e32 vcc_lo, 32, v0
	s_lshl_b64 s[24:25], s[0:1], 1
	v_cmp_eq_u32_e64 s0, 63, v4
	v_cndmask_b32_e32 v7, v6, v0, vcc_lo
	v_cmp_gt_i32_e32 vcc_lo, 32, v1
	s_wait_kmcnt 0x0
	s_lshl_b32 s20, s7, 2
	v_cndmask_b32_e32 v8, v6, v1, vcc_lo
	v_sub_nc_u64_e64 v[0:1], v[4:5], s[2:3]
	v_dual_lshlrev_b32 v12, 2, v7 :: v_dual_bitop2_b32 v5, 8, v6 bitop3:0x14
	s_delay_alu instid0(VALU_DEP_3) | instskip(SKIP_1) | instid1(VALU_DEP_2)
	v_dual_lshlrev_b32 v13, 2, v8 :: v_dual_bitop2_b32 v7, 4, v6 bitop3:0x14
	s_cmp_neq_f32 s16, 0
	v_cmp_gt_i32_e32 vcc_lo, 32, v5
	v_xor_b32_e32 v8, 2, v6
	s_sub_nc_u64 s[22:23], s[22:23], s[24:25]
	s_cselect_b32 s1, -1, 0
	s_mov_b32 s7, s21
	v_cndmask_b32_e32 v5, v6, v5, vcc_lo
	v_cmp_gt_i32_e32 vcc_lo, 32, v7
	v_dual_cndmask_b32 v7, v6, v7, vcc_lo :: v_dual_bitop2_b32 v9, 1, v6 bitop3:0x14
	v_cmp_gt_i32_e32 vcc_lo, 32, v8
	s_delay_alu instid0(VALU_DEP_2) | instskip(SKIP_1) | instid1(VALU_DEP_4)
	v_dual_lshlrev_b32 v14, 2, v5 :: v_dual_lshlrev_b32 v15, 2, v7
	v_cndmask_b32_e32 v8, v6, v8, vcc_lo
	v_cmp_gt_i32_e32 vcc_lo, 32, v9
	s_delay_alu instid0(VALU_DEP_2) | instskip(NEXT) | instid1(VALU_DEP_1)
	v_dual_cndmask_b32 v6, v6, v9, vcc_lo :: v_dual_lshlrev_b32 v16, 2, v8
	v_lshlrev_b32_e32 v17, 2, v6
	s_branch .LBB258_9
.LBB258_7:                              ;   in Loop: Header=BB258_9 Depth=1
	global_store_b32 v[4:5], v6, off
.LBB258_8:                              ;   in Loop: Header=BB258_9 Depth=1
	s_wait_xcnt 0x0
	s_or_b32 exec_lo, exec_lo, s17
	v_add_nc_u64_e32 v[2:3], s[20:21], v[2:3]
	s_delay_alu instid0(VALU_DEP_1) | instskip(SKIP_1) | instid1(SALU_CYCLE_1)
	v_cmp_le_i64_e32 vcc_lo, s[4:5], v[2:3]
	s_or_b32 s7, vcc_lo, s7
	s_and_not1_b32 exec_lo, exec_lo, s7
	s_cbranch_execz .LBB258_16
.LBB258_9:                              ; =>This Loop Header: Depth=1
                                        ;     Child Loop BB258_11 Depth 2
	s_wait_dscnt 0x0
	v_lshlrev_b64_e32 v[4:5], 3, v[2:3]
	v_mov_b32_e32 v18, 0
	s_mov_b32 s17, exec_lo
	s_delay_alu instid0(VALU_DEP_2)
	v_add_nc_u64_e32 v[6:7], s[10:11], v[4:5]
	v_add_nc_u64_e32 v[4:5], s[8:9], v[4:5]
	global_load_b64 v[8:9], v[6:7], off
	global_load_b64 v[10:11], v[4:5], off
	s_wait_loadcnt 0x1
	s_wait_xcnt 0x0
	v_sub_nc_u64_e64 v[4:5], v[8:9], s[2:3]
	s_wait_loadcnt 0x0
	v_add_nc_u64_e32 v[6:7], v[10:11], v[0:1]
	s_delay_alu instid0(VALU_DEP_1)
	v_cmpx_lt_i64_e64 v[6:7], v[4:5]
	s_cbranch_execz .LBB258_13
; %bb.10:                               ;   in Loop: Header=BB258_9 Depth=1
	v_lshl_add_u64 v[8:9], v[6:7], 1, s[14:15]
	v_lshl_add_u64 v[10:11], v[6:7], 3, s[12:13]
	v_mov_b32_e32 v18, 0
	s_mov_b32 s24, 0
.LBB258_11:                             ;   Parent Loop BB258_9 Depth=1
                                        ; =>  This Inner Loop Header: Depth=2
	global_load_b64 v[20:21], v[10:11], off
	global_load_u16 v19, v[8:9], off
	v_add_nc_u64_e32 v[6:7], 64, v[6:7]
	s_wait_xcnt 0x0
	v_add_nc_u64_e32 v[8:9], 0x80, v[8:9]
	v_add_nc_u64_e32 v[10:11], 0x200, v[10:11]
	s_delay_alu instid0(VALU_DEP_3)
	v_cmp_ge_i64_e32 vcc_lo, v[6:7], v[4:5]
	s_or_b32 s24, vcc_lo, s24
	s_wait_loadcnt 0x1
	v_lshl_add_u64 v[20:21], v[20:21], 1, s[22:23]
	s_wait_loadcnt 0x0
	v_lshlrev_b32_e32 v19, 16, v19
	global_load_u16 v20, v[20:21], off
	v_mul_f32_e32 v19, s6, v19
	s_wait_loadcnt 0x0
	s_delay_alu instid0(VALU_DEP_1)
	v_fma_mix_f32_bf16 v18, v19, v20, v18 op_sel_hi:[0,1,0]
	s_wait_xcnt 0x0
	s_and_not1_b32 exec_lo, exec_lo, s24
	s_cbranch_execnz .LBB258_11
; %bb.12:                               ;   in Loop: Header=BB258_9 Depth=1
	s_or_b32 exec_lo, exec_lo, s24
.LBB258_13:                             ;   in Loop: Header=BB258_9 Depth=1
	s_delay_alu instid0(SALU_CYCLE_1)
	s_or_b32 exec_lo, exec_lo, s17
	ds_bpermute_b32 v4, v12, v18
	s_wait_dscnt 0x0
	v_add_f32_e32 v4, v18, v4
	ds_bpermute_b32 v5, v13, v4
	s_wait_dscnt 0x0
	v_add_f32_e32 v4, v4, v5
	;; [unrolled: 3-line block ×5, first 2 shown]
	ds_bpermute_b32 v5, v17, v4
	s_and_saveexec_b32 s17, s0
	s_cbranch_execz .LBB258_8
; %bb.14:                               ;   in Loop: Header=BB258_9 Depth=1
	s_wait_dscnt 0x0
	v_add_f32_e32 v6, v4, v5
	v_lshl_add_u64 v[4:5], v[2:3], 2, s[18:19]
	s_and_not1_b32 vcc_lo, exec_lo, s1
	s_cbranch_vccnz .LBB258_7
; %bb.15:                               ;   in Loop: Header=BB258_9 Depth=1
	global_load_b32 v7, v[4:5], off
	s_wait_loadcnt 0x0
	v_fmac_f32_e32 v6, s16, v7
	s_branch .LBB258_7
.LBB258_16:
	s_endpgm
	.section	.rodata,"a",@progbits
	.p2align	6, 0x0
	.amdhsa_kernel _ZN9rocsparseL21csrmvn_general_kernelILj256ELj64Ell18rocsparse_bfloat16S1_ffEEvbT2_NS_24const_host_device_scalarIT6_EEPKT1_S8_PKS2_PKT3_PKT4_S5_PT5_21rocsparse_index_base_b
		.amdhsa_group_segment_fixed_size 0
		.amdhsa_private_segment_fixed_size 0
		.amdhsa_kernarg_size 344
		.amdhsa_user_sgpr_count 2
		.amdhsa_user_sgpr_dispatch_ptr 0
		.amdhsa_user_sgpr_queue_ptr 0
		.amdhsa_user_sgpr_kernarg_segment_ptr 1
		.amdhsa_user_sgpr_dispatch_id 0
		.amdhsa_user_sgpr_kernarg_preload_length 0
		.amdhsa_user_sgpr_kernarg_preload_offset 0
		.amdhsa_user_sgpr_private_segment_size 0
		.amdhsa_wavefront_size32 1
		.amdhsa_uses_dynamic_stack 0
		.amdhsa_enable_private_segment 0
		.amdhsa_system_sgpr_workgroup_id_x 1
		.amdhsa_system_sgpr_workgroup_id_y 0
		.amdhsa_system_sgpr_workgroup_id_z 0
		.amdhsa_system_sgpr_workgroup_info 0
		.amdhsa_system_vgpr_workitem_id 0
		.amdhsa_next_free_vgpr 22
		.amdhsa_next_free_sgpr 26
		.amdhsa_named_barrier_count 0
		.amdhsa_reserve_vcc 1
		.amdhsa_float_round_mode_32 0
		.amdhsa_float_round_mode_16_64 0
		.amdhsa_float_denorm_mode_32 3
		.amdhsa_float_denorm_mode_16_64 3
		.amdhsa_fp16_overflow 0
		.amdhsa_memory_ordered 1
		.amdhsa_forward_progress 1
		.amdhsa_inst_pref_size 7
		.amdhsa_round_robin_scheduling 0
		.amdhsa_exception_fp_ieee_invalid_op 0
		.amdhsa_exception_fp_denorm_src 0
		.amdhsa_exception_fp_ieee_div_zero 0
		.amdhsa_exception_fp_ieee_overflow 0
		.amdhsa_exception_fp_ieee_underflow 0
		.amdhsa_exception_fp_ieee_inexact 0
		.amdhsa_exception_int_div_zero 0
	.end_amdhsa_kernel
	.section	.text._ZN9rocsparseL21csrmvn_general_kernelILj256ELj64Ell18rocsparse_bfloat16S1_ffEEvbT2_NS_24const_host_device_scalarIT6_EEPKT1_S8_PKS2_PKT3_PKT4_S5_PT5_21rocsparse_index_base_b,"axG",@progbits,_ZN9rocsparseL21csrmvn_general_kernelILj256ELj64Ell18rocsparse_bfloat16S1_ffEEvbT2_NS_24const_host_device_scalarIT6_EEPKT1_S8_PKS2_PKT3_PKT4_S5_PT5_21rocsparse_index_base_b,comdat
.Lfunc_end258:
	.size	_ZN9rocsparseL21csrmvn_general_kernelILj256ELj64Ell18rocsparse_bfloat16S1_ffEEvbT2_NS_24const_host_device_scalarIT6_EEPKT1_S8_PKS2_PKT3_PKT4_S5_PT5_21rocsparse_index_base_b, .Lfunc_end258-_ZN9rocsparseL21csrmvn_general_kernelILj256ELj64Ell18rocsparse_bfloat16S1_ffEEvbT2_NS_24const_host_device_scalarIT6_EEPKT1_S8_PKS2_PKT3_PKT4_S5_PT5_21rocsparse_index_base_b
                                        ; -- End function
	.set _ZN9rocsparseL21csrmvn_general_kernelILj256ELj64Ell18rocsparse_bfloat16S1_ffEEvbT2_NS_24const_host_device_scalarIT6_EEPKT1_S8_PKS2_PKT3_PKT4_S5_PT5_21rocsparse_index_base_b.num_vgpr, 22
	.set _ZN9rocsparseL21csrmvn_general_kernelILj256ELj64Ell18rocsparse_bfloat16S1_ffEEvbT2_NS_24const_host_device_scalarIT6_EEPKT1_S8_PKS2_PKT3_PKT4_S5_PT5_21rocsparse_index_base_b.num_agpr, 0
	.set _ZN9rocsparseL21csrmvn_general_kernelILj256ELj64Ell18rocsparse_bfloat16S1_ffEEvbT2_NS_24const_host_device_scalarIT6_EEPKT1_S8_PKS2_PKT3_PKT4_S5_PT5_21rocsparse_index_base_b.numbered_sgpr, 26
	.set _ZN9rocsparseL21csrmvn_general_kernelILj256ELj64Ell18rocsparse_bfloat16S1_ffEEvbT2_NS_24const_host_device_scalarIT6_EEPKT1_S8_PKS2_PKT3_PKT4_S5_PT5_21rocsparse_index_base_b.num_named_barrier, 0
	.set _ZN9rocsparseL21csrmvn_general_kernelILj256ELj64Ell18rocsparse_bfloat16S1_ffEEvbT2_NS_24const_host_device_scalarIT6_EEPKT1_S8_PKS2_PKT3_PKT4_S5_PT5_21rocsparse_index_base_b.private_seg_size, 0
	.set _ZN9rocsparseL21csrmvn_general_kernelILj256ELj64Ell18rocsparse_bfloat16S1_ffEEvbT2_NS_24const_host_device_scalarIT6_EEPKT1_S8_PKS2_PKT3_PKT4_S5_PT5_21rocsparse_index_base_b.uses_vcc, 1
	.set _ZN9rocsparseL21csrmvn_general_kernelILj256ELj64Ell18rocsparse_bfloat16S1_ffEEvbT2_NS_24const_host_device_scalarIT6_EEPKT1_S8_PKS2_PKT3_PKT4_S5_PT5_21rocsparse_index_base_b.uses_flat_scratch, 0
	.set _ZN9rocsparseL21csrmvn_general_kernelILj256ELj64Ell18rocsparse_bfloat16S1_ffEEvbT2_NS_24const_host_device_scalarIT6_EEPKT1_S8_PKS2_PKT3_PKT4_S5_PT5_21rocsparse_index_base_b.has_dyn_sized_stack, 0
	.set _ZN9rocsparseL21csrmvn_general_kernelILj256ELj64Ell18rocsparse_bfloat16S1_ffEEvbT2_NS_24const_host_device_scalarIT6_EEPKT1_S8_PKS2_PKT3_PKT4_S5_PT5_21rocsparse_index_base_b.has_recursion, 0
	.set _ZN9rocsparseL21csrmvn_general_kernelILj256ELj64Ell18rocsparse_bfloat16S1_ffEEvbT2_NS_24const_host_device_scalarIT6_EEPKT1_S8_PKS2_PKT3_PKT4_S5_PT5_21rocsparse_index_base_b.has_indirect_call, 0
	.section	.AMDGPU.csdata,"",@progbits
; Kernel info:
; codeLenInByte = 888
; TotalNumSgprs: 28
; NumVgprs: 22
; ScratchSize: 0
; MemoryBound: 0
; FloatMode: 240
; IeeeMode: 1
; LDSByteSize: 0 bytes/workgroup (compile time only)
; SGPRBlocks: 0
; VGPRBlocks: 1
; NumSGPRsForWavesPerEU: 28
; NumVGPRsForWavesPerEU: 22
; NamedBarCnt: 0
; Occupancy: 16
; WaveLimiterHint : 1
; COMPUTE_PGM_RSRC2:SCRATCH_EN: 0
; COMPUTE_PGM_RSRC2:USER_SGPR: 2
; COMPUTE_PGM_RSRC2:TRAP_HANDLER: 0
; COMPUTE_PGM_RSRC2:TGID_X_EN: 1
; COMPUTE_PGM_RSRC2:TGID_Y_EN: 0
; COMPUTE_PGM_RSRC2:TGID_Z_EN: 0
; COMPUTE_PGM_RSRC2:TIDIG_COMP_CNT: 0
	.section	.text._ZN9rocsparseL21csrmvt_general_kernelILj256ELj4Ell18rocsparse_bfloat16S1_ffEEvbbT2_NS_24const_host_device_scalarIT6_EEPKT1_S8_PKS2_PKT3_PKT4_PT5_21rocsparse_index_base_b,"axG",@progbits,_ZN9rocsparseL21csrmvt_general_kernelILj256ELj4Ell18rocsparse_bfloat16S1_ffEEvbbT2_NS_24const_host_device_scalarIT6_EEPKT1_S8_PKS2_PKT3_PKT4_PT5_21rocsparse_index_base_b,comdat
	.globl	_ZN9rocsparseL21csrmvt_general_kernelILj256ELj4Ell18rocsparse_bfloat16S1_ffEEvbbT2_NS_24const_host_device_scalarIT6_EEPKT1_S8_PKS2_PKT3_PKT4_PT5_21rocsparse_index_base_b ; -- Begin function _ZN9rocsparseL21csrmvt_general_kernelILj256ELj4Ell18rocsparse_bfloat16S1_ffEEvbbT2_NS_24const_host_device_scalarIT6_EEPKT1_S8_PKS2_PKT3_PKT4_PT5_21rocsparse_index_base_b
	.p2align	8
	.type	_ZN9rocsparseL21csrmvt_general_kernelILj256ELj4Ell18rocsparse_bfloat16S1_ffEEvbbT2_NS_24const_host_device_scalarIT6_EEPKT1_S8_PKS2_PKT3_PKT4_PT5_21rocsparse_index_base_b,@function
_ZN9rocsparseL21csrmvt_general_kernelILj256ELj4Ell18rocsparse_bfloat16S1_ffEEvbbT2_NS_24const_host_device_scalarIT6_EEPKT1_S8_PKS2_PKT3_PKT4_PT5_21rocsparse_index_base_b: ; @_ZN9rocsparseL21csrmvt_general_kernelILj256ELj4Ell18rocsparse_bfloat16S1_ffEEvbbT2_NS_24const_host_device_scalarIT6_EEPKT1_S8_PKS2_PKT3_PKT4_PT5_21rocsparse_index_base_b
; %bb.0:
	s_clause 0x1
	s_load_b64 s[2:3], s[0:1], 0x48
	s_load_b256 s[4:11], s[0:1], 0x8
	s_wait_kmcnt 0x0
	s_bitcmp1_b32 s3, 0
	s_cselect_b32 s3, -1, 0
	s_delay_alu instid0(SALU_CYCLE_1)
	s_and_b32 vcc_lo, exec_lo, s3
	s_cbranch_vccnz .LBB259_2
; %bb.1:
	s_load_b32 s6, s[6:7], 0x0
.LBB259_2:
	s_wait_kmcnt 0x0
	s_cmp_eq_f32 s6, 0
	s_mov_b32 s21, 0
	s_cbranch_scc1 .LBB259_20
; %bb.3:
	s_clause 0x1
	s_load_b32 s3, s[0:1], 0x0
	s_load_b32 s7, s[0:1], 0x50
	s_bfe_u32 s12, ttmp6, 0x4000c
	s_and_b32 s13, ttmp6, 15
	s_add_co_i32 s12, s12, 1
	s_getreg_b32 s14, hwreg(HW_REG_IB_STS2, 6, 4)
	s_mul_i32 s12, ttmp9, s12
	v_mov_b32_e32 v3, 0
	s_add_co_i32 s22, s13, s12
	s_wait_kmcnt 0x0
	s_and_b32 s3, s3, 1
	s_lshl_b32 s20, s7, 6
	s_cmp_eq_u32 s14, 0
	s_load_b256 s[12:19], s[0:1], 0x28
	s_wait_xcnt 0x0
	s_cselect_b32 s0, ttmp9, s22
	s_cmp_eq_u32 s3, 0
	v_lshl_or_b32 v1, s0, 8, v0
	v_and_b32_e32 v0, 3, v0
	s_mov_b32 s1, -1
	s_delay_alu instid0(VALU_DEP_2) | instskip(NEXT) | instid1(VALU_DEP_1)
	v_lshrrev_b32_e32 v2, 2, v1
	v_cmp_gt_i64_e64 s0, s[4:5], v[2:3]
	s_cbranch_scc0 .LBB259_11
; %bb.4:
	s_and_saveexec_b32 s1, s0
	s_cbranch_execz .LBB259_10
; %bb.5:
	v_mov_b32_e32 v1, 0
	s_mov_b32 s3, 0
	v_mov_b64_e32 v[6:7], v[2:3]
	s_mov_b32 s7, s3
	s_delay_alu instid0(VALU_DEP_2)
	v_sub_nc_u64_e64 v[4:5], v[0:1], s[2:3]
	s_branch .LBB259_7
.LBB259_6:                              ;   in Loop: Header=BB259_7 Depth=1
	s_or_b32 exec_lo, exec_lo, s22
	v_add_nc_u64_e32 v[6:7], s[20:21], v[6:7]
	s_delay_alu instid0(VALU_DEP_1) | instskip(SKIP_1) | instid1(SALU_CYCLE_1)
	v_cmp_le_i64_e32 vcc_lo, s[4:5], v[6:7]
	s_or_b32 s7, vcc_lo, s7
	s_and_not1_b32 exec_lo, exec_lo, s7
	s_cbranch_execz .LBB259_10
.LBB259_7:                              ; =>This Loop Header: Depth=1
                                        ;     Child Loop BB259_9 Depth 2
	s_delay_alu instid0(VALU_DEP_2) | instskip(SKIP_1) | instid1(VALU_DEP_1)
	v_lshlrev_b64_e32 v[8:9], 3, v[6:7]
	s_mov_b32 s22, exec_lo
	v_add_nc_u64_e32 v[10:11], s[10:11], v[8:9]
	v_add_nc_u64_e32 v[8:9], s[8:9], v[8:9]
	global_load_b64 v[12:13], v[10:11], off
	global_load_b64 v[14:15], v[8:9], off
	s_wait_loadcnt 0x1
	s_wait_xcnt 0x0
	v_sub_nc_u64_e64 v[8:9], v[12:13], s[2:3]
	s_wait_loadcnt 0x0
	v_add_nc_u64_e32 v[10:11], v[14:15], v[4:5]
	s_delay_alu instid0(VALU_DEP_1)
	v_cmpx_lt_i64_e64 v[10:11], v[8:9]
	s_cbranch_execz .LBB259_6
; %bb.8:                                ;   in Loop: Header=BB259_7 Depth=1
	s_wait_kmcnt 0x0
	v_lshl_add_u64 v[12:13], v[6:7], 1, s[16:17]
	v_lshl_add_u64 v[14:15], v[10:11], 1, s[14:15]
	s_mov_b32 s23, 0
	global_load_u16 v1, v[12:13], off
	s_wait_xcnt 0x0
	v_lshl_add_u64 v[12:13], v[10:11], 3, s[12:13]
	s_wait_loadcnt 0x0
	v_lshlrev_b32_e32 v1, 16, v1
	s_delay_alu instid0(VALU_DEP_1)
	v_mul_f32_e32 v1, s6, v1
.LBB259_9:                              ;   Parent Loop BB259_7 Depth=1
                                        ; =>  This Inner Loop Header: Depth=2
	global_load_b64 v[16:17], v[12:13], off
	global_load_u16 v18, v[14:15], off
	v_add_nc_u64_e32 v[10:11], 4, v[10:11]
	s_wait_xcnt 0x1
	v_add_nc_u64_e32 v[12:13], 32, v[12:13]
	s_wait_xcnt 0x0
	v_add_nc_u64_e32 v[14:15], 8, v[14:15]
	s_delay_alu instid0(VALU_DEP_3)
	v_cmp_ge_i64_e32 vcc_lo, v[10:11], v[8:9]
	s_or_b32 s23, vcc_lo, s23
	s_wait_loadcnt 0x1
	v_sub_nc_u64_e64 v[16:17], v[16:17], s[2:3]
	s_wait_loadcnt 0x0
	v_lshlrev_b32_e32 v18, 16, v18
	s_delay_alu instid0(VALU_DEP_1) | instskip(NEXT) | instid1(VALU_DEP_3)
	v_mul_f32_e32 v18, v1, v18
	v_lshl_add_u64 v[16:17], v[16:17], 2, s[18:19]
	global_atomic_add_f32 v[16:17], v18, off scope:SCOPE_DEV
	s_wait_xcnt 0x0
	s_and_not1_b32 exec_lo, exec_lo, s23
	s_cbranch_execnz .LBB259_9
	s_branch .LBB259_6
.LBB259_10:
	s_or_b32 exec_lo, exec_lo, s1
	s_mov_b32 s1, 0
.LBB259_11:
	s_delay_alu instid0(SALU_CYCLE_1)
	s_and_not1_b32 vcc_lo, exec_lo, s1
	s_cbranch_vccnz .LBB259_20
; %bb.12:
	s_and_saveexec_b32 s1, s0
	s_cbranch_execz .LBB259_20
; %bb.13:
	v_mov_b32_e32 v1, 0
	s_mov_b32 s3, 0
	s_delay_alu instid0(SALU_CYCLE_1) | instskip(NEXT) | instid1(VALU_DEP_1)
	s_mov_b32 s0, s3
	v_sub_nc_u64_e64 v[0:1], v[0:1], s[2:3]
	s_branch .LBB259_15
.LBB259_14:                             ;   in Loop: Header=BB259_15 Depth=1
	s_or_b32 exec_lo, exec_lo, s1
	v_add_nc_u64_e32 v[2:3], s[20:21], v[2:3]
	s_delay_alu instid0(VALU_DEP_1) | instskip(SKIP_1) | instid1(SALU_CYCLE_1)
	v_cmp_le_i64_e32 vcc_lo, s[4:5], v[2:3]
	s_or_b32 s0, vcc_lo, s0
	s_and_not1_b32 exec_lo, exec_lo, s0
	s_cbranch_execz .LBB259_20
.LBB259_15:                             ; =>This Loop Header: Depth=1
                                        ;     Child Loop BB259_18 Depth 2
	v_lshlrev_b64_e32 v[4:5], 3, v[2:3]
	s_mov_b32 s1, exec_lo
	s_delay_alu instid0(VALU_DEP_1)
	v_add_nc_u64_e32 v[6:7], s[10:11], v[4:5]
	v_add_nc_u64_e32 v[4:5], s[8:9], v[4:5]
	global_load_b64 v[8:9], v[6:7], off
	global_load_b64 v[10:11], v[4:5], off
	s_wait_loadcnt 0x1
	s_wait_xcnt 0x0
	v_sub_nc_u64_e64 v[4:5], v[8:9], s[2:3]
	s_wait_loadcnt 0x0
	v_add_nc_u64_e32 v[6:7], v[10:11], v[0:1]
	s_delay_alu instid0(VALU_DEP_1)
	v_cmpx_lt_i64_e64 v[6:7], v[4:5]
	s_cbranch_execz .LBB259_14
; %bb.16:                               ;   in Loop: Header=BB259_15 Depth=1
	s_wait_kmcnt 0x0
	v_lshl_add_u64 v[8:9], v[2:3], 1, s[16:17]
	s_mov_b32 s7, 0
	global_load_u16 v8, v[8:9], off
	s_wait_loadcnt 0x0
	v_lshlrev_b32_e32 v10, 16, v8
	s_wait_xcnt 0x0
	v_lshl_add_u64 v[8:9], v[6:7], 3, s[12:13]
	s_delay_alu instid0(VALU_DEP_2)
	v_mul_f32_e32 v14, s6, v10
	v_lshl_add_u64 v[10:11], v[6:7], 1, s[14:15]
	s_branch .LBB259_18
.LBB259_17:                             ;   in Loop: Header=BB259_18 Depth=2
	s_wait_xcnt 0x0
	s_or_b32 exec_lo, exec_lo, s22
	v_add_nc_u64_e32 v[6:7], 4, v[6:7]
	v_add_nc_u64_e32 v[8:9], 32, v[8:9]
	v_add_nc_u64_e32 v[10:11], 8, v[10:11]
	s_delay_alu instid0(VALU_DEP_3) | instskip(SKIP_1) | instid1(SALU_CYCLE_1)
	v_cmp_ge_i64_e32 vcc_lo, v[6:7], v[4:5]
	s_or_b32 s7, vcc_lo, s7
	s_and_not1_b32 exec_lo, exec_lo, s7
	s_cbranch_execz .LBB259_14
.LBB259_18:                             ;   Parent Loop BB259_15 Depth=1
                                        ; =>  This Inner Loop Header: Depth=2
	global_load_b64 v[12:13], v[8:9], off
	s_mov_b32 s22, exec_lo
	s_wait_loadcnt 0x0
	v_sub_nc_u64_e64 v[12:13], v[12:13], s[2:3]
	s_wait_xcnt 0x0
	s_delay_alu instid0(VALU_DEP_1)
	v_cmpx_ne_u64_e64 v[12:13], v[2:3]
	s_cbranch_execz .LBB259_17
; %bb.19:                               ;   in Loop: Header=BB259_18 Depth=2
	global_load_u16 v15, v[10:11], off
	v_lshl_add_u64 v[12:13], v[12:13], 2, s[18:19]
	s_wait_loadcnt 0x0
	v_lshlrev_b32_e32 v15, 16, v15
	s_delay_alu instid0(VALU_DEP_1)
	v_mul_f32_e32 v15, v14, v15
	s_wait_xcnt 0x0
	global_atomic_add_f32 v[12:13], v15, off scope:SCOPE_DEV
	s_branch .LBB259_17
.LBB259_20:
	s_endpgm
	.section	.rodata,"a",@progbits
	.p2align	6, 0x0
	.amdhsa_kernel _ZN9rocsparseL21csrmvt_general_kernelILj256ELj4Ell18rocsparse_bfloat16S1_ffEEvbbT2_NS_24const_host_device_scalarIT6_EEPKT1_S8_PKS2_PKT3_PKT4_PT5_21rocsparse_index_base_b
		.amdhsa_group_segment_fixed_size 0
		.amdhsa_private_segment_fixed_size 0
		.amdhsa_kernarg_size 336
		.amdhsa_user_sgpr_count 2
		.amdhsa_user_sgpr_dispatch_ptr 0
		.amdhsa_user_sgpr_queue_ptr 0
		.amdhsa_user_sgpr_kernarg_segment_ptr 1
		.amdhsa_user_sgpr_dispatch_id 0
		.amdhsa_user_sgpr_kernarg_preload_length 0
		.amdhsa_user_sgpr_kernarg_preload_offset 0
		.amdhsa_user_sgpr_private_segment_size 0
		.amdhsa_wavefront_size32 1
		.amdhsa_uses_dynamic_stack 0
		.amdhsa_enable_private_segment 0
		.amdhsa_system_sgpr_workgroup_id_x 1
		.amdhsa_system_sgpr_workgroup_id_y 0
		.amdhsa_system_sgpr_workgroup_id_z 0
		.amdhsa_system_sgpr_workgroup_info 0
		.amdhsa_system_vgpr_workitem_id 0
		.amdhsa_next_free_vgpr 19
		.amdhsa_next_free_sgpr 24
		.amdhsa_named_barrier_count 0
		.amdhsa_reserve_vcc 1
		.amdhsa_float_round_mode_32 0
		.amdhsa_float_round_mode_16_64 0
		.amdhsa_float_denorm_mode_32 3
		.amdhsa_float_denorm_mode_16_64 3
		.amdhsa_fp16_overflow 0
		.amdhsa_memory_ordered 1
		.amdhsa_forward_progress 1
		.amdhsa_inst_pref_size 8
		.amdhsa_round_robin_scheduling 0
		.amdhsa_exception_fp_ieee_invalid_op 0
		.amdhsa_exception_fp_denorm_src 0
		.amdhsa_exception_fp_ieee_div_zero 0
		.amdhsa_exception_fp_ieee_overflow 0
		.amdhsa_exception_fp_ieee_underflow 0
		.amdhsa_exception_fp_ieee_inexact 0
		.amdhsa_exception_int_div_zero 0
	.end_amdhsa_kernel
	.section	.text._ZN9rocsparseL21csrmvt_general_kernelILj256ELj4Ell18rocsparse_bfloat16S1_ffEEvbbT2_NS_24const_host_device_scalarIT6_EEPKT1_S8_PKS2_PKT3_PKT4_PT5_21rocsparse_index_base_b,"axG",@progbits,_ZN9rocsparseL21csrmvt_general_kernelILj256ELj4Ell18rocsparse_bfloat16S1_ffEEvbbT2_NS_24const_host_device_scalarIT6_EEPKT1_S8_PKS2_PKT3_PKT4_PT5_21rocsparse_index_base_b,comdat
.Lfunc_end259:
	.size	_ZN9rocsparseL21csrmvt_general_kernelILj256ELj4Ell18rocsparse_bfloat16S1_ffEEvbbT2_NS_24const_host_device_scalarIT6_EEPKT1_S8_PKS2_PKT3_PKT4_PT5_21rocsparse_index_base_b, .Lfunc_end259-_ZN9rocsparseL21csrmvt_general_kernelILj256ELj4Ell18rocsparse_bfloat16S1_ffEEvbbT2_NS_24const_host_device_scalarIT6_EEPKT1_S8_PKS2_PKT3_PKT4_PT5_21rocsparse_index_base_b
                                        ; -- End function
	.set _ZN9rocsparseL21csrmvt_general_kernelILj256ELj4Ell18rocsparse_bfloat16S1_ffEEvbbT2_NS_24const_host_device_scalarIT6_EEPKT1_S8_PKS2_PKT3_PKT4_PT5_21rocsparse_index_base_b.num_vgpr, 19
	.set _ZN9rocsparseL21csrmvt_general_kernelILj256ELj4Ell18rocsparse_bfloat16S1_ffEEvbbT2_NS_24const_host_device_scalarIT6_EEPKT1_S8_PKS2_PKT3_PKT4_PT5_21rocsparse_index_base_b.num_agpr, 0
	.set _ZN9rocsparseL21csrmvt_general_kernelILj256ELj4Ell18rocsparse_bfloat16S1_ffEEvbbT2_NS_24const_host_device_scalarIT6_EEPKT1_S8_PKS2_PKT3_PKT4_PT5_21rocsparse_index_base_b.numbered_sgpr, 24
	.set _ZN9rocsparseL21csrmvt_general_kernelILj256ELj4Ell18rocsparse_bfloat16S1_ffEEvbbT2_NS_24const_host_device_scalarIT6_EEPKT1_S8_PKS2_PKT3_PKT4_PT5_21rocsparse_index_base_b.num_named_barrier, 0
	.set _ZN9rocsparseL21csrmvt_general_kernelILj256ELj4Ell18rocsparse_bfloat16S1_ffEEvbbT2_NS_24const_host_device_scalarIT6_EEPKT1_S8_PKS2_PKT3_PKT4_PT5_21rocsparse_index_base_b.private_seg_size, 0
	.set _ZN9rocsparseL21csrmvt_general_kernelILj256ELj4Ell18rocsparse_bfloat16S1_ffEEvbbT2_NS_24const_host_device_scalarIT6_EEPKT1_S8_PKS2_PKT3_PKT4_PT5_21rocsparse_index_base_b.uses_vcc, 1
	.set _ZN9rocsparseL21csrmvt_general_kernelILj256ELj4Ell18rocsparse_bfloat16S1_ffEEvbbT2_NS_24const_host_device_scalarIT6_EEPKT1_S8_PKS2_PKT3_PKT4_PT5_21rocsparse_index_base_b.uses_flat_scratch, 0
	.set _ZN9rocsparseL21csrmvt_general_kernelILj256ELj4Ell18rocsparse_bfloat16S1_ffEEvbbT2_NS_24const_host_device_scalarIT6_EEPKT1_S8_PKS2_PKT3_PKT4_PT5_21rocsparse_index_base_b.has_dyn_sized_stack, 0
	.set _ZN9rocsparseL21csrmvt_general_kernelILj256ELj4Ell18rocsparse_bfloat16S1_ffEEvbbT2_NS_24const_host_device_scalarIT6_EEPKT1_S8_PKS2_PKT3_PKT4_PT5_21rocsparse_index_base_b.has_recursion, 0
	.set _ZN9rocsparseL21csrmvt_general_kernelILj256ELj4Ell18rocsparse_bfloat16S1_ffEEvbbT2_NS_24const_host_device_scalarIT6_EEPKT1_S8_PKS2_PKT3_PKT4_PT5_21rocsparse_index_base_b.has_indirect_call, 0
	.section	.AMDGPU.csdata,"",@progbits
; Kernel info:
; codeLenInByte = 912
; TotalNumSgprs: 26
; NumVgprs: 19
; ScratchSize: 0
; MemoryBound: 0
; FloatMode: 240
; IeeeMode: 1
; LDSByteSize: 0 bytes/workgroup (compile time only)
; SGPRBlocks: 0
; VGPRBlocks: 1
; NumSGPRsForWavesPerEU: 26
; NumVGPRsForWavesPerEU: 19
; NamedBarCnt: 0
; Occupancy: 16
; WaveLimiterHint : 1
; COMPUTE_PGM_RSRC2:SCRATCH_EN: 0
; COMPUTE_PGM_RSRC2:USER_SGPR: 2
; COMPUTE_PGM_RSRC2:TRAP_HANDLER: 0
; COMPUTE_PGM_RSRC2:TGID_X_EN: 1
; COMPUTE_PGM_RSRC2:TGID_Y_EN: 0
; COMPUTE_PGM_RSRC2:TGID_Z_EN: 0
; COMPUTE_PGM_RSRC2:TIDIG_COMP_CNT: 0
	.section	.text._ZN9rocsparseL21csrmvt_general_kernelILj256ELj8Ell18rocsparse_bfloat16S1_ffEEvbbT2_NS_24const_host_device_scalarIT6_EEPKT1_S8_PKS2_PKT3_PKT4_PT5_21rocsparse_index_base_b,"axG",@progbits,_ZN9rocsparseL21csrmvt_general_kernelILj256ELj8Ell18rocsparse_bfloat16S1_ffEEvbbT2_NS_24const_host_device_scalarIT6_EEPKT1_S8_PKS2_PKT3_PKT4_PT5_21rocsparse_index_base_b,comdat
	.globl	_ZN9rocsparseL21csrmvt_general_kernelILj256ELj8Ell18rocsparse_bfloat16S1_ffEEvbbT2_NS_24const_host_device_scalarIT6_EEPKT1_S8_PKS2_PKT3_PKT4_PT5_21rocsparse_index_base_b ; -- Begin function _ZN9rocsparseL21csrmvt_general_kernelILj256ELj8Ell18rocsparse_bfloat16S1_ffEEvbbT2_NS_24const_host_device_scalarIT6_EEPKT1_S8_PKS2_PKT3_PKT4_PT5_21rocsparse_index_base_b
	.p2align	8
	.type	_ZN9rocsparseL21csrmvt_general_kernelILj256ELj8Ell18rocsparse_bfloat16S1_ffEEvbbT2_NS_24const_host_device_scalarIT6_EEPKT1_S8_PKS2_PKT3_PKT4_PT5_21rocsparse_index_base_b,@function
_ZN9rocsparseL21csrmvt_general_kernelILj256ELj8Ell18rocsparse_bfloat16S1_ffEEvbbT2_NS_24const_host_device_scalarIT6_EEPKT1_S8_PKS2_PKT3_PKT4_PT5_21rocsparse_index_base_b: ; @_ZN9rocsparseL21csrmvt_general_kernelILj256ELj8Ell18rocsparse_bfloat16S1_ffEEvbbT2_NS_24const_host_device_scalarIT6_EEPKT1_S8_PKS2_PKT3_PKT4_PT5_21rocsparse_index_base_b
; %bb.0:
	s_clause 0x1
	s_load_b64 s[2:3], s[0:1], 0x48
	s_load_b256 s[4:11], s[0:1], 0x8
	s_wait_kmcnt 0x0
	s_bitcmp1_b32 s3, 0
	s_cselect_b32 s3, -1, 0
	s_delay_alu instid0(SALU_CYCLE_1)
	s_and_b32 vcc_lo, exec_lo, s3
	s_cbranch_vccnz .LBB260_2
; %bb.1:
	s_load_b32 s6, s[6:7], 0x0
.LBB260_2:
	s_wait_kmcnt 0x0
	s_cmp_eq_f32 s6, 0
	s_mov_b32 s21, 0
	s_cbranch_scc1 .LBB260_20
; %bb.3:
	s_clause 0x1
	s_load_b32 s3, s[0:1], 0x0
	s_load_b32 s7, s[0:1], 0x50
	s_bfe_u32 s12, ttmp6, 0x4000c
	s_and_b32 s13, ttmp6, 15
	s_add_co_i32 s12, s12, 1
	s_getreg_b32 s14, hwreg(HW_REG_IB_STS2, 6, 4)
	s_mul_i32 s12, ttmp9, s12
	v_mov_b32_e32 v3, 0
	s_add_co_i32 s22, s13, s12
	s_wait_kmcnt 0x0
	s_and_b32 s3, s3, 1
	s_lshl_b32 s20, s7, 5
	s_cmp_eq_u32 s14, 0
	s_load_b256 s[12:19], s[0:1], 0x28
	s_wait_xcnt 0x0
	s_cselect_b32 s0, ttmp9, s22
	s_cmp_eq_u32 s3, 0
	v_lshl_or_b32 v1, s0, 8, v0
	v_and_b32_e32 v0, 7, v0
	s_mov_b32 s1, -1
	s_delay_alu instid0(VALU_DEP_2) | instskip(NEXT) | instid1(VALU_DEP_1)
	v_lshrrev_b32_e32 v2, 3, v1
	v_cmp_gt_i64_e64 s0, s[4:5], v[2:3]
	s_cbranch_scc0 .LBB260_11
; %bb.4:
	s_and_saveexec_b32 s1, s0
	s_cbranch_execz .LBB260_10
; %bb.5:
	v_mov_b32_e32 v1, 0
	s_mov_b32 s3, 0
	v_mov_b64_e32 v[6:7], v[2:3]
	s_mov_b32 s7, s3
	s_delay_alu instid0(VALU_DEP_2)
	v_sub_nc_u64_e64 v[4:5], v[0:1], s[2:3]
	s_branch .LBB260_7
.LBB260_6:                              ;   in Loop: Header=BB260_7 Depth=1
	s_or_b32 exec_lo, exec_lo, s22
	v_add_nc_u64_e32 v[6:7], s[20:21], v[6:7]
	s_delay_alu instid0(VALU_DEP_1) | instskip(SKIP_1) | instid1(SALU_CYCLE_1)
	v_cmp_le_i64_e32 vcc_lo, s[4:5], v[6:7]
	s_or_b32 s7, vcc_lo, s7
	s_and_not1_b32 exec_lo, exec_lo, s7
	s_cbranch_execz .LBB260_10
.LBB260_7:                              ; =>This Loop Header: Depth=1
                                        ;     Child Loop BB260_9 Depth 2
	s_delay_alu instid0(VALU_DEP_2) | instskip(SKIP_1) | instid1(VALU_DEP_1)
	v_lshlrev_b64_e32 v[8:9], 3, v[6:7]
	s_mov_b32 s22, exec_lo
	v_add_nc_u64_e32 v[10:11], s[10:11], v[8:9]
	v_add_nc_u64_e32 v[8:9], s[8:9], v[8:9]
	global_load_b64 v[12:13], v[10:11], off
	global_load_b64 v[14:15], v[8:9], off
	s_wait_loadcnt 0x1
	s_wait_xcnt 0x0
	v_sub_nc_u64_e64 v[8:9], v[12:13], s[2:3]
	s_wait_loadcnt 0x0
	v_add_nc_u64_e32 v[10:11], v[14:15], v[4:5]
	s_delay_alu instid0(VALU_DEP_1)
	v_cmpx_lt_i64_e64 v[10:11], v[8:9]
	s_cbranch_execz .LBB260_6
; %bb.8:                                ;   in Loop: Header=BB260_7 Depth=1
	s_wait_kmcnt 0x0
	v_lshl_add_u64 v[12:13], v[6:7], 1, s[16:17]
	v_lshl_add_u64 v[14:15], v[10:11], 1, s[14:15]
	s_mov_b32 s23, 0
	global_load_u16 v1, v[12:13], off
	s_wait_xcnt 0x0
	v_lshl_add_u64 v[12:13], v[10:11], 3, s[12:13]
	s_wait_loadcnt 0x0
	v_lshlrev_b32_e32 v1, 16, v1
	s_delay_alu instid0(VALU_DEP_1)
	v_mul_f32_e32 v1, s6, v1
.LBB260_9:                              ;   Parent Loop BB260_7 Depth=1
                                        ; =>  This Inner Loop Header: Depth=2
	global_load_b64 v[16:17], v[12:13], off
	global_load_u16 v18, v[14:15], off
	v_add_nc_u64_e32 v[10:11], 8, v[10:11]
	s_wait_xcnt 0x1
	v_add_nc_u64_e32 v[12:13], 64, v[12:13]
	s_wait_xcnt 0x0
	v_add_nc_u64_e32 v[14:15], 16, v[14:15]
	s_delay_alu instid0(VALU_DEP_3)
	v_cmp_ge_i64_e32 vcc_lo, v[10:11], v[8:9]
	s_or_b32 s23, vcc_lo, s23
	s_wait_loadcnt 0x1
	v_sub_nc_u64_e64 v[16:17], v[16:17], s[2:3]
	s_wait_loadcnt 0x0
	v_lshlrev_b32_e32 v18, 16, v18
	s_delay_alu instid0(VALU_DEP_1) | instskip(NEXT) | instid1(VALU_DEP_3)
	v_mul_f32_e32 v18, v1, v18
	v_lshl_add_u64 v[16:17], v[16:17], 2, s[18:19]
	global_atomic_add_f32 v[16:17], v18, off scope:SCOPE_DEV
	s_wait_xcnt 0x0
	s_and_not1_b32 exec_lo, exec_lo, s23
	s_cbranch_execnz .LBB260_9
	s_branch .LBB260_6
.LBB260_10:
	s_or_b32 exec_lo, exec_lo, s1
	s_mov_b32 s1, 0
.LBB260_11:
	s_delay_alu instid0(SALU_CYCLE_1)
	s_and_not1_b32 vcc_lo, exec_lo, s1
	s_cbranch_vccnz .LBB260_20
; %bb.12:
	s_and_saveexec_b32 s1, s0
	s_cbranch_execz .LBB260_20
; %bb.13:
	v_mov_b32_e32 v1, 0
	s_mov_b32 s3, 0
	s_delay_alu instid0(SALU_CYCLE_1) | instskip(NEXT) | instid1(VALU_DEP_1)
	s_mov_b32 s0, s3
	v_sub_nc_u64_e64 v[0:1], v[0:1], s[2:3]
	s_branch .LBB260_15
.LBB260_14:                             ;   in Loop: Header=BB260_15 Depth=1
	s_or_b32 exec_lo, exec_lo, s1
	v_add_nc_u64_e32 v[2:3], s[20:21], v[2:3]
	s_delay_alu instid0(VALU_DEP_1) | instskip(SKIP_1) | instid1(SALU_CYCLE_1)
	v_cmp_le_i64_e32 vcc_lo, s[4:5], v[2:3]
	s_or_b32 s0, vcc_lo, s0
	s_and_not1_b32 exec_lo, exec_lo, s0
	s_cbranch_execz .LBB260_20
.LBB260_15:                             ; =>This Loop Header: Depth=1
                                        ;     Child Loop BB260_18 Depth 2
	v_lshlrev_b64_e32 v[4:5], 3, v[2:3]
	s_mov_b32 s1, exec_lo
	s_delay_alu instid0(VALU_DEP_1)
	v_add_nc_u64_e32 v[6:7], s[10:11], v[4:5]
	v_add_nc_u64_e32 v[4:5], s[8:9], v[4:5]
	global_load_b64 v[8:9], v[6:7], off
	global_load_b64 v[10:11], v[4:5], off
	s_wait_loadcnt 0x1
	s_wait_xcnt 0x0
	v_sub_nc_u64_e64 v[4:5], v[8:9], s[2:3]
	s_wait_loadcnt 0x0
	v_add_nc_u64_e32 v[6:7], v[10:11], v[0:1]
	s_delay_alu instid0(VALU_DEP_1)
	v_cmpx_lt_i64_e64 v[6:7], v[4:5]
	s_cbranch_execz .LBB260_14
; %bb.16:                               ;   in Loop: Header=BB260_15 Depth=1
	s_wait_kmcnt 0x0
	v_lshl_add_u64 v[8:9], v[2:3], 1, s[16:17]
	s_mov_b32 s7, 0
	global_load_u16 v8, v[8:9], off
	s_wait_loadcnt 0x0
	v_lshlrev_b32_e32 v10, 16, v8
	s_wait_xcnt 0x0
	v_lshl_add_u64 v[8:9], v[6:7], 3, s[12:13]
	s_delay_alu instid0(VALU_DEP_2)
	v_mul_f32_e32 v14, s6, v10
	v_lshl_add_u64 v[10:11], v[6:7], 1, s[14:15]
	s_branch .LBB260_18
.LBB260_17:                             ;   in Loop: Header=BB260_18 Depth=2
	s_wait_xcnt 0x0
	s_or_b32 exec_lo, exec_lo, s22
	v_add_nc_u64_e32 v[6:7], 8, v[6:7]
	v_add_nc_u64_e32 v[8:9], 64, v[8:9]
	;; [unrolled: 1-line block ×3, first 2 shown]
	s_delay_alu instid0(VALU_DEP_3) | instskip(SKIP_1) | instid1(SALU_CYCLE_1)
	v_cmp_ge_i64_e32 vcc_lo, v[6:7], v[4:5]
	s_or_b32 s7, vcc_lo, s7
	s_and_not1_b32 exec_lo, exec_lo, s7
	s_cbranch_execz .LBB260_14
.LBB260_18:                             ;   Parent Loop BB260_15 Depth=1
                                        ; =>  This Inner Loop Header: Depth=2
	global_load_b64 v[12:13], v[8:9], off
	s_mov_b32 s22, exec_lo
	s_wait_loadcnt 0x0
	v_sub_nc_u64_e64 v[12:13], v[12:13], s[2:3]
	s_wait_xcnt 0x0
	s_delay_alu instid0(VALU_DEP_1)
	v_cmpx_ne_u64_e64 v[12:13], v[2:3]
	s_cbranch_execz .LBB260_17
; %bb.19:                               ;   in Loop: Header=BB260_18 Depth=2
	global_load_u16 v15, v[10:11], off
	v_lshl_add_u64 v[12:13], v[12:13], 2, s[18:19]
	s_wait_loadcnt 0x0
	v_lshlrev_b32_e32 v15, 16, v15
	s_delay_alu instid0(VALU_DEP_1)
	v_mul_f32_e32 v15, v14, v15
	s_wait_xcnt 0x0
	global_atomic_add_f32 v[12:13], v15, off scope:SCOPE_DEV
	s_branch .LBB260_17
.LBB260_20:
	s_endpgm
	.section	.rodata,"a",@progbits
	.p2align	6, 0x0
	.amdhsa_kernel _ZN9rocsparseL21csrmvt_general_kernelILj256ELj8Ell18rocsparse_bfloat16S1_ffEEvbbT2_NS_24const_host_device_scalarIT6_EEPKT1_S8_PKS2_PKT3_PKT4_PT5_21rocsparse_index_base_b
		.amdhsa_group_segment_fixed_size 0
		.amdhsa_private_segment_fixed_size 0
		.amdhsa_kernarg_size 336
		.amdhsa_user_sgpr_count 2
		.amdhsa_user_sgpr_dispatch_ptr 0
		.amdhsa_user_sgpr_queue_ptr 0
		.amdhsa_user_sgpr_kernarg_segment_ptr 1
		.amdhsa_user_sgpr_dispatch_id 0
		.amdhsa_user_sgpr_kernarg_preload_length 0
		.amdhsa_user_sgpr_kernarg_preload_offset 0
		.amdhsa_user_sgpr_private_segment_size 0
		.amdhsa_wavefront_size32 1
		.amdhsa_uses_dynamic_stack 0
		.amdhsa_enable_private_segment 0
		.amdhsa_system_sgpr_workgroup_id_x 1
		.amdhsa_system_sgpr_workgroup_id_y 0
		.amdhsa_system_sgpr_workgroup_id_z 0
		.amdhsa_system_sgpr_workgroup_info 0
		.amdhsa_system_vgpr_workitem_id 0
		.amdhsa_next_free_vgpr 19
		.amdhsa_next_free_sgpr 24
		.amdhsa_named_barrier_count 0
		.amdhsa_reserve_vcc 1
		.amdhsa_float_round_mode_32 0
		.amdhsa_float_round_mode_16_64 0
		.amdhsa_float_denorm_mode_32 3
		.amdhsa_float_denorm_mode_16_64 3
		.amdhsa_fp16_overflow 0
		.amdhsa_memory_ordered 1
		.amdhsa_forward_progress 1
		.amdhsa_inst_pref_size 8
		.amdhsa_round_robin_scheduling 0
		.amdhsa_exception_fp_ieee_invalid_op 0
		.amdhsa_exception_fp_denorm_src 0
		.amdhsa_exception_fp_ieee_div_zero 0
		.amdhsa_exception_fp_ieee_overflow 0
		.amdhsa_exception_fp_ieee_underflow 0
		.amdhsa_exception_fp_ieee_inexact 0
		.amdhsa_exception_int_div_zero 0
	.end_amdhsa_kernel
	.section	.text._ZN9rocsparseL21csrmvt_general_kernelILj256ELj8Ell18rocsparse_bfloat16S1_ffEEvbbT2_NS_24const_host_device_scalarIT6_EEPKT1_S8_PKS2_PKT3_PKT4_PT5_21rocsparse_index_base_b,"axG",@progbits,_ZN9rocsparseL21csrmvt_general_kernelILj256ELj8Ell18rocsparse_bfloat16S1_ffEEvbbT2_NS_24const_host_device_scalarIT6_EEPKT1_S8_PKS2_PKT3_PKT4_PT5_21rocsparse_index_base_b,comdat
.Lfunc_end260:
	.size	_ZN9rocsparseL21csrmvt_general_kernelILj256ELj8Ell18rocsparse_bfloat16S1_ffEEvbbT2_NS_24const_host_device_scalarIT6_EEPKT1_S8_PKS2_PKT3_PKT4_PT5_21rocsparse_index_base_b, .Lfunc_end260-_ZN9rocsparseL21csrmvt_general_kernelILj256ELj8Ell18rocsparse_bfloat16S1_ffEEvbbT2_NS_24const_host_device_scalarIT6_EEPKT1_S8_PKS2_PKT3_PKT4_PT5_21rocsparse_index_base_b
                                        ; -- End function
	.set _ZN9rocsparseL21csrmvt_general_kernelILj256ELj8Ell18rocsparse_bfloat16S1_ffEEvbbT2_NS_24const_host_device_scalarIT6_EEPKT1_S8_PKS2_PKT3_PKT4_PT5_21rocsparse_index_base_b.num_vgpr, 19
	.set _ZN9rocsparseL21csrmvt_general_kernelILj256ELj8Ell18rocsparse_bfloat16S1_ffEEvbbT2_NS_24const_host_device_scalarIT6_EEPKT1_S8_PKS2_PKT3_PKT4_PT5_21rocsparse_index_base_b.num_agpr, 0
	.set _ZN9rocsparseL21csrmvt_general_kernelILj256ELj8Ell18rocsparse_bfloat16S1_ffEEvbbT2_NS_24const_host_device_scalarIT6_EEPKT1_S8_PKS2_PKT3_PKT4_PT5_21rocsparse_index_base_b.numbered_sgpr, 24
	.set _ZN9rocsparseL21csrmvt_general_kernelILj256ELj8Ell18rocsparse_bfloat16S1_ffEEvbbT2_NS_24const_host_device_scalarIT6_EEPKT1_S8_PKS2_PKT3_PKT4_PT5_21rocsparse_index_base_b.num_named_barrier, 0
	.set _ZN9rocsparseL21csrmvt_general_kernelILj256ELj8Ell18rocsparse_bfloat16S1_ffEEvbbT2_NS_24const_host_device_scalarIT6_EEPKT1_S8_PKS2_PKT3_PKT4_PT5_21rocsparse_index_base_b.private_seg_size, 0
	.set _ZN9rocsparseL21csrmvt_general_kernelILj256ELj8Ell18rocsparse_bfloat16S1_ffEEvbbT2_NS_24const_host_device_scalarIT6_EEPKT1_S8_PKS2_PKT3_PKT4_PT5_21rocsparse_index_base_b.uses_vcc, 1
	.set _ZN9rocsparseL21csrmvt_general_kernelILj256ELj8Ell18rocsparse_bfloat16S1_ffEEvbbT2_NS_24const_host_device_scalarIT6_EEPKT1_S8_PKS2_PKT3_PKT4_PT5_21rocsparse_index_base_b.uses_flat_scratch, 0
	.set _ZN9rocsparseL21csrmvt_general_kernelILj256ELj8Ell18rocsparse_bfloat16S1_ffEEvbbT2_NS_24const_host_device_scalarIT6_EEPKT1_S8_PKS2_PKT3_PKT4_PT5_21rocsparse_index_base_b.has_dyn_sized_stack, 0
	.set _ZN9rocsparseL21csrmvt_general_kernelILj256ELj8Ell18rocsparse_bfloat16S1_ffEEvbbT2_NS_24const_host_device_scalarIT6_EEPKT1_S8_PKS2_PKT3_PKT4_PT5_21rocsparse_index_base_b.has_recursion, 0
	.set _ZN9rocsparseL21csrmvt_general_kernelILj256ELj8Ell18rocsparse_bfloat16S1_ffEEvbbT2_NS_24const_host_device_scalarIT6_EEPKT1_S8_PKS2_PKT3_PKT4_PT5_21rocsparse_index_base_b.has_indirect_call, 0
	.section	.AMDGPU.csdata,"",@progbits
; Kernel info:
; codeLenInByte = 912
; TotalNumSgprs: 26
; NumVgprs: 19
; ScratchSize: 0
; MemoryBound: 0
; FloatMode: 240
; IeeeMode: 1
; LDSByteSize: 0 bytes/workgroup (compile time only)
; SGPRBlocks: 0
; VGPRBlocks: 1
; NumSGPRsForWavesPerEU: 26
; NumVGPRsForWavesPerEU: 19
; NamedBarCnt: 0
; Occupancy: 16
; WaveLimiterHint : 1
; COMPUTE_PGM_RSRC2:SCRATCH_EN: 0
; COMPUTE_PGM_RSRC2:USER_SGPR: 2
; COMPUTE_PGM_RSRC2:TRAP_HANDLER: 0
; COMPUTE_PGM_RSRC2:TGID_X_EN: 1
; COMPUTE_PGM_RSRC2:TGID_Y_EN: 0
; COMPUTE_PGM_RSRC2:TGID_Z_EN: 0
; COMPUTE_PGM_RSRC2:TIDIG_COMP_CNT: 0
	.section	.text._ZN9rocsparseL21csrmvt_general_kernelILj256ELj16Ell18rocsparse_bfloat16S1_ffEEvbbT2_NS_24const_host_device_scalarIT6_EEPKT1_S8_PKS2_PKT3_PKT4_PT5_21rocsparse_index_base_b,"axG",@progbits,_ZN9rocsparseL21csrmvt_general_kernelILj256ELj16Ell18rocsparse_bfloat16S1_ffEEvbbT2_NS_24const_host_device_scalarIT6_EEPKT1_S8_PKS2_PKT3_PKT4_PT5_21rocsparse_index_base_b,comdat
	.globl	_ZN9rocsparseL21csrmvt_general_kernelILj256ELj16Ell18rocsparse_bfloat16S1_ffEEvbbT2_NS_24const_host_device_scalarIT6_EEPKT1_S8_PKS2_PKT3_PKT4_PT5_21rocsparse_index_base_b ; -- Begin function _ZN9rocsparseL21csrmvt_general_kernelILj256ELj16Ell18rocsparse_bfloat16S1_ffEEvbbT2_NS_24const_host_device_scalarIT6_EEPKT1_S8_PKS2_PKT3_PKT4_PT5_21rocsparse_index_base_b
	.p2align	8
	.type	_ZN9rocsparseL21csrmvt_general_kernelILj256ELj16Ell18rocsparse_bfloat16S1_ffEEvbbT2_NS_24const_host_device_scalarIT6_EEPKT1_S8_PKS2_PKT3_PKT4_PT5_21rocsparse_index_base_b,@function
_ZN9rocsparseL21csrmvt_general_kernelILj256ELj16Ell18rocsparse_bfloat16S1_ffEEvbbT2_NS_24const_host_device_scalarIT6_EEPKT1_S8_PKS2_PKT3_PKT4_PT5_21rocsparse_index_base_b: ; @_ZN9rocsparseL21csrmvt_general_kernelILj256ELj16Ell18rocsparse_bfloat16S1_ffEEvbbT2_NS_24const_host_device_scalarIT6_EEPKT1_S8_PKS2_PKT3_PKT4_PT5_21rocsparse_index_base_b
; %bb.0:
	s_clause 0x1
	s_load_b64 s[2:3], s[0:1], 0x48
	s_load_b256 s[4:11], s[0:1], 0x8
	s_wait_kmcnt 0x0
	s_bitcmp1_b32 s3, 0
	s_cselect_b32 s3, -1, 0
	s_delay_alu instid0(SALU_CYCLE_1)
	s_and_b32 vcc_lo, exec_lo, s3
	s_cbranch_vccnz .LBB261_2
; %bb.1:
	s_load_b32 s6, s[6:7], 0x0
.LBB261_2:
	s_wait_kmcnt 0x0
	s_cmp_eq_f32 s6, 0
	s_mov_b32 s21, 0
	s_cbranch_scc1 .LBB261_20
; %bb.3:
	s_clause 0x1
	s_load_b32 s3, s[0:1], 0x0
	s_load_b32 s7, s[0:1], 0x50
	s_bfe_u32 s12, ttmp6, 0x4000c
	s_and_b32 s13, ttmp6, 15
	s_add_co_i32 s12, s12, 1
	s_getreg_b32 s14, hwreg(HW_REG_IB_STS2, 6, 4)
	s_mul_i32 s12, ttmp9, s12
	v_mov_b32_e32 v3, 0
	s_add_co_i32 s22, s13, s12
	s_wait_kmcnt 0x0
	s_and_b32 s3, s3, 1
	s_lshl_b32 s20, s7, 4
	s_cmp_eq_u32 s14, 0
	s_load_b256 s[12:19], s[0:1], 0x28
	s_wait_xcnt 0x0
	s_cselect_b32 s0, ttmp9, s22
	s_cmp_eq_u32 s3, 0
	v_lshl_or_b32 v1, s0, 8, v0
	v_and_b32_e32 v0, 15, v0
	s_mov_b32 s1, -1
	s_delay_alu instid0(VALU_DEP_2) | instskip(NEXT) | instid1(VALU_DEP_1)
	v_lshrrev_b32_e32 v2, 4, v1
	v_cmp_gt_i64_e64 s0, s[4:5], v[2:3]
	s_cbranch_scc0 .LBB261_11
; %bb.4:
	s_and_saveexec_b32 s1, s0
	s_cbranch_execz .LBB261_10
; %bb.5:
	v_mov_b32_e32 v1, 0
	s_mov_b32 s3, 0
	v_mov_b64_e32 v[6:7], v[2:3]
	s_mov_b32 s7, s3
	s_delay_alu instid0(VALU_DEP_2)
	v_sub_nc_u64_e64 v[4:5], v[0:1], s[2:3]
	s_branch .LBB261_7
.LBB261_6:                              ;   in Loop: Header=BB261_7 Depth=1
	s_or_b32 exec_lo, exec_lo, s22
	v_add_nc_u64_e32 v[6:7], s[20:21], v[6:7]
	s_delay_alu instid0(VALU_DEP_1) | instskip(SKIP_1) | instid1(SALU_CYCLE_1)
	v_cmp_le_i64_e32 vcc_lo, s[4:5], v[6:7]
	s_or_b32 s7, vcc_lo, s7
	s_and_not1_b32 exec_lo, exec_lo, s7
	s_cbranch_execz .LBB261_10
.LBB261_7:                              ; =>This Loop Header: Depth=1
                                        ;     Child Loop BB261_9 Depth 2
	s_delay_alu instid0(VALU_DEP_2) | instskip(SKIP_1) | instid1(VALU_DEP_1)
	v_lshlrev_b64_e32 v[8:9], 3, v[6:7]
	s_mov_b32 s22, exec_lo
	v_add_nc_u64_e32 v[10:11], s[10:11], v[8:9]
	v_add_nc_u64_e32 v[8:9], s[8:9], v[8:9]
	global_load_b64 v[12:13], v[10:11], off
	global_load_b64 v[14:15], v[8:9], off
	s_wait_loadcnt 0x1
	s_wait_xcnt 0x0
	v_sub_nc_u64_e64 v[8:9], v[12:13], s[2:3]
	s_wait_loadcnt 0x0
	v_add_nc_u64_e32 v[10:11], v[14:15], v[4:5]
	s_delay_alu instid0(VALU_DEP_1)
	v_cmpx_lt_i64_e64 v[10:11], v[8:9]
	s_cbranch_execz .LBB261_6
; %bb.8:                                ;   in Loop: Header=BB261_7 Depth=1
	s_wait_kmcnt 0x0
	v_lshl_add_u64 v[12:13], v[6:7], 1, s[16:17]
	v_lshl_add_u64 v[14:15], v[10:11], 1, s[14:15]
	s_mov_b32 s23, 0
	global_load_u16 v1, v[12:13], off
	s_wait_xcnt 0x0
	v_lshl_add_u64 v[12:13], v[10:11], 3, s[12:13]
	s_wait_loadcnt 0x0
	v_lshlrev_b32_e32 v1, 16, v1
	s_delay_alu instid0(VALU_DEP_1)
	v_mul_f32_e32 v1, s6, v1
.LBB261_9:                              ;   Parent Loop BB261_7 Depth=1
                                        ; =>  This Inner Loop Header: Depth=2
	global_load_b64 v[16:17], v[12:13], off
	global_load_u16 v18, v[14:15], off
	v_add_nc_u64_e32 v[10:11], 16, v[10:11]
	s_wait_xcnt 0x1
	v_add_nc_u64_e32 v[12:13], 0x80, v[12:13]
	s_wait_xcnt 0x0
	v_add_nc_u64_e32 v[14:15], 32, v[14:15]
	s_delay_alu instid0(VALU_DEP_3)
	v_cmp_ge_i64_e32 vcc_lo, v[10:11], v[8:9]
	s_or_b32 s23, vcc_lo, s23
	s_wait_loadcnt 0x1
	v_sub_nc_u64_e64 v[16:17], v[16:17], s[2:3]
	s_wait_loadcnt 0x0
	v_lshlrev_b32_e32 v18, 16, v18
	s_delay_alu instid0(VALU_DEP_1) | instskip(NEXT) | instid1(VALU_DEP_3)
	v_mul_f32_e32 v18, v1, v18
	v_lshl_add_u64 v[16:17], v[16:17], 2, s[18:19]
	global_atomic_add_f32 v[16:17], v18, off scope:SCOPE_DEV
	s_wait_xcnt 0x0
	s_and_not1_b32 exec_lo, exec_lo, s23
	s_cbranch_execnz .LBB261_9
	s_branch .LBB261_6
.LBB261_10:
	s_or_b32 exec_lo, exec_lo, s1
	s_mov_b32 s1, 0
.LBB261_11:
	s_delay_alu instid0(SALU_CYCLE_1)
	s_and_not1_b32 vcc_lo, exec_lo, s1
	s_cbranch_vccnz .LBB261_20
; %bb.12:
	s_and_saveexec_b32 s1, s0
	s_cbranch_execz .LBB261_20
; %bb.13:
	v_mov_b32_e32 v1, 0
	s_mov_b32 s3, 0
	s_delay_alu instid0(SALU_CYCLE_1) | instskip(NEXT) | instid1(VALU_DEP_1)
	s_mov_b32 s0, s3
	v_sub_nc_u64_e64 v[0:1], v[0:1], s[2:3]
	s_branch .LBB261_15
.LBB261_14:                             ;   in Loop: Header=BB261_15 Depth=1
	s_or_b32 exec_lo, exec_lo, s1
	v_add_nc_u64_e32 v[2:3], s[20:21], v[2:3]
	s_delay_alu instid0(VALU_DEP_1) | instskip(SKIP_1) | instid1(SALU_CYCLE_1)
	v_cmp_le_i64_e32 vcc_lo, s[4:5], v[2:3]
	s_or_b32 s0, vcc_lo, s0
	s_and_not1_b32 exec_lo, exec_lo, s0
	s_cbranch_execz .LBB261_20
.LBB261_15:                             ; =>This Loop Header: Depth=1
                                        ;     Child Loop BB261_18 Depth 2
	v_lshlrev_b64_e32 v[4:5], 3, v[2:3]
	s_mov_b32 s1, exec_lo
	s_delay_alu instid0(VALU_DEP_1)
	v_add_nc_u64_e32 v[6:7], s[10:11], v[4:5]
	v_add_nc_u64_e32 v[4:5], s[8:9], v[4:5]
	global_load_b64 v[8:9], v[6:7], off
	global_load_b64 v[10:11], v[4:5], off
	s_wait_loadcnt 0x1
	s_wait_xcnt 0x0
	v_sub_nc_u64_e64 v[4:5], v[8:9], s[2:3]
	s_wait_loadcnt 0x0
	v_add_nc_u64_e32 v[6:7], v[10:11], v[0:1]
	s_delay_alu instid0(VALU_DEP_1)
	v_cmpx_lt_i64_e64 v[6:7], v[4:5]
	s_cbranch_execz .LBB261_14
; %bb.16:                               ;   in Loop: Header=BB261_15 Depth=1
	s_wait_kmcnt 0x0
	v_lshl_add_u64 v[8:9], v[2:3], 1, s[16:17]
	s_mov_b32 s7, 0
	global_load_u16 v8, v[8:9], off
	s_wait_loadcnt 0x0
	v_lshlrev_b32_e32 v10, 16, v8
	s_wait_xcnt 0x0
	v_lshl_add_u64 v[8:9], v[6:7], 3, s[12:13]
	s_delay_alu instid0(VALU_DEP_2)
	v_mul_f32_e32 v14, s6, v10
	v_lshl_add_u64 v[10:11], v[6:7], 1, s[14:15]
	s_branch .LBB261_18
.LBB261_17:                             ;   in Loop: Header=BB261_18 Depth=2
	s_wait_xcnt 0x0
	s_or_b32 exec_lo, exec_lo, s22
	v_add_nc_u64_e32 v[6:7], 16, v[6:7]
	v_add_nc_u64_e32 v[8:9], 0x80, v[8:9]
	;; [unrolled: 1-line block ×3, first 2 shown]
	s_delay_alu instid0(VALU_DEP_3) | instskip(SKIP_1) | instid1(SALU_CYCLE_1)
	v_cmp_ge_i64_e32 vcc_lo, v[6:7], v[4:5]
	s_or_b32 s7, vcc_lo, s7
	s_and_not1_b32 exec_lo, exec_lo, s7
	s_cbranch_execz .LBB261_14
.LBB261_18:                             ;   Parent Loop BB261_15 Depth=1
                                        ; =>  This Inner Loop Header: Depth=2
	global_load_b64 v[12:13], v[8:9], off
	s_mov_b32 s22, exec_lo
	s_wait_loadcnt 0x0
	v_sub_nc_u64_e64 v[12:13], v[12:13], s[2:3]
	s_wait_xcnt 0x0
	s_delay_alu instid0(VALU_DEP_1)
	v_cmpx_ne_u64_e64 v[12:13], v[2:3]
	s_cbranch_execz .LBB261_17
; %bb.19:                               ;   in Loop: Header=BB261_18 Depth=2
	global_load_u16 v15, v[10:11], off
	v_lshl_add_u64 v[12:13], v[12:13], 2, s[18:19]
	s_wait_loadcnt 0x0
	v_lshlrev_b32_e32 v15, 16, v15
	s_delay_alu instid0(VALU_DEP_1)
	v_mul_f32_e32 v15, v14, v15
	s_wait_xcnt 0x0
	global_atomic_add_f32 v[12:13], v15, off scope:SCOPE_DEV
	s_branch .LBB261_17
.LBB261_20:
	s_endpgm
	.section	.rodata,"a",@progbits
	.p2align	6, 0x0
	.amdhsa_kernel _ZN9rocsparseL21csrmvt_general_kernelILj256ELj16Ell18rocsparse_bfloat16S1_ffEEvbbT2_NS_24const_host_device_scalarIT6_EEPKT1_S8_PKS2_PKT3_PKT4_PT5_21rocsparse_index_base_b
		.amdhsa_group_segment_fixed_size 0
		.amdhsa_private_segment_fixed_size 0
		.amdhsa_kernarg_size 336
		.amdhsa_user_sgpr_count 2
		.amdhsa_user_sgpr_dispatch_ptr 0
		.amdhsa_user_sgpr_queue_ptr 0
		.amdhsa_user_sgpr_kernarg_segment_ptr 1
		.amdhsa_user_sgpr_dispatch_id 0
		.amdhsa_user_sgpr_kernarg_preload_length 0
		.amdhsa_user_sgpr_kernarg_preload_offset 0
		.amdhsa_user_sgpr_private_segment_size 0
		.amdhsa_wavefront_size32 1
		.amdhsa_uses_dynamic_stack 0
		.amdhsa_enable_private_segment 0
		.amdhsa_system_sgpr_workgroup_id_x 1
		.amdhsa_system_sgpr_workgroup_id_y 0
		.amdhsa_system_sgpr_workgroup_id_z 0
		.amdhsa_system_sgpr_workgroup_info 0
		.amdhsa_system_vgpr_workitem_id 0
		.amdhsa_next_free_vgpr 19
		.amdhsa_next_free_sgpr 24
		.amdhsa_named_barrier_count 0
		.amdhsa_reserve_vcc 1
		.amdhsa_float_round_mode_32 0
		.amdhsa_float_round_mode_16_64 0
		.amdhsa_float_denorm_mode_32 3
		.amdhsa_float_denorm_mode_16_64 3
		.amdhsa_fp16_overflow 0
		.amdhsa_memory_ordered 1
		.amdhsa_forward_progress 1
		.amdhsa_inst_pref_size 8
		.amdhsa_round_robin_scheduling 0
		.amdhsa_exception_fp_ieee_invalid_op 0
		.amdhsa_exception_fp_denorm_src 0
		.amdhsa_exception_fp_ieee_div_zero 0
		.amdhsa_exception_fp_ieee_overflow 0
		.amdhsa_exception_fp_ieee_underflow 0
		.amdhsa_exception_fp_ieee_inexact 0
		.amdhsa_exception_int_div_zero 0
	.end_amdhsa_kernel
	.section	.text._ZN9rocsparseL21csrmvt_general_kernelILj256ELj16Ell18rocsparse_bfloat16S1_ffEEvbbT2_NS_24const_host_device_scalarIT6_EEPKT1_S8_PKS2_PKT3_PKT4_PT5_21rocsparse_index_base_b,"axG",@progbits,_ZN9rocsparseL21csrmvt_general_kernelILj256ELj16Ell18rocsparse_bfloat16S1_ffEEvbbT2_NS_24const_host_device_scalarIT6_EEPKT1_S8_PKS2_PKT3_PKT4_PT5_21rocsparse_index_base_b,comdat
.Lfunc_end261:
	.size	_ZN9rocsparseL21csrmvt_general_kernelILj256ELj16Ell18rocsparse_bfloat16S1_ffEEvbbT2_NS_24const_host_device_scalarIT6_EEPKT1_S8_PKS2_PKT3_PKT4_PT5_21rocsparse_index_base_b, .Lfunc_end261-_ZN9rocsparseL21csrmvt_general_kernelILj256ELj16Ell18rocsparse_bfloat16S1_ffEEvbbT2_NS_24const_host_device_scalarIT6_EEPKT1_S8_PKS2_PKT3_PKT4_PT5_21rocsparse_index_base_b
                                        ; -- End function
	.set _ZN9rocsparseL21csrmvt_general_kernelILj256ELj16Ell18rocsparse_bfloat16S1_ffEEvbbT2_NS_24const_host_device_scalarIT6_EEPKT1_S8_PKS2_PKT3_PKT4_PT5_21rocsparse_index_base_b.num_vgpr, 19
	.set _ZN9rocsparseL21csrmvt_general_kernelILj256ELj16Ell18rocsparse_bfloat16S1_ffEEvbbT2_NS_24const_host_device_scalarIT6_EEPKT1_S8_PKS2_PKT3_PKT4_PT5_21rocsparse_index_base_b.num_agpr, 0
	.set _ZN9rocsparseL21csrmvt_general_kernelILj256ELj16Ell18rocsparse_bfloat16S1_ffEEvbbT2_NS_24const_host_device_scalarIT6_EEPKT1_S8_PKS2_PKT3_PKT4_PT5_21rocsparse_index_base_b.numbered_sgpr, 24
	.set _ZN9rocsparseL21csrmvt_general_kernelILj256ELj16Ell18rocsparse_bfloat16S1_ffEEvbbT2_NS_24const_host_device_scalarIT6_EEPKT1_S8_PKS2_PKT3_PKT4_PT5_21rocsparse_index_base_b.num_named_barrier, 0
	.set _ZN9rocsparseL21csrmvt_general_kernelILj256ELj16Ell18rocsparse_bfloat16S1_ffEEvbbT2_NS_24const_host_device_scalarIT6_EEPKT1_S8_PKS2_PKT3_PKT4_PT5_21rocsparse_index_base_b.private_seg_size, 0
	.set _ZN9rocsparseL21csrmvt_general_kernelILj256ELj16Ell18rocsparse_bfloat16S1_ffEEvbbT2_NS_24const_host_device_scalarIT6_EEPKT1_S8_PKS2_PKT3_PKT4_PT5_21rocsparse_index_base_b.uses_vcc, 1
	.set _ZN9rocsparseL21csrmvt_general_kernelILj256ELj16Ell18rocsparse_bfloat16S1_ffEEvbbT2_NS_24const_host_device_scalarIT6_EEPKT1_S8_PKS2_PKT3_PKT4_PT5_21rocsparse_index_base_b.uses_flat_scratch, 0
	.set _ZN9rocsparseL21csrmvt_general_kernelILj256ELj16Ell18rocsparse_bfloat16S1_ffEEvbbT2_NS_24const_host_device_scalarIT6_EEPKT1_S8_PKS2_PKT3_PKT4_PT5_21rocsparse_index_base_b.has_dyn_sized_stack, 0
	.set _ZN9rocsparseL21csrmvt_general_kernelILj256ELj16Ell18rocsparse_bfloat16S1_ffEEvbbT2_NS_24const_host_device_scalarIT6_EEPKT1_S8_PKS2_PKT3_PKT4_PT5_21rocsparse_index_base_b.has_recursion, 0
	.set _ZN9rocsparseL21csrmvt_general_kernelILj256ELj16Ell18rocsparse_bfloat16S1_ffEEvbbT2_NS_24const_host_device_scalarIT6_EEPKT1_S8_PKS2_PKT3_PKT4_PT5_21rocsparse_index_base_b.has_indirect_call, 0
	.section	.AMDGPU.csdata,"",@progbits
; Kernel info:
; codeLenInByte = 920
; TotalNumSgprs: 26
; NumVgprs: 19
; ScratchSize: 0
; MemoryBound: 0
; FloatMode: 240
; IeeeMode: 1
; LDSByteSize: 0 bytes/workgroup (compile time only)
; SGPRBlocks: 0
; VGPRBlocks: 1
; NumSGPRsForWavesPerEU: 26
; NumVGPRsForWavesPerEU: 19
; NamedBarCnt: 0
; Occupancy: 16
; WaveLimiterHint : 1
; COMPUTE_PGM_RSRC2:SCRATCH_EN: 0
; COMPUTE_PGM_RSRC2:USER_SGPR: 2
; COMPUTE_PGM_RSRC2:TRAP_HANDLER: 0
; COMPUTE_PGM_RSRC2:TGID_X_EN: 1
; COMPUTE_PGM_RSRC2:TGID_Y_EN: 0
; COMPUTE_PGM_RSRC2:TGID_Z_EN: 0
; COMPUTE_PGM_RSRC2:TIDIG_COMP_CNT: 0
	.section	.text._ZN9rocsparseL21csrmvt_general_kernelILj256ELj32Ell18rocsparse_bfloat16S1_ffEEvbbT2_NS_24const_host_device_scalarIT6_EEPKT1_S8_PKS2_PKT3_PKT4_PT5_21rocsparse_index_base_b,"axG",@progbits,_ZN9rocsparseL21csrmvt_general_kernelILj256ELj32Ell18rocsparse_bfloat16S1_ffEEvbbT2_NS_24const_host_device_scalarIT6_EEPKT1_S8_PKS2_PKT3_PKT4_PT5_21rocsparse_index_base_b,comdat
	.globl	_ZN9rocsparseL21csrmvt_general_kernelILj256ELj32Ell18rocsparse_bfloat16S1_ffEEvbbT2_NS_24const_host_device_scalarIT6_EEPKT1_S8_PKS2_PKT3_PKT4_PT5_21rocsparse_index_base_b ; -- Begin function _ZN9rocsparseL21csrmvt_general_kernelILj256ELj32Ell18rocsparse_bfloat16S1_ffEEvbbT2_NS_24const_host_device_scalarIT6_EEPKT1_S8_PKS2_PKT3_PKT4_PT5_21rocsparse_index_base_b
	.p2align	8
	.type	_ZN9rocsparseL21csrmvt_general_kernelILj256ELj32Ell18rocsparse_bfloat16S1_ffEEvbbT2_NS_24const_host_device_scalarIT6_EEPKT1_S8_PKS2_PKT3_PKT4_PT5_21rocsparse_index_base_b,@function
_ZN9rocsparseL21csrmvt_general_kernelILj256ELj32Ell18rocsparse_bfloat16S1_ffEEvbbT2_NS_24const_host_device_scalarIT6_EEPKT1_S8_PKS2_PKT3_PKT4_PT5_21rocsparse_index_base_b: ; @_ZN9rocsparseL21csrmvt_general_kernelILj256ELj32Ell18rocsparse_bfloat16S1_ffEEvbbT2_NS_24const_host_device_scalarIT6_EEPKT1_S8_PKS2_PKT3_PKT4_PT5_21rocsparse_index_base_b
; %bb.0:
	s_clause 0x1
	s_load_b64 s[2:3], s[0:1], 0x48
	s_load_b256 s[4:11], s[0:1], 0x8
	s_wait_kmcnt 0x0
	s_bitcmp1_b32 s3, 0
	s_cselect_b32 s3, -1, 0
	s_delay_alu instid0(SALU_CYCLE_1)
	s_and_b32 vcc_lo, exec_lo, s3
	s_cbranch_vccnz .LBB262_2
; %bb.1:
	s_load_b32 s6, s[6:7], 0x0
.LBB262_2:
	s_wait_kmcnt 0x0
	s_cmp_eq_f32 s6, 0
	s_mov_b32 s21, 0
	s_cbranch_scc1 .LBB262_20
; %bb.3:
	s_clause 0x1
	s_load_b32 s3, s[0:1], 0x0
	s_load_b32 s7, s[0:1], 0x50
	s_bfe_u32 s12, ttmp6, 0x4000c
	s_and_b32 s13, ttmp6, 15
	s_add_co_i32 s12, s12, 1
	s_getreg_b32 s14, hwreg(HW_REG_IB_STS2, 6, 4)
	s_mul_i32 s12, ttmp9, s12
	v_mov_b32_e32 v3, 0
	s_add_co_i32 s22, s13, s12
	s_wait_kmcnt 0x0
	s_and_b32 s3, s3, 1
	s_lshl_b32 s20, s7, 3
	s_cmp_eq_u32 s14, 0
	s_load_b256 s[12:19], s[0:1], 0x28
	s_wait_xcnt 0x0
	s_cselect_b32 s0, ttmp9, s22
	s_cmp_eq_u32 s3, 0
	v_lshl_or_b32 v1, s0, 8, v0
	v_and_b32_e32 v0, 31, v0
	s_mov_b32 s1, -1
	s_delay_alu instid0(VALU_DEP_2) | instskip(NEXT) | instid1(VALU_DEP_1)
	v_lshrrev_b32_e32 v2, 5, v1
	v_cmp_gt_i64_e64 s0, s[4:5], v[2:3]
	s_cbranch_scc0 .LBB262_11
; %bb.4:
	s_and_saveexec_b32 s1, s0
	s_cbranch_execz .LBB262_10
; %bb.5:
	v_mov_b32_e32 v1, 0
	s_mov_b32 s3, 0
	v_mov_b64_e32 v[6:7], v[2:3]
	s_mov_b32 s7, s3
	s_delay_alu instid0(VALU_DEP_2)
	v_sub_nc_u64_e64 v[4:5], v[0:1], s[2:3]
	s_branch .LBB262_7
.LBB262_6:                              ;   in Loop: Header=BB262_7 Depth=1
	s_or_b32 exec_lo, exec_lo, s22
	v_add_nc_u64_e32 v[6:7], s[20:21], v[6:7]
	s_delay_alu instid0(VALU_DEP_1) | instskip(SKIP_1) | instid1(SALU_CYCLE_1)
	v_cmp_le_i64_e32 vcc_lo, s[4:5], v[6:7]
	s_or_b32 s7, vcc_lo, s7
	s_and_not1_b32 exec_lo, exec_lo, s7
	s_cbranch_execz .LBB262_10
.LBB262_7:                              ; =>This Loop Header: Depth=1
                                        ;     Child Loop BB262_9 Depth 2
	s_delay_alu instid0(VALU_DEP_2) | instskip(SKIP_1) | instid1(VALU_DEP_1)
	v_lshlrev_b64_e32 v[8:9], 3, v[6:7]
	s_mov_b32 s22, exec_lo
	v_add_nc_u64_e32 v[10:11], s[10:11], v[8:9]
	v_add_nc_u64_e32 v[8:9], s[8:9], v[8:9]
	global_load_b64 v[12:13], v[10:11], off
	global_load_b64 v[14:15], v[8:9], off
	s_wait_loadcnt 0x1
	s_wait_xcnt 0x0
	v_sub_nc_u64_e64 v[8:9], v[12:13], s[2:3]
	s_wait_loadcnt 0x0
	v_add_nc_u64_e32 v[10:11], v[14:15], v[4:5]
	s_delay_alu instid0(VALU_DEP_1)
	v_cmpx_lt_i64_e64 v[10:11], v[8:9]
	s_cbranch_execz .LBB262_6
; %bb.8:                                ;   in Loop: Header=BB262_7 Depth=1
	s_wait_kmcnt 0x0
	v_lshl_add_u64 v[12:13], v[6:7], 1, s[16:17]
	v_lshl_add_u64 v[14:15], v[10:11], 1, s[14:15]
	s_mov_b32 s23, 0
	global_load_u16 v1, v[12:13], off
	s_wait_xcnt 0x0
	v_lshl_add_u64 v[12:13], v[10:11], 3, s[12:13]
	s_wait_loadcnt 0x0
	v_lshlrev_b32_e32 v1, 16, v1
	s_delay_alu instid0(VALU_DEP_1)
	v_mul_f32_e32 v1, s6, v1
.LBB262_9:                              ;   Parent Loop BB262_7 Depth=1
                                        ; =>  This Inner Loop Header: Depth=2
	global_load_b64 v[16:17], v[12:13], off
	global_load_u16 v18, v[14:15], off
	v_add_nc_u64_e32 v[10:11], 32, v[10:11]
	s_wait_xcnt 0x1
	v_add_nc_u64_e32 v[12:13], 0x100, v[12:13]
	s_wait_xcnt 0x0
	v_add_nc_u64_e32 v[14:15], 64, v[14:15]
	s_delay_alu instid0(VALU_DEP_3)
	v_cmp_ge_i64_e32 vcc_lo, v[10:11], v[8:9]
	s_or_b32 s23, vcc_lo, s23
	s_wait_loadcnt 0x1
	v_sub_nc_u64_e64 v[16:17], v[16:17], s[2:3]
	s_wait_loadcnt 0x0
	v_lshlrev_b32_e32 v18, 16, v18
	s_delay_alu instid0(VALU_DEP_1) | instskip(NEXT) | instid1(VALU_DEP_3)
	v_mul_f32_e32 v18, v1, v18
	v_lshl_add_u64 v[16:17], v[16:17], 2, s[18:19]
	global_atomic_add_f32 v[16:17], v18, off scope:SCOPE_DEV
	s_wait_xcnt 0x0
	s_and_not1_b32 exec_lo, exec_lo, s23
	s_cbranch_execnz .LBB262_9
	s_branch .LBB262_6
.LBB262_10:
	s_or_b32 exec_lo, exec_lo, s1
	s_mov_b32 s1, 0
.LBB262_11:
	s_delay_alu instid0(SALU_CYCLE_1)
	s_and_not1_b32 vcc_lo, exec_lo, s1
	s_cbranch_vccnz .LBB262_20
; %bb.12:
	s_and_saveexec_b32 s1, s0
	s_cbranch_execz .LBB262_20
; %bb.13:
	v_mov_b32_e32 v1, 0
	s_mov_b32 s3, 0
	s_delay_alu instid0(SALU_CYCLE_1) | instskip(NEXT) | instid1(VALU_DEP_1)
	s_mov_b32 s0, s3
	v_sub_nc_u64_e64 v[0:1], v[0:1], s[2:3]
	s_branch .LBB262_15
.LBB262_14:                             ;   in Loop: Header=BB262_15 Depth=1
	s_or_b32 exec_lo, exec_lo, s1
	v_add_nc_u64_e32 v[2:3], s[20:21], v[2:3]
	s_delay_alu instid0(VALU_DEP_1) | instskip(SKIP_1) | instid1(SALU_CYCLE_1)
	v_cmp_le_i64_e32 vcc_lo, s[4:5], v[2:3]
	s_or_b32 s0, vcc_lo, s0
	s_and_not1_b32 exec_lo, exec_lo, s0
	s_cbranch_execz .LBB262_20
.LBB262_15:                             ; =>This Loop Header: Depth=1
                                        ;     Child Loop BB262_18 Depth 2
	v_lshlrev_b64_e32 v[4:5], 3, v[2:3]
	s_mov_b32 s1, exec_lo
	s_delay_alu instid0(VALU_DEP_1)
	v_add_nc_u64_e32 v[6:7], s[10:11], v[4:5]
	v_add_nc_u64_e32 v[4:5], s[8:9], v[4:5]
	global_load_b64 v[8:9], v[6:7], off
	global_load_b64 v[10:11], v[4:5], off
	s_wait_loadcnt 0x1
	s_wait_xcnt 0x0
	v_sub_nc_u64_e64 v[4:5], v[8:9], s[2:3]
	s_wait_loadcnt 0x0
	v_add_nc_u64_e32 v[6:7], v[10:11], v[0:1]
	s_delay_alu instid0(VALU_DEP_1)
	v_cmpx_lt_i64_e64 v[6:7], v[4:5]
	s_cbranch_execz .LBB262_14
; %bb.16:                               ;   in Loop: Header=BB262_15 Depth=1
	s_wait_kmcnt 0x0
	v_lshl_add_u64 v[8:9], v[2:3], 1, s[16:17]
	s_mov_b32 s7, 0
	global_load_u16 v8, v[8:9], off
	s_wait_loadcnt 0x0
	v_lshlrev_b32_e32 v10, 16, v8
	s_wait_xcnt 0x0
	v_lshl_add_u64 v[8:9], v[6:7], 3, s[12:13]
	s_delay_alu instid0(VALU_DEP_2)
	v_mul_f32_e32 v14, s6, v10
	v_lshl_add_u64 v[10:11], v[6:7], 1, s[14:15]
	s_branch .LBB262_18
.LBB262_17:                             ;   in Loop: Header=BB262_18 Depth=2
	s_wait_xcnt 0x0
	s_or_b32 exec_lo, exec_lo, s22
	v_add_nc_u64_e32 v[6:7], 32, v[6:7]
	v_add_nc_u64_e32 v[8:9], 0x100, v[8:9]
	;; [unrolled: 1-line block ×3, first 2 shown]
	s_delay_alu instid0(VALU_DEP_3) | instskip(SKIP_1) | instid1(SALU_CYCLE_1)
	v_cmp_ge_i64_e32 vcc_lo, v[6:7], v[4:5]
	s_or_b32 s7, vcc_lo, s7
	s_and_not1_b32 exec_lo, exec_lo, s7
	s_cbranch_execz .LBB262_14
.LBB262_18:                             ;   Parent Loop BB262_15 Depth=1
                                        ; =>  This Inner Loop Header: Depth=2
	global_load_b64 v[12:13], v[8:9], off
	s_mov_b32 s22, exec_lo
	s_wait_loadcnt 0x0
	v_sub_nc_u64_e64 v[12:13], v[12:13], s[2:3]
	s_wait_xcnt 0x0
	s_delay_alu instid0(VALU_DEP_1)
	v_cmpx_ne_u64_e64 v[12:13], v[2:3]
	s_cbranch_execz .LBB262_17
; %bb.19:                               ;   in Loop: Header=BB262_18 Depth=2
	global_load_u16 v15, v[10:11], off
	v_lshl_add_u64 v[12:13], v[12:13], 2, s[18:19]
	s_wait_loadcnt 0x0
	v_lshlrev_b32_e32 v15, 16, v15
	s_delay_alu instid0(VALU_DEP_1)
	v_mul_f32_e32 v15, v14, v15
	s_wait_xcnt 0x0
	global_atomic_add_f32 v[12:13], v15, off scope:SCOPE_DEV
	s_branch .LBB262_17
.LBB262_20:
	s_endpgm
	.section	.rodata,"a",@progbits
	.p2align	6, 0x0
	.amdhsa_kernel _ZN9rocsparseL21csrmvt_general_kernelILj256ELj32Ell18rocsparse_bfloat16S1_ffEEvbbT2_NS_24const_host_device_scalarIT6_EEPKT1_S8_PKS2_PKT3_PKT4_PT5_21rocsparse_index_base_b
		.amdhsa_group_segment_fixed_size 0
		.amdhsa_private_segment_fixed_size 0
		.amdhsa_kernarg_size 336
		.amdhsa_user_sgpr_count 2
		.amdhsa_user_sgpr_dispatch_ptr 0
		.amdhsa_user_sgpr_queue_ptr 0
		.amdhsa_user_sgpr_kernarg_segment_ptr 1
		.amdhsa_user_sgpr_dispatch_id 0
		.amdhsa_user_sgpr_kernarg_preload_length 0
		.amdhsa_user_sgpr_kernarg_preload_offset 0
		.amdhsa_user_sgpr_private_segment_size 0
		.amdhsa_wavefront_size32 1
		.amdhsa_uses_dynamic_stack 0
		.amdhsa_enable_private_segment 0
		.amdhsa_system_sgpr_workgroup_id_x 1
		.amdhsa_system_sgpr_workgroup_id_y 0
		.amdhsa_system_sgpr_workgroup_id_z 0
		.amdhsa_system_sgpr_workgroup_info 0
		.amdhsa_system_vgpr_workitem_id 0
		.amdhsa_next_free_vgpr 19
		.amdhsa_next_free_sgpr 24
		.amdhsa_named_barrier_count 0
		.amdhsa_reserve_vcc 1
		.amdhsa_float_round_mode_32 0
		.amdhsa_float_round_mode_16_64 0
		.amdhsa_float_denorm_mode_32 3
		.amdhsa_float_denorm_mode_16_64 3
		.amdhsa_fp16_overflow 0
		.amdhsa_memory_ordered 1
		.amdhsa_forward_progress 1
		.amdhsa_inst_pref_size 8
		.amdhsa_round_robin_scheduling 0
		.amdhsa_exception_fp_ieee_invalid_op 0
		.amdhsa_exception_fp_denorm_src 0
		.amdhsa_exception_fp_ieee_div_zero 0
		.amdhsa_exception_fp_ieee_overflow 0
		.amdhsa_exception_fp_ieee_underflow 0
		.amdhsa_exception_fp_ieee_inexact 0
		.amdhsa_exception_int_div_zero 0
	.end_amdhsa_kernel
	.section	.text._ZN9rocsparseL21csrmvt_general_kernelILj256ELj32Ell18rocsparse_bfloat16S1_ffEEvbbT2_NS_24const_host_device_scalarIT6_EEPKT1_S8_PKS2_PKT3_PKT4_PT5_21rocsparse_index_base_b,"axG",@progbits,_ZN9rocsparseL21csrmvt_general_kernelILj256ELj32Ell18rocsparse_bfloat16S1_ffEEvbbT2_NS_24const_host_device_scalarIT6_EEPKT1_S8_PKS2_PKT3_PKT4_PT5_21rocsparse_index_base_b,comdat
.Lfunc_end262:
	.size	_ZN9rocsparseL21csrmvt_general_kernelILj256ELj32Ell18rocsparse_bfloat16S1_ffEEvbbT2_NS_24const_host_device_scalarIT6_EEPKT1_S8_PKS2_PKT3_PKT4_PT5_21rocsparse_index_base_b, .Lfunc_end262-_ZN9rocsparseL21csrmvt_general_kernelILj256ELj32Ell18rocsparse_bfloat16S1_ffEEvbbT2_NS_24const_host_device_scalarIT6_EEPKT1_S8_PKS2_PKT3_PKT4_PT5_21rocsparse_index_base_b
                                        ; -- End function
	.set _ZN9rocsparseL21csrmvt_general_kernelILj256ELj32Ell18rocsparse_bfloat16S1_ffEEvbbT2_NS_24const_host_device_scalarIT6_EEPKT1_S8_PKS2_PKT3_PKT4_PT5_21rocsparse_index_base_b.num_vgpr, 19
	.set _ZN9rocsparseL21csrmvt_general_kernelILj256ELj32Ell18rocsparse_bfloat16S1_ffEEvbbT2_NS_24const_host_device_scalarIT6_EEPKT1_S8_PKS2_PKT3_PKT4_PT5_21rocsparse_index_base_b.num_agpr, 0
	.set _ZN9rocsparseL21csrmvt_general_kernelILj256ELj32Ell18rocsparse_bfloat16S1_ffEEvbbT2_NS_24const_host_device_scalarIT6_EEPKT1_S8_PKS2_PKT3_PKT4_PT5_21rocsparse_index_base_b.numbered_sgpr, 24
	.set _ZN9rocsparseL21csrmvt_general_kernelILj256ELj32Ell18rocsparse_bfloat16S1_ffEEvbbT2_NS_24const_host_device_scalarIT6_EEPKT1_S8_PKS2_PKT3_PKT4_PT5_21rocsparse_index_base_b.num_named_barrier, 0
	.set _ZN9rocsparseL21csrmvt_general_kernelILj256ELj32Ell18rocsparse_bfloat16S1_ffEEvbbT2_NS_24const_host_device_scalarIT6_EEPKT1_S8_PKS2_PKT3_PKT4_PT5_21rocsparse_index_base_b.private_seg_size, 0
	.set _ZN9rocsparseL21csrmvt_general_kernelILj256ELj32Ell18rocsparse_bfloat16S1_ffEEvbbT2_NS_24const_host_device_scalarIT6_EEPKT1_S8_PKS2_PKT3_PKT4_PT5_21rocsparse_index_base_b.uses_vcc, 1
	.set _ZN9rocsparseL21csrmvt_general_kernelILj256ELj32Ell18rocsparse_bfloat16S1_ffEEvbbT2_NS_24const_host_device_scalarIT6_EEPKT1_S8_PKS2_PKT3_PKT4_PT5_21rocsparse_index_base_b.uses_flat_scratch, 0
	.set _ZN9rocsparseL21csrmvt_general_kernelILj256ELj32Ell18rocsparse_bfloat16S1_ffEEvbbT2_NS_24const_host_device_scalarIT6_EEPKT1_S8_PKS2_PKT3_PKT4_PT5_21rocsparse_index_base_b.has_dyn_sized_stack, 0
	.set _ZN9rocsparseL21csrmvt_general_kernelILj256ELj32Ell18rocsparse_bfloat16S1_ffEEvbbT2_NS_24const_host_device_scalarIT6_EEPKT1_S8_PKS2_PKT3_PKT4_PT5_21rocsparse_index_base_b.has_recursion, 0
	.set _ZN9rocsparseL21csrmvt_general_kernelILj256ELj32Ell18rocsparse_bfloat16S1_ffEEvbbT2_NS_24const_host_device_scalarIT6_EEPKT1_S8_PKS2_PKT3_PKT4_PT5_21rocsparse_index_base_b.has_indirect_call, 0
	.section	.AMDGPU.csdata,"",@progbits
; Kernel info:
; codeLenInByte = 920
; TotalNumSgprs: 26
; NumVgprs: 19
; ScratchSize: 0
; MemoryBound: 0
; FloatMode: 240
; IeeeMode: 1
; LDSByteSize: 0 bytes/workgroup (compile time only)
; SGPRBlocks: 0
; VGPRBlocks: 1
; NumSGPRsForWavesPerEU: 26
; NumVGPRsForWavesPerEU: 19
; NamedBarCnt: 0
; Occupancy: 16
; WaveLimiterHint : 1
; COMPUTE_PGM_RSRC2:SCRATCH_EN: 0
; COMPUTE_PGM_RSRC2:USER_SGPR: 2
; COMPUTE_PGM_RSRC2:TRAP_HANDLER: 0
; COMPUTE_PGM_RSRC2:TGID_X_EN: 1
; COMPUTE_PGM_RSRC2:TGID_Y_EN: 0
; COMPUTE_PGM_RSRC2:TGID_Z_EN: 0
; COMPUTE_PGM_RSRC2:TIDIG_COMP_CNT: 0
	.section	.text._ZN9rocsparseL21csrmvt_general_kernelILj256ELj64Ell18rocsparse_bfloat16S1_ffEEvbbT2_NS_24const_host_device_scalarIT6_EEPKT1_S8_PKS2_PKT3_PKT4_PT5_21rocsparse_index_base_b,"axG",@progbits,_ZN9rocsparseL21csrmvt_general_kernelILj256ELj64Ell18rocsparse_bfloat16S1_ffEEvbbT2_NS_24const_host_device_scalarIT6_EEPKT1_S8_PKS2_PKT3_PKT4_PT5_21rocsparse_index_base_b,comdat
	.globl	_ZN9rocsparseL21csrmvt_general_kernelILj256ELj64Ell18rocsparse_bfloat16S1_ffEEvbbT2_NS_24const_host_device_scalarIT6_EEPKT1_S8_PKS2_PKT3_PKT4_PT5_21rocsparse_index_base_b ; -- Begin function _ZN9rocsparseL21csrmvt_general_kernelILj256ELj64Ell18rocsparse_bfloat16S1_ffEEvbbT2_NS_24const_host_device_scalarIT6_EEPKT1_S8_PKS2_PKT3_PKT4_PT5_21rocsparse_index_base_b
	.p2align	8
	.type	_ZN9rocsparseL21csrmvt_general_kernelILj256ELj64Ell18rocsparse_bfloat16S1_ffEEvbbT2_NS_24const_host_device_scalarIT6_EEPKT1_S8_PKS2_PKT3_PKT4_PT5_21rocsparse_index_base_b,@function
_ZN9rocsparseL21csrmvt_general_kernelILj256ELj64Ell18rocsparse_bfloat16S1_ffEEvbbT2_NS_24const_host_device_scalarIT6_EEPKT1_S8_PKS2_PKT3_PKT4_PT5_21rocsparse_index_base_b: ; @_ZN9rocsparseL21csrmvt_general_kernelILj256ELj64Ell18rocsparse_bfloat16S1_ffEEvbbT2_NS_24const_host_device_scalarIT6_EEPKT1_S8_PKS2_PKT3_PKT4_PT5_21rocsparse_index_base_b
; %bb.0:
	s_clause 0x1
	s_load_b64 s[2:3], s[0:1], 0x48
	s_load_b256 s[4:11], s[0:1], 0x8
	s_wait_kmcnt 0x0
	s_bitcmp1_b32 s3, 0
	s_cselect_b32 s3, -1, 0
	s_delay_alu instid0(SALU_CYCLE_1)
	s_and_b32 vcc_lo, exec_lo, s3
	s_cbranch_vccnz .LBB263_2
; %bb.1:
	s_load_b32 s6, s[6:7], 0x0
.LBB263_2:
	s_wait_kmcnt 0x0
	s_cmp_eq_f32 s6, 0
	s_mov_b32 s21, 0
	s_cbranch_scc1 .LBB263_20
; %bb.3:
	s_clause 0x1
	s_load_b32 s3, s[0:1], 0x0
	s_load_b32 s7, s[0:1], 0x50
	s_bfe_u32 s12, ttmp6, 0x4000c
	s_and_b32 s13, ttmp6, 15
	s_add_co_i32 s12, s12, 1
	s_getreg_b32 s14, hwreg(HW_REG_IB_STS2, 6, 4)
	s_mul_i32 s12, ttmp9, s12
	v_mov_b32_e32 v3, 0
	s_add_co_i32 s22, s13, s12
	s_wait_kmcnt 0x0
	s_and_b32 s3, s3, 1
	s_lshl_b32 s20, s7, 2
	s_cmp_eq_u32 s14, 0
	s_load_b256 s[12:19], s[0:1], 0x28
	s_wait_xcnt 0x0
	s_cselect_b32 s0, ttmp9, s22
	s_cmp_eq_u32 s3, 0
	v_lshl_or_b32 v1, s0, 8, v0
	v_and_b32_e32 v0, 63, v0
	s_mov_b32 s1, -1
	s_delay_alu instid0(VALU_DEP_2) | instskip(NEXT) | instid1(VALU_DEP_1)
	v_lshrrev_b32_e32 v2, 6, v1
	v_cmp_gt_i64_e64 s0, s[4:5], v[2:3]
	s_cbranch_scc0 .LBB263_11
; %bb.4:
	s_and_saveexec_b32 s1, s0
	s_cbranch_execz .LBB263_10
; %bb.5:
	v_mov_b32_e32 v1, 0
	s_mov_b32 s3, 0
	v_mov_b64_e32 v[6:7], v[2:3]
	s_mov_b32 s7, s3
	s_delay_alu instid0(VALU_DEP_2)
	v_sub_nc_u64_e64 v[4:5], v[0:1], s[2:3]
	s_branch .LBB263_7
.LBB263_6:                              ;   in Loop: Header=BB263_7 Depth=1
	s_or_b32 exec_lo, exec_lo, s22
	v_add_nc_u64_e32 v[6:7], s[20:21], v[6:7]
	s_delay_alu instid0(VALU_DEP_1) | instskip(SKIP_1) | instid1(SALU_CYCLE_1)
	v_cmp_le_i64_e32 vcc_lo, s[4:5], v[6:7]
	s_or_b32 s7, vcc_lo, s7
	s_and_not1_b32 exec_lo, exec_lo, s7
	s_cbranch_execz .LBB263_10
.LBB263_7:                              ; =>This Loop Header: Depth=1
                                        ;     Child Loop BB263_9 Depth 2
	s_delay_alu instid0(VALU_DEP_2) | instskip(SKIP_1) | instid1(VALU_DEP_1)
	v_lshlrev_b64_e32 v[8:9], 3, v[6:7]
	s_mov_b32 s22, exec_lo
	v_add_nc_u64_e32 v[10:11], s[10:11], v[8:9]
	v_add_nc_u64_e32 v[8:9], s[8:9], v[8:9]
	global_load_b64 v[12:13], v[10:11], off
	global_load_b64 v[14:15], v[8:9], off
	s_wait_loadcnt 0x1
	s_wait_xcnt 0x0
	v_sub_nc_u64_e64 v[8:9], v[12:13], s[2:3]
	s_wait_loadcnt 0x0
	v_add_nc_u64_e32 v[10:11], v[14:15], v[4:5]
	s_delay_alu instid0(VALU_DEP_1)
	v_cmpx_lt_i64_e64 v[10:11], v[8:9]
	s_cbranch_execz .LBB263_6
; %bb.8:                                ;   in Loop: Header=BB263_7 Depth=1
	s_wait_kmcnt 0x0
	v_lshl_add_u64 v[12:13], v[6:7], 1, s[16:17]
	v_lshl_add_u64 v[14:15], v[10:11], 1, s[14:15]
	s_mov_b32 s23, 0
	global_load_u16 v1, v[12:13], off
	s_wait_xcnt 0x0
	v_lshl_add_u64 v[12:13], v[10:11], 3, s[12:13]
	s_wait_loadcnt 0x0
	v_lshlrev_b32_e32 v1, 16, v1
	s_delay_alu instid0(VALU_DEP_1)
	v_mul_f32_e32 v1, s6, v1
.LBB263_9:                              ;   Parent Loop BB263_7 Depth=1
                                        ; =>  This Inner Loop Header: Depth=2
	global_load_b64 v[16:17], v[12:13], off
	global_load_u16 v18, v[14:15], off
	v_add_nc_u64_e32 v[10:11], 64, v[10:11]
	s_wait_xcnt 0x1
	v_add_nc_u64_e32 v[12:13], 0x200, v[12:13]
	s_wait_xcnt 0x0
	v_add_nc_u64_e32 v[14:15], 0x80, v[14:15]
	s_delay_alu instid0(VALU_DEP_3)
	v_cmp_ge_i64_e32 vcc_lo, v[10:11], v[8:9]
	s_or_b32 s23, vcc_lo, s23
	s_wait_loadcnt 0x1
	v_sub_nc_u64_e64 v[16:17], v[16:17], s[2:3]
	s_wait_loadcnt 0x0
	v_lshlrev_b32_e32 v18, 16, v18
	s_delay_alu instid0(VALU_DEP_1) | instskip(NEXT) | instid1(VALU_DEP_3)
	v_mul_f32_e32 v18, v1, v18
	v_lshl_add_u64 v[16:17], v[16:17], 2, s[18:19]
	global_atomic_add_f32 v[16:17], v18, off scope:SCOPE_DEV
	s_wait_xcnt 0x0
	s_and_not1_b32 exec_lo, exec_lo, s23
	s_cbranch_execnz .LBB263_9
	s_branch .LBB263_6
.LBB263_10:
	s_or_b32 exec_lo, exec_lo, s1
	s_mov_b32 s1, 0
.LBB263_11:
	s_delay_alu instid0(SALU_CYCLE_1)
	s_and_not1_b32 vcc_lo, exec_lo, s1
	s_cbranch_vccnz .LBB263_20
; %bb.12:
	s_and_saveexec_b32 s1, s0
	s_cbranch_execz .LBB263_20
; %bb.13:
	v_mov_b32_e32 v1, 0
	s_mov_b32 s3, 0
	s_delay_alu instid0(SALU_CYCLE_1) | instskip(NEXT) | instid1(VALU_DEP_1)
	s_mov_b32 s0, s3
	v_sub_nc_u64_e64 v[0:1], v[0:1], s[2:3]
	s_branch .LBB263_15
.LBB263_14:                             ;   in Loop: Header=BB263_15 Depth=1
	s_or_b32 exec_lo, exec_lo, s1
	v_add_nc_u64_e32 v[2:3], s[20:21], v[2:3]
	s_delay_alu instid0(VALU_DEP_1) | instskip(SKIP_1) | instid1(SALU_CYCLE_1)
	v_cmp_le_i64_e32 vcc_lo, s[4:5], v[2:3]
	s_or_b32 s0, vcc_lo, s0
	s_and_not1_b32 exec_lo, exec_lo, s0
	s_cbranch_execz .LBB263_20
.LBB263_15:                             ; =>This Loop Header: Depth=1
                                        ;     Child Loop BB263_18 Depth 2
	v_lshlrev_b64_e32 v[4:5], 3, v[2:3]
	s_mov_b32 s1, exec_lo
	s_delay_alu instid0(VALU_DEP_1)
	v_add_nc_u64_e32 v[6:7], s[10:11], v[4:5]
	v_add_nc_u64_e32 v[4:5], s[8:9], v[4:5]
	global_load_b64 v[8:9], v[6:7], off
	global_load_b64 v[10:11], v[4:5], off
	s_wait_loadcnt 0x1
	s_wait_xcnt 0x0
	v_sub_nc_u64_e64 v[4:5], v[8:9], s[2:3]
	s_wait_loadcnt 0x0
	v_add_nc_u64_e32 v[6:7], v[10:11], v[0:1]
	s_delay_alu instid0(VALU_DEP_1)
	v_cmpx_lt_i64_e64 v[6:7], v[4:5]
	s_cbranch_execz .LBB263_14
; %bb.16:                               ;   in Loop: Header=BB263_15 Depth=1
	s_wait_kmcnt 0x0
	v_lshl_add_u64 v[8:9], v[2:3], 1, s[16:17]
	s_mov_b32 s7, 0
	global_load_u16 v8, v[8:9], off
	s_wait_loadcnt 0x0
	v_lshlrev_b32_e32 v10, 16, v8
	s_wait_xcnt 0x0
	v_lshl_add_u64 v[8:9], v[6:7], 3, s[12:13]
	s_delay_alu instid0(VALU_DEP_2)
	v_mul_f32_e32 v14, s6, v10
	v_lshl_add_u64 v[10:11], v[6:7], 1, s[14:15]
	s_branch .LBB263_18
.LBB263_17:                             ;   in Loop: Header=BB263_18 Depth=2
	s_wait_xcnt 0x0
	s_or_b32 exec_lo, exec_lo, s22
	v_add_nc_u64_e32 v[6:7], 64, v[6:7]
	v_add_nc_u64_e32 v[8:9], 0x200, v[8:9]
	v_add_nc_u64_e32 v[10:11], 0x80, v[10:11]
	s_delay_alu instid0(VALU_DEP_3) | instskip(SKIP_1) | instid1(SALU_CYCLE_1)
	v_cmp_ge_i64_e32 vcc_lo, v[6:7], v[4:5]
	s_or_b32 s7, vcc_lo, s7
	s_and_not1_b32 exec_lo, exec_lo, s7
	s_cbranch_execz .LBB263_14
.LBB263_18:                             ;   Parent Loop BB263_15 Depth=1
                                        ; =>  This Inner Loop Header: Depth=2
	global_load_b64 v[12:13], v[8:9], off
	s_mov_b32 s22, exec_lo
	s_wait_loadcnt 0x0
	v_sub_nc_u64_e64 v[12:13], v[12:13], s[2:3]
	s_wait_xcnt 0x0
	s_delay_alu instid0(VALU_DEP_1)
	v_cmpx_ne_u64_e64 v[12:13], v[2:3]
	s_cbranch_execz .LBB263_17
; %bb.19:                               ;   in Loop: Header=BB263_18 Depth=2
	global_load_u16 v15, v[10:11], off
	v_lshl_add_u64 v[12:13], v[12:13], 2, s[18:19]
	s_wait_loadcnt 0x0
	v_lshlrev_b32_e32 v15, 16, v15
	s_delay_alu instid0(VALU_DEP_1)
	v_mul_f32_e32 v15, v14, v15
	s_wait_xcnt 0x0
	global_atomic_add_f32 v[12:13], v15, off scope:SCOPE_DEV
	s_branch .LBB263_17
.LBB263_20:
	s_endpgm
	.section	.rodata,"a",@progbits
	.p2align	6, 0x0
	.amdhsa_kernel _ZN9rocsparseL21csrmvt_general_kernelILj256ELj64Ell18rocsparse_bfloat16S1_ffEEvbbT2_NS_24const_host_device_scalarIT6_EEPKT1_S8_PKS2_PKT3_PKT4_PT5_21rocsparse_index_base_b
		.amdhsa_group_segment_fixed_size 0
		.amdhsa_private_segment_fixed_size 0
		.amdhsa_kernarg_size 336
		.amdhsa_user_sgpr_count 2
		.amdhsa_user_sgpr_dispatch_ptr 0
		.amdhsa_user_sgpr_queue_ptr 0
		.amdhsa_user_sgpr_kernarg_segment_ptr 1
		.amdhsa_user_sgpr_dispatch_id 0
		.amdhsa_user_sgpr_kernarg_preload_length 0
		.amdhsa_user_sgpr_kernarg_preload_offset 0
		.amdhsa_user_sgpr_private_segment_size 0
		.amdhsa_wavefront_size32 1
		.amdhsa_uses_dynamic_stack 0
		.amdhsa_enable_private_segment 0
		.amdhsa_system_sgpr_workgroup_id_x 1
		.amdhsa_system_sgpr_workgroup_id_y 0
		.amdhsa_system_sgpr_workgroup_id_z 0
		.amdhsa_system_sgpr_workgroup_info 0
		.amdhsa_system_vgpr_workitem_id 0
		.amdhsa_next_free_vgpr 19
		.amdhsa_next_free_sgpr 24
		.amdhsa_named_barrier_count 0
		.amdhsa_reserve_vcc 1
		.amdhsa_float_round_mode_32 0
		.amdhsa_float_round_mode_16_64 0
		.amdhsa_float_denorm_mode_32 3
		.amdhsa_float_denorm_mode_16_64 3
		.amdhsa_fp16_overflow 0
		.amdhsa_memory_ordered 1
		.amdhsa_forward_progress 1
		.amdhsa_inst_pref_size 8
		.amdhsa_round_robin_scheduling 0
		.amdhsa_exception_fp_ieee_invalid_op 0
		.amdhsa_exception_fp_denorm_src 0
		.amdhsa_exception_fp_ieee_div_zero 0
		.amdhsa_exception_fp_ieee_overflow 0
		.amdhsa_exception_fp_ieee_underflow 0
		.amdhsa_exception_fp_ieee_inexact 0
		.amdhsa_exception_int_div_zero 0
	.end_amdhsa_kernel
	.section	.text._ZN9rocsparseL21csrmvt_general_kernelILj256ELj64Ell18rocsparse_bfloat16S1_ffEEvbbT2_NS_24const_host_device_scalarIT6_EEPKT1_S8_PKS2_PKT3_PKT4_PT5_21rocsparse_index_base_b,"axG",@progbits,_ZN9rocsparseL21csrmvt_general_kernelILj256ELj64Ell18rocsparse_bfloat16S1_ffEEvbbT2_NS_24const_host_device_scalarIT6_EEPKT1_S8_PKS2_PKT3_PKT4_PT5_21rocsparse_index_base_b,comdat
.Lfunc_end263:
	.size	_ZN9rocsparseL21csrmvt_general_kernelILj256ELj64Ell18rocsparse_bfloat16S1_ffEEvbbT2_NS_24const_host_device_scalarIT6_EEPKT1_S8_PKS2_PKT3_PKT4_PT5_21rocsparse_index_base_b, .Lfunc_end263-_ZN9rocsparseL21csrmvt_general_kernelILj256ELj64Ell18rocsparse_bfloat16S1_ffEEvbbT2_NS_24const_host_device_scalarIT6_EEPKT1_S8_PKS2_PKT3_PKT4_PT5_21rocsparse_index_base_b
                                        ; -- End function
	.set _ZN9rocsparseL21csrmvt_general_kernelILj256ELj64Ell18rocsparse_bfloat16S1_ffEEvbbT2_NS_24const_host_device_scalarIT6_EEPKT1_S8_PKS2_PKT3_PKT4_PT5_21rocsparse_index_base_b.num_vgpr, 19
	.set _ZN9rocsparseL21csrmvt_general_kernelILj256ELj64Ell18rocsparse_bfloat16S1_ffEEvbbT2_NS_24const_host_device_scalarIT6_EEPKT1_S8_PKS2_PKT3_PKT4_PT5_21rocsparse_index_base_b.num_agpr, 0
	.set _ZN9rocsparseL21csrmvt_general_kernelILj256ELj64Ell18rocsparse_bfloat16S1_ffEEvbbT2_NS_24const_host_device_scalarIT6_EEPKT1_S8_PKS2_PKT3_PKT4_PT5_21rocsparse_index_base_b.numbered_sgpr, 24
	.set _ZN9rocsparseL21csrmvt_general_kernelILj256ELj64Ell18rocsparse_bfloat16S1_ffEEvbbT2_NS_24const_host_device_scalarIT6_EEPKT1_S8_PKS2_PKT3_PKT4_PT5_21rocsparse_index_base_b.num_named_barrier, 0
	.set _ZN9rocsparseL21csrmvt_general_kernelILj256ELj64Ell18rocsparse_bfloat16S1_ffEEvbbT2_NS_24const_host_device_scalarIT6_EEPKT1_S8_PKS2_PKT3_PKT4_PT5_21rocsparse_index_base_b.private_seg_size, 0
	.set _ZN9rocsparseL21csrmvt_general_kernelILj256ELj64Ell18rocsparse_bfloat16S1_ffEEvbbT2_NS_24const_host_device_scalarIT6_EEPKT1_S8_PKS2_PKT3_PKT4_PT5_21rocsparse_index_base_b.uses_vcc, 1
	.set _ZN9rocsparseL21csrmvt_general_kernelILj256ELj64Ell18rocsparse_bfloat16S1_ffEEvbbT2_NS_24const_host_device_scalarIT6_EEPKT1_S8_PKS2_PKT3_PKT4_PT5_21rocsparse_index_base_b.uses_flat_scratch, 0
	.set _ZN9rocsparseL21csrmvt_general_kernelILj256ELj64Ell18rocsparse_bfloat16S1_ffEEvbbT2_NS_24const_host_device_scalarIT6_EEPKT1_S8_PKS2_PKT3_PKT4_PT5_21rocsparse_index_base_b.has_dyn_sized_stack, 0
	.set _ZN9rocsparseL21csrmvt_general_kernelILj256ELj64Ell18rocsparse_bfloat16S1_ffEEvbbT2_NS_24const_host_device_scalarIT6_EEPKT1_S8_PKS2_PKT3_PKT4_PT5_21rocsparse_index_base_b.has_recursion, 0
	.set _ZN9rocsparseL21csrmvt_general_kernelILj256ELj64Ell18rocsparse_bfloat16S1_ffEEvbbT2_NS_24const_host_device_scalarIT6_EEPKT1_S8_PKS2_PKT3_PKT4_PT5_21rocsparse_index_base_b.has_indirect_call, 0
	.section	.AMDGPU.csdata,"",@progbits
; Kernel info:
; codeLenInByte = 928
; TotalNumSgprs: 26
; NumVgprs: 19
; ScratchSize: 0
; MemoryBound: 0
; FloatMode: 240
; IeeeMode: 1
; LDSByteSize: 0 bytes/workgroup (compile time only)
; SGPRBlocks: 0
; VGPRBlocks: 1
; NumSGPRsForWavesPerEU: 26
; NumVGPRsForWavesPerEU: 19
; NamedBarCnt: 0
; Occupancy: 16
; WaveLimiterHint : 1
; COMPUTE_PGM_RSRC2:SCRATCH_EN: 0
; COMPUTE_PGM_RSRC2:USER_SGPR: 2
; COMPUTE_PGM_RSRC2:TRAP_HANDLER: 0
; COMPUTE_PGM_RSRC2:TGID_X_EN: 1
; COMPUTE_PGM_RSRC2:TGID_Y_EN: 0
; COMPUTE_PGM_RSRC2:TGID_Z_EN: 0
; COMPUTE_PGM_RSRC2:TIDIG_COMP_CNT: 0
	.section	.text._ZN9rocsparseL21csrmvn_general_kernelILj256ELj2Eiif21rocsparse_complex_numIfES2_S2_EEvbT2_NS_24const_host_device_scalarIT6_EEPKT1_S9_PKS3_PKT3_PKT4_S6_PT5_21rocsparse_index_base_b,"axG",@progbits,_ZN9rocsparseL21csrmvn_general_kernelILj256ELj2Eiif21rocsparse_complex_numIfES2_S2_EEvbT2_NS_24const_host_device_scalarIT6_EEPKT1_S9_PKS3_PKT3_PKT4_S6_PT5_21rocsparse_index_base_b,comdat
	.globl	_ZN9rocsparseL21csrmvn_general_kernelILj256ELj2Eiif21rocsparse_complex_numIfES2_S2_EEvbT2_NS_24const_host_device_scalarIT6_EEPKT1_S9_PKS3_PKT3_PKT4_S6_PT5_21rocsparse_index_base_b ; -- Begin function _ZN9rocsparseL21csrmvn_general_kernelILj256ELj2Eiif21rocsparse_complex_numIfES2_S2_EEvbT2_NS_24const_host_device_scalarIT6_EEPKT1_S9_PKS3_PKT3_PKT4_S6_PT5_21rocsparse_index_base_b
	.p2align	8
	.type	_ZN9rocsparseL21csrmvn_general_kernelILj256ELj2Eiif21rocsparse_complex_numIfES2_S2_EEvbT2_NS_24const_host_device_scalarIT6_EEPKT1_S9_PKS3_PKT3_PKT4_S6_PT5_21rocsparse_index_base_b,@function
_ZN9rocsparseL21csrmvn_general_kernelILj256ELj2Eiif21rocsparse_complex_numIfES2_S2_EEvbT2_NS_24const_host_device_scalarIT6_EEPKT1_S9_PKS3_PKT3_PKT4_S6_PT5_21rocsparse_index_base_b: ; @_ZN9rocsparseL21csrmvn_general_kernelILj256ELj2Eiif21rocsparse_complex_numIfES2_S2_EEvbT2_NS_24const_host_device_scalarIT6_EEPKT1_S9_PKS3_PKT3_PKT4_S6_PT5_21rocsparse_index_base_b
; %bb.0:
	s_clause 0x2
	s_load_b64 s[16:17], s[0:1], 0x48
	s_load_b128 s[12:15], s[0:1], 0x8
	s_load_b64 s[2:3], s[0:1], 0x38
	v_mov_b32_e32 v1, 0
	s_add_nc_u64 s[4:5], s[0:1], 8
	s_add_nc_u64 s[6:7], s[0:1], 56
	s_wait_kmcnt 0x0
	s_bitcmp1_b32 s17, 0
	s_cselect_b32 s5, s5, s13
	s_cselect_b32 s4, s4, s12
	;; [unrolled: 1-line block ×4, first 2 shown]
	s_clause 0x1
	flat_load_b64 v[2:3], v1, s[4:5]
	flat_load_b64 v[4:5], v1, s[2:3]
	s_wait_loadcnt_dscnt 0x101
	v_cmp_neq_f32_e32 vcc_lo, 0, v2
	s_wait_xcnt 0x0
	v_cmp_neq_f32_e64 s2, 0, v3
	s_wait_loadcnt_dscnt 0x0
	v_cmp_neq_f32_e64 s3, 1.0, v4
	v_cmp_neq_f32_e64 s4, 0, v5
	s_or_b32 s2, vcc_lo, s2
	s_or_b32 s3, s3, s4
	s_delay_alu instid0(SALU_CYCLE_1) | instskip(NEXT) | instid1(SALU_CYCLE_1)
	s_or_b32 s2, s2, s3
	s_and_saveexec_b32 s3, s2
	s_cbranch_execz .LBB264_12
; %bb.1:
	s_bfe_u32 s2, ttmp6, 0x4000c
	s_load_b32 s12, s[0:1], 0x4
	s_add_co_i32 s2, s2, 1
	s_and_b32 s3, ttmp6, 15
	s_mul_i32 s2, ttmp9, s2
	s_getreg_b32 s4, hwreg(HW_REG_IB_STS2, 6, 4)
	s_add_co_i32 s3, s3, s2
	s_cmp_eq_u32 s4, 0
	s_cselect_b32 s2, ttmp9, s3
	s_delay_alu instid0(SALU_CYCLE_1) | instskip(NEXT) | instid1(VALU_DEP_1)
	v_lshl_or_b32 v1, s2, 8, v0
	v_lshrrev_b32_e32 v6, 1, v1
	s_wait_kmcnt 0x0
	s_delay_alu instid0(VALU_DEP_1)
	v_cmp_gt_i32_e32 vcc_lo, s12, v6
	s_and_b32 exec_lo, exec_lo, vcc_lo
	s_cbranch_execz .LBB264_12
; %bb.2:
	v_mov_b64_e32 v[8:9], 0x8000000000000000
	v_mbcnt_lo_u32_b32 v1, -1, 0
	s_clause 0x2
	s_load_b32 s13, s[0:1], 0x50
	s_load_b64 s[2:3], s[0:1], 0x40
	s_load_b256 s[4:11], s[0:1], 0x18
	s_wait_xcnt 0x0
	v_cmp_neq_f32_e64 s0, 0, v4
	v_cmp_neq_f32_e64 s1, 0, v5
	s_ashr_i32 s17, s16, 31
	s_delay_alu instid0(SALU_CYCLE_1)
	s_lshl_b64 s[18:19], s[16:17], 3
	v_pk_mul_f32 v[10:11], v[2:3], v[8:9]
	v_xor_b32_e32 v12, 1, v1
	v_and_b32_e32 v7, 1, v0
	v_xor_b32_e32 v0, 0x80000000, v5
	s_mov_b32 s17, 0
	v_mov_b32_e32 v9, v10
	v_cmp_gt_i32_e32 vcc_lo, 32, v12
	v_mov_b32_e32 v8, v11
	v_subrev_nc_u32_e32 v14, s16, v7
	s_or_b32 s1, s0, s1
	v_cndmask_b32_e32 v1, v1, v12, vcc_lo
	s_wait_kmcnt 0x0
	s_lshl_b32 s13, s13, 7
	v_cmp_eq_u32_e32 vcc_lo, 1, v7
	s_sub_nc_u64 s[10:11], s[10:11], s[18:19]
	v_dual_lshlrev_b32 v15, 2, v1 :: v_dual_mov_b32 v1, v4
	s_branch .LBB264_5
.LBB264_3:                              ;   in Loop: Header=BB264_5 Depth=1
	s_wait_xcnt 0x0
	s_or_b32 exec_lo, exec_lo, s18
	global_store_b64 v[10:11], v[12:13], off
.LBB264_4:                              ;   in Loop: Header=BB264_5 Depth=1
	s_wait_xcnt 0x0
	s_or_b32 exec_lo, exec_lo, s0
	v_add_nc_u32_e32 v6, s13, v6
	s_delay_alu instid0(VALU_DEP_1) | instskip(SKIP_1) | instid1(SALU_CYCLE_1)
	v_cmp_le_i32_e64 s0, s12, v6
	s_or_b32 s17, s0, s17
	s_and_not1_b32 exec_lo, exec_lo, s17
	s_cbranch_execz .LBB264_12
.LBB264_5:                              ; =>This Loop Header: Depth=1
                                        ;     Child Loop BB264_7 Depth 2
	s_clause 0x1
	global_load_b32 v7, v6, s[4:5] scale_offset
	global_load_b32 v10, v6, s[14:15] scale_offset
	s_mov_b32 s18, exec_lo
	v_mov_b32_e32 v11, 0
	s_wait_loadcnt 0x1
	v_subrev_nc_u32_e32 v7, s16, v7
	s_wait_loadcnt_dscnt 0x1
	s_delay_alu instid0(VALU_DEP_2) | instskip(SKIP_1) | instid1(VALU_DEP_1)
	v_dual_add_nc_u32 v12, v10, v14 :: v_dual_mov_b32 v10, v11
	s_wait_xcnt 0x0
	v_cmpx_lt_i32_e64 v12, v7
	s_cbranch_execz .LBB264_9
; %bb.6:                                ;   in Loop: Header=BB264_5 Depth=1
	v_mov_b32_e32 v10, 0
	s_mov_b32 s19, 0
	s_delay_alu instid0(VALU_DEP_1)
	v_mov_b32_e32 v11, v10
.LBB264_7:                              ;   Parent Loop BB264_5 Depth=1
                                        ; =>  This Inner Loop Header: Depth=2
	s_wait_dscnt 0x0
	s_clause 0x1
	global_load_b32 v13, v12, s[6:7] scale_offset
	global_load_b32 v16, v12, s[8:9] scale_offset
	s_wait_xcnt 0x0
	v_add_nc_u32_e32 v12, 2, v12
	s_delay_alu instid0(VALU_DEP_1)
	v_cmp_ge_i32_e64 s0, v12, v7
	s_or_b32 s19, s0, s19
	s_wait_loadcnt 0x1
	global_load_b64 v[18:19], v13, s[10:11] scale_offset
	s_wait_loadcnt 0x1
	v_pk_fma_f32 v[16:17], v[2:3], v[16:17], v[8:9] op_sel_hi:[1,0,1]
	s_wait_loadcnt 0x0
	s_delay_alu instid0(VALU_DEP_1) | instskip(NEXT) | instid1(VALU_DEP_1)
	v_pk_fma_f32 v[10:11], v[16:17], v[18:19], v[10:11] op_sel_hi:[1,0,1]
	v_pk_fma_f32 v[10:11], v[16:17], v[18:19], v[10:11] op_sel:[1,1,0] op_sel_hi:[0,1,1] neg_lo:[1,0,0]
	s_wait_xcnt 0x0
	s_and_not1_b32 exec_lo, exec_lo, s19
	s_cbranch_execnz .LBB264_7
; %bb.8:                                ;   in Loop: Header=BB264_5 Depth=1
	s_or_b32 exec_lo, exec_lo, s19
.LBB264_9:                              ;   in Loop: Header=BB264_5 Depth=1
	s_delay_alu instid0(SALU_CYCLE_1)
	s_or_b32 exec_lo, exec_lo, s18
	ds_bpermute_b32 v12, v15, v10
	s_wait_dscnt 0x1
	ds_bpermute_b32 v13, v15, v11
	v_ashrrev_i32_e32 v7, 31, v6
	s_and_saveexec_b32 s0, vcc_lo
	s_cbranch_execz .LBB264_4
; %bb.10:                               ;   in Loop: Header=BB264_5 Depth=1
	s_wait_dscnt 0x0
	v_pk_add_f32 v[12:13], v[10:11], v[12:13]
	v_lshl_add_u64 v[10:11], v[6:7], 3, s[2:3]
	s_and_saveexec_b32 s18, s1
	s_cbranch_execz .LBB264_3
; %bb.11:                               ;   in Loop: Header=BB264_5 Depth=1
	global_load_b64 v[16:17], v[10:11], off
	s_wait_loadcnt 0x0
	v_pk_fma_f32 v[12:13], v[4:5], v[16:17], v[12:13] op_sel_hi:[1,0,1]
	s_delay_alu instid0(VALU_DEP_1)
	v_pk_fma_f32 v[12:13], v[0:1], v[16:17], v[12:13] op_sel:[0,1,0]
	s_branch .LBB264_3
.LBB264_12:
	s_endpgm
	.section	.rodata,"a",@progbits
	.p2align	6, 0x0
	.amdhsa_kernel _ZN9rocsparseL21csrmvn_general_kernelILj256ELj2Eiif21rocsparse_complex_numIfES2_S2_EEvbT2_NS_24const_host_device_scalarIT6_EEPKT1_S9_PKS3_PKT3_PKT4_S6_PT5_21rocsparse_index_base_b
		.amdhsa_group_segment_fixed_size 0
		.amdhsa_private_segment_fixed_size 0
		.amdhsa_kernarg_size 336
		.amdhsa_user_sgpr_count 2
		.amdhsa_user_sgpr_dispatch_ptr 0
		.amdhsa_user_sgpr_queue_ptr 0
		.amdhsa_user_sgpr_kernarg_segment_ptr 1
		.amdhsa_user_sgpr_dispatch_id 0
		.amdhsa_user_sgpr_kernarg_preload_length 0
		.amdhsa_user_sgpr_kernarg_preload_offset 0
		.amdhsa_user_sgpr_private_segment_size 0
		.amdhsa_wavefront_size32 1
		.amdhsa_uses_dynamic_stack 0
		.amdhsa_enable_private_segment 0
		.amdhsa_system_sgpr_workgroup_id_x 1
		.amdhsa_system_sgpr_workgroup_id_y 0
		.amdhsa_system_sgpr_workgroup_id_z 0
		.amdhsa_system_sgpr_workgroup_info 0
		.amdhsa_system_vgpr_workitem_id 0
		.amdhsa_next_free_vgpr 20
		.amdhsa_next_free_sgpr 20
		.amdhsa_named_barrier_count 0
		.amdhsa_reserve_vcc 1
		.amdhsa_float_round_mode_32 0
		.amdhsa_float_round_mode_16_64 0
		.amdhsa_float_denorm_mode_32 3
		.amdhsa_float_denorm_mode_16_64 3
		.amdhsa_fp16_overflow 0
		.amdhsa_memory_ordered 1
		.amdhsa_forward_progress 1
		.amdhsa_inst_pref_size 7
		.amdhsa_round_robin_scheduling 0
		.amdhsa_exception_fp_ieee_invalid_op 0
		.amdhsa_exception_fp_denorm_src 0
		.amdhsa_exception_fp_ieee_div_zero 0
		.amdhsa_exception_fp_ieee_overflow 0
		.amdhsa_exception_fp_ieee_underflow 0
		.amdhsa_exception_fp_ieee_inexact 0
		.amdhsa_exception_int_div_zero 0
	.end_amdhsa_kernel
	.section	.text._ZN9rocsparseL21csrmvn_general_kernelILj256ELj2Eiif21rocsparse_complex_numIfES2_S2_EEvbT2_NS_24const_host_device_scalarIT6_EEPKT1_S9_PKS3_PKT3_PKT4_S6_PT5_21rocsparse_index_base_b,"axG",@progbits,_ZN9rocsparseL21csrmvn_general_kernelILj256ELj2Eiif21rocsparse_complex_numIfES2_S2_EEvbT2_NS_24const_host_device_scalarIT6_EEPKT1_S9_PKS3_PKT3_PKT4_S6_PT5_21rocsparse_index_base_b,comdat
.Lfunc_end264:
	.size	_ZN9rocsparseL21csrmvn_general_kernelILj256ELj2Eiif21rocsparse_complex_numIfES2_S2_EEvbT2_NS_24const_host_device_scalarIT6_EEPKT1_S9_PKS3_PKT3_PKT4_S6_PT5_21rocsparse_index_base_b, .Lfunc_end264-_ZN9rocsparseL21csrmvn_general_kernelILj256ELj2Eiif21rocsparse_complex_numIfES2_S2_EEvbT2_NS_24const_host_device_scalarIT6_EEPKT1_S9_PKS3_PKT3_PKT4_S6_PT5_21rocsparse_index_base_b
                                        ; -- End function
	.set _ZN9rocsparseL21csrmvn_general_kernelILj256ELj2Eiif21rocsparse_complex_numIfES2_S2_EEvbT2_NS_24const_host_device_scalarIT6_EEPKT1_S9_PKS3_PKT3_PKT4_S6_PT5_21rocsparse_index_base_b.num_vgpr, 20
	.set _ZN9rocsparseL21csrmvn_general_kernelILj256ELj2Eiif21rocsparse_complex_numIfES2_S2_EEvbT2_NS_24const_host_device_scalarIT6_EEPKT1_S9_PKS3_PKT3_PKT4_S6_PT5_21rocsparse_index_base_b.num_agpr, 0
	.set _ZN9rocsparseL21csrmvn_general_kernelILj256ELj2Eiif21rocsparse_complex_numIfES2_S2_EEvbT2_NS_24const_host_device_scalarIT6_EEPKT1_S9_PKS3_PKT3_PKT4_S6_PT5_21rocsparse_index_base_b.numbered_sgpr, 20
	.set _ZN9rocsparseL21csrmvn_general_kernelILj256ELj2Eiif21rocsparse_complex_numIfES2_S2_EEvbT2_NS_24const_host_device_scalarIT6_EEPKT1_S9_PKS3_PKT3_PKT4_S6_PT5_21rocsparse_index_base_b.num_named_barrier, 0
	.set _ZN9rocsparseL21csrmvn_general_kernelILj256ELj2Eiif21rocsparse_complex_numIfES2_S2_EEvbT2_NS_24const_host_device_scalarIT6_EEPKT1_S9_PKS3_PKT3_PKT4_S6_PT5_21rocsparse_index_base_b.private_seg_size, 0
	.set _ZN9rocsparseL21csrmvn_general_kernelILj256ELj2Eiif21rocsparse_complex_numIfES2_S2_EEvbT2_NS_24const_host_device_scalarIT6_EEPKT1_S9_PKS3_PKT3_PKT4_S6_PT5_21rocsparse_index_base_b.uses_vcc, 1
	.set _ZN9rocsparseL21csrmvn_general_kernelILj256ELj2Eiif21rocsparse_complex_numIfES2_S2_EEvbT2_NS_24const_host_device_scalarIT6_EEPKT1_S9_PKS3_PKT3_PKT4_S6_PT5_21rocsparse_index_base_b.uses_flat_scratch, 1
	.set _ZN9rocsparseL21csrmvn_general_kernelILj256ELj2Eiif21rocsparse_complex_numIfES2_S2_EEvbT2_NS_24const_host_device_scalarIT6_EEPKT1_S9_PKS3_PKT3_PKT4_S6_PT5_21rocsparse_index_base_b.has_dyn_sized_stack, 0
	.set _ZN9rocsparseL21csrmvn_general_kernelILj256ELj2Eiif21rocsparse_complex_numIfES2_S2_EEvbT2_NS_24const_host_device_scalarIT6_EEPKT1_S9_PKS3_PKT3_PKT4_S6_PT5_21rocsparse_index_base_b.has_recursion, 0
	.set _ZN9rocsparseL21csrmvn_general_kernelILj256ELj2Eiif21rocsparse_complex_numIfES2_S2_EEvbT2_NS_24const_host_device_scalarIT6_EEPKT1_S9_PKS3_PKT3_PKT4_S6_PT5_21rocsparse_index_base_b.has_indirect_call, 0
	.section	.AMDGPU.csdata,"",@progbits
; Kernel info:
; codeLenInByte = 788
; TotalNumSgprs: 22
; NumVgprs: 20
; ScratchSize: 0
; MemoryBound: 0
; FloatMode: 240
; IeeeMode: 1
; LDSByteSize: 0 bytes/workgroup (compile time only)
; SGPRBlocks: 0
; VGPRBlocks: 1
; NumSGPRsForWavesPerEU: 22
; NumVGPRsForWavesPerEU: 20
; NamedBarCnt: 0
; Occupancy: 16
; WaveLimiterHint : 1
; COMPUTE_PGM_RSRC2:SCRATCH_EN: 0
; COMPUTE_PGM_RSRC2:USER_SGPR: 2
; COMPUTE_PGM_RSRC2:TRAP_HANDLER: 0
; COMPUTE_PGM_RSRC2:TGID_X_EN: 1
; COMPUTE_PGM_RSRC2:TGID_Y_EN: 0
; COMPUTE_PGM_RSRC2:TGID_Z_EN: 0
; COMPUTE_PGM_RSRC2:TIDIG_COMP_CNT: 0
	.section	.text._ZN9rocsparseL21csrmvn_general_kernelILj256ELj4Eiif21rocsparse_complex_numIfES2_S2_EEvbT2_NS_24const_host_device_scalarIT6_EEPKT1_S9_PKS3_PKT3_PKT4_S6_PT5_21rocsparse_index_base_b,"axG",@progbits,_ZN9rocsparseL21csrmvn_general_kernelILj256ELj4Eiif21rocsparse_complex_numIfES2_S2_EEvbT2_NS_24const_host_device_scalarIT6_EEPKT1_S9_PKS3_PKT3_PKT4_S6_PT5_21rocsparse_index_base_b,comdat
	.globl	_ZN9rocsparseL21csrmvn_general_kernelILj256ELj4Eiif21rocsparse_complex_numIfES2_S2_EEvbT2_NS_24const_host_device_scalarIT6_EEPKT1_S9_PKS3_PKT3_PKT4_S6_PT5_21rocsparse_index_base_b ; -- Begin function _ZN9rocsparseL21csrmvn_general_kernelILj256ELj4Eiif21rocsparse_complex_numIfES2_S2_EEvbT2_NS_24const_host_device_scalarIT6_EEPKT1_S9_PKS3_PKT3_PKT4_S6_PT5_21rocsparse_index_base_b
	.p2align	8
	.type	_ZN9rocsparseL21csrmvn_general_kernelILj256ELj4Eiif21rocsparse_complex_numIfES2_S2_EEvbT2_NS_24const_host_device_scalarIT6_EEPKT1_S9_PKS3_PKT3_PKT4_S6_PT5_21rocsparse_index_base_b,@function
_ZN9rocsparseL21csrmvn_general_kernelILj256ELj4Eiif21rocsparse_complex_numIfES2_S2_EEvbT2_NS_24const_host_device_scalarIT6_EEPKT1_S9_PKS3_PKT3_PKT4_S6_PT5_21rocsparse_index_base_b: ; @_ZN9rocsparseL21csrmvn_general_kernelILj256ELj4Eiif21rocsparse_complex_numIfES2_S2_EEvbT2_NS_24const_host_device_scalarIT6_EEPKT1_S9_PKS3_PKT3_PKT4_S6_PT5_21rocsparse_index_base_b
; %bb.0:
	s_clause 0x2
	s_load_b64 s[16:17], s[0:1], 0x48
	s_load_b128 s[12:15], s[0:1], 0x8
	s_load_b64 s[2:3], s[0:1], 0x38
	v_mov_b32_e32 v1, 0
	s_add_nc_u64 s[4:5], s[0:1], 8
	s_add_nc_u64 s[6:7], s[0:1], 56
	s_wait_kmcnt 0x0
	s_bitcmp1_b32 s17, 0
	s_cselect_b32 s5, s5, s13
	s_cselect_b32 s4, s4, s12
	;; [unrolled: 1-line block ×4, first 2 shown]
	s_clause 0x1
	flat_load_b64 v[2:3], v1, s[4:5]
	flat_load_b64 v[4:5], v1, s[2:3]
	s_wait_loadcnt_dscnt 0x101
	v_cmp_neq_f32_e32 vcc_lo, 0, v2
	s_wait_xcnt 0x0
	v_cmp_neq_f32_e64 s2, 0, v3
	s_wait_loadcnt_dscnt 0x0
	v_cmp_neq_f32_e64 s3, 1.0, v4
	v_cmp_neq_f32_e64 s4, 0, v5
	s_or_b32 s2, vcc_lo, s2
	s_or_b32 s3, s3, s4
	s_delay_alu instid0(SALU_CYCLE_1) | instskip(NEXT) | instid1(SALU_CYCLE_1)
	s_or_b32 s2, s2, s3
	s_and_saveexec_b32 s3, s2
	s_cbranch_execz .LBB265_12
; %bb.1:
	s_bfe_u32 s2, ttmp6, 0x4000c
	s_load_b32 s12, s[0:1], 0x4
	s_add_co_i32 s2, s2, 1
	s_and_b32 s3, ttmp6, 15
	s_mul_i32 s2, ttmp9, s2
	s_getreg_b32 s4, hwreg(HW_REG_IB_STS2, 6, 4)
	s_add_co_i32 s3, s3, s2
	s_cmp_eq_u32 s4, 0
	s_cselect_b32 s2, ttmp9, s3
	s_delay_alu instid0(SALU_CYCLE_1) | instskip(NEXT) | instid1(VALU_DEP_1)
	v_lshl_or_b32 v1, s2, 8, v0
	v_lshrrev_b32_e32 v6, 2, v1
	s_wait_kmcnt 0x0
	s_delay_alu instid0(VALU_DEP_1)
	v_cmp_gt_i32_e32 vcc_lo, s12, v6
	s_and_b32 exec_lo, exec_lo, vcc_lo
	s_cbranch_execz .LBB265_12
; %bb.2:
	v_mov_b64_e32 v[8:9], 0x8000000000000000
	v_mbcnt_lo_u32_b32 v1, -1, 0
	v_and_b32_e32 v7, 3, v0
	s_clause 0x2
	s_load_b32 s13, s[0:1], 0x50
	s_load_b64 s[2:3], s[0:1], 0x40
	s_load_b256 s[4:11], s[0:1], 0x18
	s_wait_xcnt 0x0
	v_cmp_neq_f32_e64 s0, 0, v4
	v_pk_mul_f32 v[8:9], v[2:3], v[8:9]
	v_xor_b32_e32 v10, 1, v1
	v_xor_b32_e32 v0, 2, v1
	v_cmp_neq_f32_e64 s1, 0, v5
	s_ashr_i32 s17, s16, 31
	s_delay_alu instid0(SALU_CYCLE_1)
	s_lshl_b64 s[18:19], s[16:17], 3
	v_cmp_gt_i32_e32 vcc_lo, 32, v0
	s_mov_b32 s17, 0
	s_or_b32 s1, s0, s1
	v_cndmask_b32_e32 v11, v1, v0, vcc_lo
	v_mov_b32_e32 v0, v9
	v_cmp_gt_i32_e32 vcc_lo, 32, v10
	v_subrev_nc_u32_e32 v14, s16, v7
	s_wait_kmcnt 0x0
	s_lshl_b32 s13, s13, 6
	v_lshlrev_b32_e32 v15, 2, v11
	s_sub_nc_u64 s[10:11], s[10:11], s[18:19]
	v_dual_cndmask_b32 v10, v1, v10 :: v_dual_mov_b32 v1, v8
	v_xor_b32_e32 v8, 0x80000000, v5
	v_mov_b32_e32 v9, v4
	v_cmp_eq_u32_e32 vcc_lo, 3, v7
	s_delay_alu instid0(VALU_DEP_4)
	v_lshlrev_b32_e32 v16, 2, v10
	s_branch .LBB265_5
.LBB265_3:                              ;   in Loop: Header=BB265_5 Depth=1
	s_wait_xcnt 0x0
	s_or_b32 exec_lo, exec_lo, s18
	global_store_b64 v[10:11], v[12:13], off
.LBB265_4:                              ;   in Loop: Header=BB265_5 Depth=1
	s_wait_xcnt 0x0
	s_or_b32 exec_lo, exec_lo, s0
	v_add_nc_u32_e32 v6, s13, v6
	s_delay_alu instid0(VALU_DEP_1) | instskip(SKIP_1) | instid1(SALU_CYCLE_1)
	v_cmp_le_i32_e64 s0, s12, v6
	s_or_b32 s17, s0, s17
	s_and_not1_b32 exec_lo, exec_lo, s17
	s_cbranch_execz .LBB265_12
.LBB265_5:                              ; =>This Loop Header: Depth=1
                                        ;     Child Loop BB265_7 Depth 2
	s_clause 0x1
	global_load_b32 v7, v6, s[4:5] scale_offset
	global_load_b32 v10, v6, s[14:15] scale_offset
	s_mov_b32 s18, exec_lo
	v_mov_b32_e32 v11, 0
	s_wait_loadcnt 0x1
	v_subrev_nc_u32_e32 v7, s16, v7
	s_wait_loadcnt_dscnt 0x1
	s_delay_alu instid0(VALU_DEP_2) | instskip(SKIP_1) | instid1(VALU_DEP_1)
	v_dual_add_nc_u32 v12, v10, v14 :: v_dual_mov_b32 v10, v11
	s_wait_xcnt 0x0
	v_cmpx_lt_i32_e64 v12, v7
	s_cbranch_execz .LBB265_9
; %bb.6:                                ;   in Loop: Header=BB265_5 Depth=1
	v_mov_b32_e32 v10, 0
	s_mov_b32 s19, 0
	s_delay_alu instid0(VALU_DEP_1)
	v_mov_b32_e32 v11, v10
.LBB265_7:                              ;   Parent Loop BB265_5 Depth=1
                                        ; =>  This Inner Loop Header: Depth=2
	s_wait_dscnt 0x0
	s_clause 0x1
	global_load_b32 v13, v12, s[6:7] scale_offset
	global_load_b32 v18, v12, s[8:9] scale_offset
	s_wait_xcnt 0x0
	v_add_nc_u32_e32 v12, 4, v12
	s_delay_alu instid0(VALU_DEP_1)
	v_cmp_ge_i32_e64 s0, v12, v7
	s_or_b32 s19, s0, s19
	s_wait_loadcnt 0x1
	global_load_b64 v[20:21], v13, s[10:11] scale_offset
	s_wait_loadcnt 0x1
	v_pk_fma_f32 v[18:19], v[2:3], v[18:19], v[0:1] op_sel_hi:[1,0,1]
	s_wait_loadcnt 0x0
	s_delay_alu instid0(VALU_DEP_1) | instskip(NEXT) | instid1(VALU_DEP_1)
	v_pk_fma_f32 v[10:11], v[18:19], v[20:21], v[10:11] op_sel_hi:[1,0,1]
	v_pk_fma_f32 v[10:11], v[18:19], v[20:21], v[10:11] op_sel:[1,1,0] op_sel_hi:[0,1,1] neg_lo:[1,0,0]
	s_wait_xcnt 0x0
	s_and_not1_b32 exec_lo, exec_lo, s19
	s_cbranch_execnz .LBB265_7
; %bb.8:                                ;   in Loop: Header=BB265_5 Depth=1
	s_or_b32 exec_lo, exec_lo, s19
.LBB265_9:                              ;   in Loop: Header=BB265_5 Depth=1
	s_delay_alu instid0(SALU_CYCLE_1)
	s_or_b32 exec_lo, exec_lo, s18
	ds_bpermute_b32 v12, v15, v10
	s_wait_dscnt 0x1
	ds_bpermute_b32 v13, v15, v11
	v_ashrrev_i32_e32 v7, 31, v6
	s_wait_dscnt 0x0
	v_pk_add_f32 v[10:11], v[10:11], v[12:13]
	ds_bpermute_b32 v12, v16, v10
	ds_bpermute_b32 v13, v16, v11
	s_and_saveexec_b32 s0, vcc_lo
	s_cbranch_execz .LBB265_4
; %bb.10:                               ;   in Loop: Header=BB265_5 Depth=1
	s_wait_dscnt 0x0
	v_pk_add_f32 v[12:13], v[10:11], v[12:13]
	v_lshl_add_u64 v[10:11], v[6:7], 3, s[2:3]
	s_and_saveexec_b32 s18, s1
	s_cbranch_execz .LBB265_3
; %bb.11:                               ;   in Loop: Header=BB265_5 Depth=1
	global_load_b64 v[18:19], v[10:11], off
	s_wait_loadcnt 0x0
	v_pk_fma_f32 v[12:13], v[4:5], v[18:19], v[12:13] op_sel_hi:[1,0,1]
	s_delay_alu instid0(VALU_DEP_1)
	v_pk_fma_f32 v[12:13], v[8:9], v[18:19], v[12:13] op_sel:[0,1,0]
	s_branch .LBB265_3
.LBB265_12:
	s_endpgm
	.section	.rodata,"a",@progbits
	.p2align	6, 0x0
	.amdhsa_kernel _ZN9rocsparseL21csrmvn_general_kernelILj256ELj4Eiif21rocsparse_complex_numIfES2_S2_EEvbT2_NS_24const_host_device_scalarIT6_EEPKT1_S9_PKS3_PKT3_PKT4_S6_PT5_21rocsparse_index_base_b
		.amdhsa_group_segment_fixed_size 0
		.amdhsa_private_segment_fixed_size 0
		.amdhsa_kernarg_size 336
		.amdhsa_user_sgpr_count 2
		.amdhsa_user_sgpr_dispatch_ptr 0
		.amdhsa_user_sgpr_queue_ptr 0
		.amdhsa_user_sgpr_kernarg_segment_ptr 1
		.amdhsa_user_sgpr_dispatch_id 0
		.amdhsa_user_sgpr_kernarg_preload_length 0
		.amdhsa_user_sgpr_kernarg_preload_offset 0
		.amdhsa_user_sgpr_private_segment_size 0
		.amdhsa_wavefront_size32 1
		.amdhsa_uses_dynamic_stack 0
		.amdhsa_enable_private_segment 0
		.amdhsa_system_sgpr_workgroup_id_x 1
		.amdhsa_system_sgpr_workgroup_id_y 0
		.amdhsa_system_sgpr_workgroup_id_z 0
		.amdhsa_system_sgpr_workgroup_info 0
		.amdhsa_system_vgpr_workitem_id 0
		.amdhsa_next_free_vgpr 22
		.amdhsa_next_free_sgpr 20
		.amdhsa_named_barrier_count 0
		.amdhsa_reserve_vcc 1
		.amdhsa_float_round_mode_32 0
		.amdhsa_float_round_mode_16_64 0
		.amdhsa_float_denorm_mode_32 3
		.amdhsa_float_denorm_mode_16_64 3
		.amdhsa_fp16_overflow 0
		.amdhsa_memory_ordered 1
		.amdhsa_forward_progress 1
		.amdhsa_inst_pref_size 7
		.amdhsa_round_robin_scheduling 0
		.amdhsa_exception_fp_ieee_invalid_op 0
		.amdhsa_exception_fp_denorm_src 0
		.amdhsa_exception_fp_ieee_div_zero 0
		.amdhsa_exception_fp_ieee_overflow 0
		.amdhsa_exception_fp_ieee_underflow 0
		.amdhsa_exception_fp_ieee_inexact 0
		.amdhsa_exception_int_div_zero 0
	.end_amdhsa_kernel
	.section	.text._ZN9rocsparseL21csrmvn_general_kernelILj256ELj4Eiif21rocsparse_complex_numIfES2_S2_EEvbT2_NS_24const_host_device_scalarIT6_EEPKT1_S9_PKS3_PKT3_PKT4_S6_PT5_21rocsparse_index_base_b,"axG",@progbits,_ZN9rocsparseL21csrmvn_general_kernelILj256ELj4Eiif21rocsparse_complex_numIfES2_S2_EEvbT2_NS_24const_host_device_scalarIT6_EEPKT1_S9_PKS3_PKT3_PKT4_S6_PT5_21rocsparse_index_base_b,comdat
.Lfunc_end265:
	.size	_ZN9rocsparseL21csrmvn_general_kernelILj256ELj4Eiif21rocsparse_complex_numIfES2_S2_EEvbT2_NS_24const_host_device_scalarIT6_EEPKT1_S9_PKS3_PKT3_PKT4_S6_PT5_21rocsparse_index_base_b, .Lfunc_end265-_ZN9rocsparseL21csrmvn_general_kernelILj256ELj4Eiif21rocsparse_complex_numIfES2_S2_EEvbT2_NS_24const_host_device_scalarIT6_EEPKT1_S9_PKS3_PKT3_PKT4_S6_PT5_21rocsparse_index_base_b
                                        ; -- End function
	.set _ZN9rocsparseL21csrmvn_general_kernelILj256ELj4Eiif21rocsparse_complex_numIfES2_S2_EEvbT2_NS_24const_host_device_scalarIT6_EEPKT1_S9_PKS3_PKT3_PKT4_S6_PT5_21rocsparse_index_base_b.num_vgpr, 22
	.set _ZN9rocsparseL21csrmvn_general_kernelILj256ELj4Eiif21rocsparse_complex_numIfES2_S2_EEvbT2_NS_24const_host_device_scalarIT6_EEPKT1_S9_PKS3_PKT3_PKT4_S6_PT5_21rocsparse_index_base_b.num_agpr, 0
	.set _ZN9rocsparseL21csrmvn_general_kernelILj256ELj4Eiif21rocsparse_complex_numIfES2_S2_EEvbT2_NS_24const_host_device_scalarIT6_EEPKT1_S9_PKS3_PKT3_PKT4_S6_PT5_21rocsparse_index_base_b.numbered_sgpr, 20
	.set _ZN9rocsparseL21csrmvn_general_kernelILj256ELj4Eiif21rocsparse_complex_numIfES2_S2_EEvbT2_NS_24const_host_device_scalarIT6_EEPKT1_S9_PKS3_PKT3_PKT4_S6_PT5_21rocsparse_index_base_b.num_named_barrier, 0
	.set _ZN9rocsparseL21csrmvn_general_kernelILj256ELj4Eiif21rocsparse_complex_numIfES2_S2_EEvbT2_NS_24const_host_device_scalarIT6_EEPKT1_S9_PKS3_PKT3_PKT4_S6_PT5_21rocsparse_index_base_b.private_seg_size, 0
	.set _ZN9rocsparseL21csrmvn_general_kernelILj256ELj4Eiif21rocsparse_complex_numIfES2_S2_EEvbT2_NS_24const_host_device_scalarIT6_EEPKT1_S9_PKS3_PKT3_PKT4_S6_PT5_21rocsparse_index_base_b.uses_vcc, 1
	.set _ZN9rocsparseL21csrmvn_general_kernelILj256ELj4Eiif21rocsparse_complex_numIfES2_S2_EEvbT2_NS_24const_host_device_scalarIT6_EEPKT1_S9_PKS3_PKT3_PKT4_S6_PT5_21rocsparse_index_base_b.uses_flat_scratch, 1
	.set _ZN9rocsparseL21csrmvn_general_kernelILj256ELj4Eiif21rocsparse_complex_numIfES2_S2_EEvbT2_NS_24const_host_device_scalarIT6_EEPKT1_S9_PKS3_PKT3_PKT4_S6_PT5_21rocsparse_index_base_b.has_dyn_sized_stack, 0
	.set _ZN9rocsparseL21csrmvn_general_kernelILj256ELj4Eiif21rocsparse_complex_numIfES2_S2_EEvbT2_NS_24const_host_device_scalarIT6_EEPKT1_S9_PKS3_PKT3_PKT4_S6_PT5_21rocsparse_index_base_b.has_recursion, 0
	.set _ZN9rocsparseL21csrmvn_general_kernelILj256ELj4Eiif21rocsparse_complex_numIfES2_S2_EEvbT2_NS_24const_host_device_scalarIT6_EEPKT1_S9_PKS3_PKT3_PKT4_S6_PT5_21rocsparse_index_base_b.has_indirect_call, 0
	.section	.AMDGPU.csdata,"",@progbits
; Kernel info:
; codeLenInByte = 832
; TotalNumSgprs: 22
; NumVgprs: 22
; ScratchSize: 0
; MemoryBound: 0
; FloatMode: 240
; IeeeMode: 1
; LDSByteSize: 0 bytes/workgroup (compile time only)
; SGPRBlocks: 0
; VGPRBlocks: 1
; NumSGPRsForWavesPerEU: 22
; NumVGPRsForWavesPerEU: 22
; NamedBarCnt: 0
; Occupancy: 16
; WaveLimiterHint : 1
; COMPUTE_PGM_RSRC2:SCRATCH_EN: 0
; COMPUTE_PGM_RSRC2:USER_SGPR: 2
; COMPUTE_PGM_RSRC2:TRAP_HANDLER: 0
; COMPUTE_PGM_RSRC2:TGID_X_EN: 1
; COMPUTE_PGM_RSRC2:TGID_Y_EN: 0
; COMPUTE_PGM_RSRC2:TGID_Z_EN: 0
; COMPUTE_PGM_RSRC2:TIDIG_COMP_CNT: 0
	.section	.text._ZN9rocsparseL21csrmvn_general_kernelILj256ELj8Eiif21rocsparse_complex_numIfES2_S2_EEvbT2_NS_24const_host_device_scalarIT6_EEPKT1_S9_PKS3_PKT3_PKT4_S6_PT5_21rocsparse_index_base_b,"axG",@progbits,_ZN9rocsparseL21csrmvn_general_kernelILj256ELj8Eiif21rocsparse_complex_numIfES2_S2_EEvbT2_NS_24const_host_device_scalarIT6_EEPKT1_S9_PKS3_PKT3_PKT4_S6_PT5_21rocsparse_index_base_b,comdat
	.globl	_ZN9rocsparseL21csrmvn_general_kernelILj256ELj8Eiif21rocsparse_complex_numIfES2_S2_EEvbT2_NS_24const_host_device_scalarIT6_EEPKT1_S9_PKS3_PKT3_PKT4_S6_PT5_21rocsparse_index_base_b ; -- Begin function _ZN9rocsparseL21csrmvn_general_kernelILj256ELj8Eiif21rocsparse_complex_numIfES2_S2_EEvbT2_NS_24const_host_device_scalarIT6_EEPKT1_S9_PKS3_PKT3_PKT4_S6_PT5_21rocsparse_index_base_b
	.p2align	8
	.type	_ZN9rocsparseL21csrmvn_general_kernelILj256ELj8Eiif21rocsparse_complex_numIfES2_S2_EEvbT2_NS_24const_host_device_scalarIT6_EEPKT1_S9_PKS3_PKT3_PKT4_S6_PT5_21rocsparse_index_base_b,@function
_ZN9rocsparseL21csrmvn_general_kernelILj256ELj8Eiif21rocsparse_complex_numIfES2_S2_EEvbT2_NS_24const_host_device_scalarIT6_EEPKT1_S9_PKS3_PKT3_PKT4_S6_PT5_21rocsparse_index_base_b: ; @_ZN9rocsparseL21csrmvn_general_kernelILj256ELj8Eiif21rocsparse_complex_numIfES2_S2_EEvbT2_NS_24const_host_device_scalarIT6_EEPKT1_S9_PKS3_PKT3_PKT4_S6_PT5_21rocsparse_index_base_b
; %bb.0:
	s_clause 0x2
	s_load_b64 s[16:17], s[0:1], 0x48
	s_load_b128 s[12:15], s[0:1], 0x8
	s_load_b64 s[2:3], s[0:1], 0x38
	v_mov_b32_e32 v1, 0
	s_add_nc_u64 s[4:5], s[0:1], 8
	s_add_nc_u64 s[6:7], s[0:1], 56
	s_wait_kmcnt 0x0
	s_bitcmp1_b32 s17, 0
	s_cselect_b32 s5, s5, s13
	s_cselect_b32 s4, s4, s12
	;; [unrolled: 1-line block ×4, first 2 shown]
	s_clause 0x1
	flat_load_b64 v[2:3], v1, s[4:5]
	flat_load_b64 v[4:5], v1, s[2:3]
	s_wait_loadcnt_dscnt 0x101
	v_cmp_neq_f32_e32 vcc_lo, 0, v2
	s_wait_xcnt 0x0
	v_cmp_neq_f32_e64 s2, 0, v3
	s_wait_loadcnt_dscnt 0x0
	v_cmp_neq_f32_e64 s3, 1.0, v4
	v_cmp_neq_f32_e64 s4, 0, v5
	s_or_b32 s2, vcc_lo, s2
	s_or_b32 s3, s3, s4
	s_delay_alu instid0(SALU_CYCLE_1) | instskip(NEXT) | instid1(SALU_CYCLE_1)
	s_or_b32 s2, s2, s3
	s_and_saveexec_b32 s3, s2
	s_cbranch_execz .LBB266_12
; %bb.1:
	s_bfe_u32 s2, ttmp6, 0x4000c
	s_load_b32 s12, s[0:1], 0x4
	s_add_co_i32 s2, s2, 1
	s_and_b32 s3, ttmp6, 15
	s_mul_i32 s2, ttmp9, s2
	s_getreg_b32 s4, hwreg(HW_REG_IB_STS2, 6, 4)
	s_add_co_i32 s3, s3, s2
	s_cmp_eq_u32 s4, 0
	s_cselect_b32 s2, ttmp9, s3
	s_delay_alu instid0(SALU_CYCLE_1) | instskip(NEXT) | instid1(VALU_DEP_1)
	v_lshl_or_b32 v1, s2, 8, v0
	v_lshrrev_b32_e32 v6, 3, v1
	s_wait_kmcnt 0x0
	s_delay_alu instid0(VALU_DEP_1)
	v_cmp_gt_i32_e32 vcc_lo, s12, v6
	s_and_b32 exec_lo, exec_lo, vcc_lo
	s_cbranch_execz .LBB266_12
; %bb.2:
	v_mbcnt_lo_u32_b32 v7, -1, 0
	s_clause 0x2
	s_load_b256 s[4:11], s[0:1], 0x18
	s_load_b32 s13, s[0:1], 0x50
	s_load_b64 s[2:3], s[0:1], 0x40
	s_wait_xcnt 0x0
	v_cmp_neq_f32_e64 s0, 0, v4
	v_cmp_neq_f32_e64 s1, 0, v5
	v_xor_b32_e32 v13, 1, v7
	v_xor_b32_e32 v12, 2, v7
	;; [unrolled: 1-line block ×3, first 2 shown]
	s_ashr_i32 s17, s16, 31
	s_or_b32 s1, s0, s1
	s_lshl_b64 s[18:19], s[16:17], 3
	s_mov_b32 s17, 0
	v_cmp_gt_i32_e32 vcc_lo, 32, v11
	v_and_b32_e32 v10, 7, v0
	v_mov_b64_e32 v[0:1], 0x8000000000000000
	v_cndmask_b32_e32 v11, v7, v11, vcc_lo
	v_cmp_gt_i32_e32 vcc_lo, 32, v12
	s_delay_alu instid0(VALU_DEP_4) | instskip(NEXT) | instid1(VALU_DEP_4)
	v_subrev_nc_u32_e32 v14, s16, v10
	v_pk_mul_f32 v[8:9], v[2:3], v[0:1]
	s_delay_alu instid0(VALU_DEP_4)
	v_dual_cndmask_b32 v12, v7, v12 :: v_dual_lshlrev_b32 v15, 2, v11
	s_wait_kmcnt 0x0
	s_lshl_b32 s13, s13, 5
	s_sub_nc_u64 s[10:11], s[10:11], s[18:19]
	v_mov_b32_e32 v0, v9
	v_cmp_gt_i32_e32 vcc_lo, 32, v13
	v_mov_b32_e32 v1, v8
	v_xor_b32_e32 v8, 0x80000000, v5
	v_dual_mov_b32 v9, v4 :: v_dual_cndmask_b32 v7, v7, v13, vcc_lo
	v_lshlrev_b32_e32 v16, 2, v12
	v_cmp_eq_u32_e32 vcc_lo, 7, v10
	s_delay_alu instid0(VALU_DEP_3)
	v_lshlrev_b32_e32 v17, 2, v7
	s_branch .LBB266_5
.LBB266_3:                              ;   in Loop: Header=BB266_5 Depth=1
	s_wait_xcnt 0x0
	s_or_b32 exec_lo, exec_lo, s18
	global_store_b64 v[10:11], v[12:13], off
.LBB266_4:                              ;   in Loop: Header=BB266_5 Depth=1
	s_wait_xcnt 0x0
	s_or_b32 exec_lo, exec_lo, s0
	v_add_nc_u32_e32 v6, s13, v6
	s_delay_alu instid0(VALU_DEP_1) | instskip(SKIP_1) | instid1(SALU_CYCLE_1)
	v_cmp_le_i32_e64 s0, s12, v6
	s_or_b32 s17, s0, s17
	s_and_not1_b32 exec_lo, exec_lo, s17
	s_cbranch_execz .LBB266_12
.LBB266_5:                              ; =>This Loop Header: Depth=1
                                        ;     Child Loop BB266_7 Depth 2
	s_clause 0x1
	global_load_b32 v7, v6, s[4:5] scale_offset
	global_load_b32 v10, v6, s[14:15] scale_offset
	s_mov_b32 s18, exec_lo
	v_mov_b32_e32 v11, 0
	s_wait_loadcnt 0x1
	v_subrev_nc_u32_e32 v7, s16, v7
	s_wait_loadcnt_dscnt 0x1
	s_delay_alu instid0(VALU_DEP_2) | instskip(SKIP_1) | instid1(VALU_DEP_1)
	v_dual_add_nc_u32 v12, v10, v14 :: v_dual_mov_b32 v10, v11
	s_wait_xcnt 0x0
	v_cmpx_lt_i32_e64 v12, v7
	s_cbranch_execz .LBB266_9
; %bb.6:                                ;   in Loop: Header=BB266_5 Depth=1
	v_mov_b32_e32 v10, 0
	s_mov_b32 s19, 0
	s_delay_alu instid0(VALU_DEP_1)
	v_mov_b32_e32 v11, v10
.LBB266_7:                              ;   Parent Loop BB266_5 Depth=1
                                        ; =>  This Inner Loop Header: Depth=2
	s_wait_dscnt 0x0
	s_clause 0x1
	global_load_b32 v13, v12, s[6:7] scale_offset
	global_load_b32 v18, v12, s[8:9] scale_offset
	s_wait_xcnt 0x0
	v_add_nc_u32_e32 v12, 8, v12
	s_delay_alu instid0(VALU_DEP_1)
	v_cmp_ge_i32_e64 s0, v12, v7
	s_or_b32 s19, s0, s19
	s_wait_loadcnt 0x1
	global_load_b64 v[20:21], v13, s[10:11] scale_offset
	s_wait_loadcnt 0x1
	v_pk_fma_f32 v[18:19], v[2:3], v[18:19], v[0:1] op_sel_hi:[1,0,1]
	s_wait_loadcnt 0x0
	s_delay_alu instid0(VALU_DEP_1) | instskip(NEXT) | instid1(VALU_DEP_1)
	v_pk_fma_f32 v[10:11], v[18:19], v[20:21], v[10:11] op_sel_hi:[1,0,1]
	v_pk_fma_f32 v[10:11], v[18:19], v[20:21], v[10:11] op_sel:[1,1,0] op_sel_hi:[0,1,1] neg_lo:[1,0,0]
	s_wait_xcnt 0x0
	s_and_not1_b32 exec_lo, exec_lo, s19
	s_cbranch_execnz .LBB266_7
; %bb.8:                                ;   in Loop: Header=BB266_5 Depth=1
	s_or_b32 exec_lo, exec_lo, s19
.LBB266_9:                              ;   in Loop: Header=BB266_5 Depth=1
	s_delay_alu instid0(SALU_CYCLE_1)
	s_or_b32 exec_lo, exec_lo, s18
	ds_bpermute_b32 v12, v15, v10
	s_wait_dscnt 0x1
	ds_bpermute_b32 v13, v15, v11
	v_ashrrev_i32_e32 v7, 31, v6
	s_wait_dscnt 0x0
	v_pk_add_f32 v[10:11], v[10:11], v[12:13]
	ds_bpermute_b32 v12, v16, v10
	ds_bpermute_b32 v13, v16, v11
	s_wait_dscnt 0x0
	v_pk_add_f32 v[10:11], v[10:11], v[12:13]
	ds_bpermute_b32 v12, v17, v10
	ds_bpermute_b32 v13, v17, v11
	s_and_saveexec_b32 s0, vcc_lo
	s_cbranch_execz .LBB266_4
; %bb.10:                               ;   in Loop: Header=BB266_5 Depth=1
	s_wait_dscnt 0x0
	v_pk_add_f32 v[12:13], v[10:11], v[12:13]
	v_lshl_add_u64 v[10:11], v[6:7], 3, s[2:3]
	s_and_saveexec_b32 s18, s1
	s_cbranch_execz .LBB266_3
; %bb.11:                               ;   in Loop: Header=BB266_5 Depth=1
	global_load_b64 v[18:19], v[10:11], off
	s_wait_loadcnt 0x0
	v_pk_fma_f32 v[12:13], v[4:5], v[18:19], v[12:13] op_sel_hi:[1,0,1]
	s_delay_alu instid0(VALU_DEP_1)
	v_pk_fma_f32 v[12:13], v[8:9], v[18:19], v[12:13] op_sel:[0,1,0]
	s_branch .LBB266_3
.LBB266_12:
	s_endpgm
	.section	.rodata,"a",@progbits
	.p2align	6, 0x0
	.amdhsa_kernel _ZN9rocsparseL21csrmvn_general_kernelILj256ELj8Eiif21rocsparse_complex_numIfES2_S2_EEvbT2_NS_24const_host_device_scalarIT6_EEPKT1_S9_PKS3_PKT3_PKT4_S6_PT5_21rocsparse_index_base_b
		.amdhsa_group_segment_fixed_size 0
		.amdhsa_private_segment_fixed_size 0
		.amdhsa_kernarg_size 336
		.amdhsa_user_sgpr_count 2
		.amdhsa_user_sgpr_dispatch_ptr 0
		.amdhsa_user_sgpr_queue_ptr 0
		.amdhsa_user_sgpr_kernarg_segment_ptr 1
		.amdhsa_user_sgpr_dispatch_id 0
		.amdhsa_user_sgpr_kernarg_preload_length 0
		.amdhsa_user_sgpr_kernarg_preload_offset 0
		.amdhsa_user_sgpr_private_segment_size 0
		.amdhsa_wavefront_size32 1
		.amdhsa_uses_dynamic_stack 0
		.amdhsa_enable_private_segment 0
		.amdhsa_system_sgpr_workgroup_id_x 1
		.amdhsa_system_sgpr_workgroup_id_y 0
		.amdhsa_system_sgpr_workgroup_id_z 0
		.amdhsa_system_sgpr_workgroup_info 0
		.amdhsa_system_vgpr_workitem_id 0
		.amdhsa_next_free_vgpr 22
		.amdhsa_next_free_sgpr 20
		.amdhsa_named_barrier_count 0
		.amdhsa_reserve_vcc 1
		.amdhsa_float_round_mode_32 0
		.amdhsa_float_round_mode_16_64 0
		.amdhsa_float_denorm_mode_32 3
		.amdhsa_float_denorm_mode_16_64 3
		.amdhsa_fp16_overflow 0
		.amdhsa_memory_ordered 1
		.amdhsa_forward_progress 1
		.amdhsa_inst_pref_size 7
		.amdhsa_round_robin_scheduling 0
		.amdhsa_exception_fp_ieee_invalid_op 0
		.amdhsa_exception_fp_denorm_src 0
		.amdhsa_exception_fp_ieee_div_zero 0
		.amdhsa_exception_fp_ieee_overflow 0
		.amdhsa_exception_fp_ieee_underflow 0
		.amdhsa_exception_fp_ieee_inexact 0
		.amdhsa_exception_int_div_zero 0
	.end_amdhsa_kernel
	.section	.text._ZN9rocsparseL21csrmvn_general_kernelILj256ELj8Eiif21rocsparse_complex_numIfES2_S2_EEvbT2_NS_24const_host_device_scalarIT6_EEPKT1_S9_PKS3_PKT3_PKT4_S6_PT5_21rocsparse_index_base_b,"axG",@progbits,_ZN9rocsparseL21csrmvn_general_kernelILj256ELj8Eiif21rocsparse_complex_numIfES2_S2_EEvbT2_NS_24const_host_device_scalarIT6_EEPKT1_S9_PKS3_PKT3_PKT4_S6_PT5_21rocsparse_index_base_b,comdat
.Lfunc_end266:
	.size	_ZN9rocsparseL21csrmvn_general_kernelILj256ELj8Eiif21rocsparse_complex_numIfES2_S2_EEvbT2_NS_24const_host_device_scalarIT6_EEPKT1_S9_PKS3_PKT3_PKT4_S6_PT5_21rocsparse_index_base_b, .Lfunc_end266-_ZN9rocsparseL21csrmvn_general_kernelILj256ELj8Eiif21rocsparse_complex_numIfES2_S2_EEvbT2_NS_24const_host_device_scalarIT6_EEPKT1_S9_PKS3_PKT3_PKT4_S6_PT5_21rocsparse_index_base_b
                                        ; -- End function
	.set _ZN9rocsparseL21csrmvn_general_kernelILj256ELj8Eiif21rocsparse_complex_numIfES2_S2_EEvbT2_NS_24const_host_device_scalarIT6_EEPKT1_S9_PKS3_PKT3_PKT4_S6_PT5_21rocsparse_index_base_b.num_vgpr, 22
	.set _ZN9rocsparseL21csrmvn_general_kernelILj256ELj8Eiif21rocsparse_complex_numIfES2_S2_EEvbT2_NS_24const_host_device_scalarIT6_EEPKT1_S9_PKS3_PKT3_PKT4_S6_PT5_21rocsparse_index_base_b.num_agpr, 0
	.set _ZN9rocsparseL21csrmvn_general_kernelILj256ELj8Eiif21rocsparse_complex_numIfES2_S2_EEvbT2_NS_24const_host_device_scalarIT6_EEPKT1_S9_PKS3_PKT3_PKT4_S6_PT5_21rocsparse_index_base_b.numbered_sgpr, 20
	.set _ZN9rocsparseL21csrmvn_general_kernelILj256ELj8Eiif21rocsparse_complex_numIfES2_S2_EEvbT2_NS_24const_host_device_scalarIT6_EEPKT1_S9_PKS3_PKT3_PKT4_S6_PT5_21rocsparse_index_base_b.num_named_barrier, 0
	.set _ZN9rocsparseL21csrmvn_general_kernelILj256ELj8Eiif21rocsparse_complex_numIfES2_S2_EEvbT2_NS_24const_host_device_scalarIT6_EEPKT1_S9_PKS3_PKT3_PKT4_S6_PT5_21rocsparse_index_base_b.private_seg_size, 0
	.set _ZN9rocsparseL21csrmvn_general_kernelILj256ELj8Eiif21rocsparse_complex_numIfES2_S2_EEvbT2_NS_24const_host_device_scalarIT6_EEPKT1_S9_PKS3_PKT3_PKT4_S6_PT5_21rocsparse_index_base_b.uses_vcc, 1
	.set _ZN9rocsparseL21csrmvn_general_kernelILj256ELj8Eiif21rocsparse_complex_numIfES2_S2_EEvbT2_NS_24const_host_device_scalarIT6_EEPKT1_S9_PKS3_PKT3_PKT4_S6_PT5_21rocsparse_index_base_b.uses_flat_scratch, 1
	.set _ZN9rocsparseL21csrmvn_general_kernelILj256ELj8Eiif21rocsparse_complex_numIfES2_S2_EEvbT2_NS_24const_host_device_scalarIT6_EEPKT1_S9_PKS3_PKT3_PKT4_S6_PT5_21rocsparse_index_base_b.has_dyn_sized_stack, 0
	.set _ZN9rocsparseL21csrmvn_general_kernelILj256ELj8Eiif21rocsparse_complex_numIfES2_S2_EEvbT2_NS_24const_host_device_scalarIT6_EEPKT1_S9_PKS3_PKT3_PKT4_S6_PT5_21rocsparse_index_base_b.has_recursion, 0
	.set _ZN9rocsparseL21csrmvn_general_kernelILj256ELj8Eiif21rocsparse_complex_numIfES2_S2_EEvbT2_NS_24const_host_device_scalarIT6_EEPKT1_S9_PKS3_PKT3_PKT4_S6_PT5_21rocsparse_index_base_b.has_indirect_call, 0
	.section	.AMDGPU.csdata,"",@progbits
; Kernel info:
; codeLenInByte = 884
; TotalNumSgprs: 22
; NumVgprs: 22
; ScratchSize: 0
; MemoryBound: 0
; FloatMode: 240
; IeeeMode: 1
; LDSByteSize: 0 bytes/workgroup (compile time only)
; SGPRBlocks: 0
; VGPRBlocks: 1
; NumSGPRsForWavesPerEU: 22
; NumVGPRsForWavesPerEU: 22
; NamedBarCnt: 0
; Occupancy: 16
; WaveLimiterHint : 1
; COMPUTE_PGM_RSRC2:SCRATCH_EN: 0
; COMPUTE_PGM_RSRC2:USER_SGPR: 2
; COMPUTE_PGM_RSRC2:TRAP_HANDLER: 0
; COMPUTE_PGM_RSRC2:TGID_X_EN: 1
; COMPUTE_PGM_RSRC2:TGID_Y_EN: 0
; COMPUTE_PGM_RSRC2:TGID_Z_EN: 0
; COMPUTE_PGM_RSRC2:TIDIG_COMP_CNT: 0
	.section	.text._ZN9rocsparseL21csrmvn_general_kernelILj256ELj16Eiif21rocsparse_complex_numIfES2_S2_EEvbT2_NS_24const_host_device_scalarIT6_EEPKT1_S9_PKS3_PKT3_PKT4_S6_PT5_21rocsparse_index_base_b,"axG",@progbits,_ZN9rocsparseL21csrmvn_general_kernelILj256ELj16Eiif21rocsparse_complex_numIfES2_S2_EEvbT2_NS_24const_host_device_scalarIT6_EEPKT1_S9_PKS3_PKT3_PKT4_S6_PT5_21rocsparse_index_base_b,comdat
	.globl	_ZN9rocsparseL21csrmvn_general_kernelILj256ELj16Eiif21rocsparse_complex_numIfES2_S2_EEvbT2_NS_24const_host_device_scalarIT6_EEPKT1_S9_PKS3_PKT3_PKT4_S6_PT5_21rocsparse_index_base_b ; -- Begin function _ZN9rocsparseL21csrmvn_general_kernelILj256ELj16Eiif21rocsparse_complex_numIfES2_S2_EEvbT2_NS_24const_host_device_scalarIT6_EEPKT1_S9_PKS3_PKT3_PKT4_S6_PT5_21rocsparse_index_base_b
	.p2align	8
	.type	_ZN9rocsparseL21csrmvn_general_kernelILj256ELj16Eiif21rocsparse_complex_numIfES2_S2_EEvbT2_NS_24const_host_device_scalarIT6_EEPKT1_S9_PKS3_PKT3_PKT4_S6_PT5_21rocsparse_index_base_b,@function
_ZN9rocsparseL21csrmvn_general_kernelILj256ELj16Eiif21rocsparse_complex_numIfES2_S2_EEvbT2_NS_24const_host_device_scalarIT6_EEPKT1_S9_PKS3_PKT3_PKT4_S6_PT5_21rocsparse_index_base_b: ; @_ZN9rocsparseL21csrmvn_general_kernelILj256ELj16Eiif21rocsparse_complex_numIfES2_S2_EEvbT2_NS_24const_host_device_scalarIT6_EEPKT1_S9_PKS3_PKT3_PKT4_S6_PT5_21rocsparse_index_base_b
; %bb.0:
	s_clause 0x2
	s_load_b64 s[16:17], s[0:1], 0x48
	s_load_b128 s[12:15], s[0:1], 0x8
	s_load_b64 s[2:3], s[0:1], 0x38
	v_mov_b32_e32 v1, 0
	s_add_nc_u64 s[4:5], s[0:1], 8
	s_add_nc_u64 s[6:7], s[0:1], 56
	s_wait_kmcnt 0x0
	s_bitcmp1_b32 s17, 0
	s_cselect_b32 s5, s5, s13
	s_cselect_b32 s4, s4, s12
	s_cselect_b32 s3, s7, s3
	s_cselect_b32 s2, s6, s2
	s_clause 0x1
	flat_load_b64 v[2:3], v1, s[4:5]
	flat_load_b64 v[4:5], v1, s[2:3]
	s_wait_loadcnt_dscnt 0x101
	v_cmp_neq_f32_e32 vcc_lo, 0, v2
	s_wait_xcnt 0x0
	v_cmp_neq_f32_e64 s2, 0, v3
	s_wait_loadcnt_dscnt 0x0
	v_cmp_neq_f32_e64 s3, 1.0, v4
	v_cmp_neq_f32_e64 s4, 0, v5
	s_or_b32 s2, vcc_lo, s2
	s_or_b32 s3, s3, s4
	s_delay_alu instid0(SALU_CYCLE_1) | instskip(NEXT) | instid1(SALU_CYCLE_1)
	s_or_b32 s2, s2, s3
	s_and_saveexec_b32 s3, s2
	s_cbranch_execz .LBB267_12
; %bb.1:
	s_bfe_u32 s2, ttmp6, 0x4000c
	s_load_b32 s12, s[0:1], 0x4
	s_add_co_i32 s2, s2, 1
	s_and_b32 s3, ttmp6, 15
	s_mul_i32 s2, ttmp9, s2
	s_getreg_b32 s4, hwreg(HW_REG_IB_STS2, 6, 4)
	s_add_co_i32 s3, s3, s2
	s_cmp_eq_u32 s4, 0
	s_cselect_b32 s2, ttmp9, s3
	s_delay_alu instid0(SALU_CYCLE_1) | instskip(NEXT) | instid1(VALU_DEP_1)
	v_lshl_or_b32 v1, s2, 8, v0
	v_lshrrev_b32_e32 v6, 4, v1
	s_wait_kmcnt 0x0
	s_delay_alu instid0(VALU_DEP_1)
	v_cmp_gt_i32_e32 vcc_lo, s12, v6
	s_and_b32 exec_lo, exec_lo, vcc_lo
	s_cbranch_execz .LBB267_12
; %bb.2:
	v_mbcnt_lo_u32_b32 v8, -1, 0
	s_clause 0x2
	s_load_b256 s[4:11], s[0:1], 0x18
	s_load_b32 s13, s[0:1], 0x50
	s_load_b64 s[2:3], s[0:1], 0x40
	s_wait_xcnt 0x0
	v_cmp_neq_f32_e64 s0, 0, v4
	v_cmp_neq_f32_e64 s1, 0, v5
	v_xor_b32_e32 v15, 1, v8
	v_xor_b32_e32 v9, 8, v8
	;; [unrolled: 1-line block ×4, first 2 shown]
	s_ashr_i32 s17, s16, 31
	s_or_b32 s1, s0, s1
	v_cmp_gt_i32_e32 vcc_lo, 32, v9
	v_and_b32_e32 v7, 15, v0
	v_mov_b64_e32 v[0:1], 0x8000000000000000
	s_lshl_b64 s[18:19], s[16:17], 3
	s_mov_b32 s17, 0
	s_delay_alu instid0(VALU_DEP_1)
	v_pk_mul_f32 v[10:11], v[2:3], v[0:1]
	v_cndmask_b32_e32 v0, v8, v9, vcc_lo
	v_cmp_gt_i32_e32 vcc_lo, 32, v12
	v_subrev_nc_u32_e32 v14, s16, v7
	s_wait_kmcnt 0x0
	s_lshl_b32 s13, s13, 4
	s_sub_nc_u64 s[10:11], s[10:11], s[18:19]
	v_cndmask_b32_e32 v1, v8, v12, vcc_lo
	s_delay_alu instid0(VALU_DEP_1) | instskip(SKIP_3) | instid1(VALU_DEP_1)
	v_lshlrev_b32_e32 v16, 2, v1
	v_cmp_gt_i32_e32 vcc_lo, 32, v13
	v_mov_b32_e32 v1, v4
	v_cndmask_b32_e32 v9, v8, v13, vcc_lo
	v_lshlrev_b32_e32 v17, 2, v9
	v_cmp_gt_i32_e32 vcc_lo, 32, v15
	v_dual_mov_b32 v9, v10 :: v_dual_cndmask_b32 v8, v8, v15
	v_lshlrev_b32_e32 v15, 2, v0
	v_xor_b32_e32 v0, 0x80000000, v5
	v_cmp_eq_u32_e32 vcc_lo, 15, v7
	s_delay_alu instid0(VALU_DEP_4)
	v_dual_lshlrev_b32 v18, 2, v8 :: v_dual_mov_b32 v8, v11
	s_branch .LBB267_5
.LBB267_3:                              ;   in Loop: Header=BB267_5 Depth=1
	s_wait_xcnt 0x0
	s_or_b32 exec_lo, exec_lo, s18
	global_store_b64 v[10:11], v[12:13], off
.LBB267_4:                              ;   in Loop: Header=BB267_5 Depth=1
	s_wait_xcnt 0x0
	s_or_b32 exec_lo, exec_lo, s0
	v_add_nc_u32_e32 v6, s13, v6
	s_delay_alu instid0(VALU_DEP_1) | instskip(SKIP_1) | instid1(SALU_CYCLE_1)
	v_cmp_le_i32_e64 s0, s12, v6
	s_or_b32 s17, s0, s17
	s_and_not1_b32 exec_lo, exec_lo, s17
	s_cbranch_execz .LBB267_12
.LBB267_5:                              ; =>This Loop Header: Depth=1
                                        ;     Child Loop BB267_7 Depth 2
	s_clause 0x1
	global_load_b32 v7, v6, s[4:5] scale_offset
	global_load_b32 v10, v6, s[14:15] scale_offset
	s_mov_b32 s18, exec_lo
	v_mov_b32_e32 v11, 0
	s_wait_loadcnt 0x1
	v_subrev_nc_u32_e32 v7, s16, v7
	s_wait_loadcnt_dscnt 0x1
	s_delay_alu instid0(VALU_DEP_2) | instskip(SKIP_1) | instid1(VALU_DEP_1)
	v_dual_add_nc_u32 v12, v10, v14 :: v_dual_mov_b32 v10, v11
	s_wait_xcnt 0x0
	v_cmpx_lt_i32_e64 v12, v7
	s_cbranch_execz .LBB267_9
; %bb.6:                                ;   in Loop: Header=BB267_5 Depth=1
	v_mov_b32_e32 v10, 0
	s_mov_b32 s19, 0
	s_delay_alu instid0(VALU_DEP_1)
	v_mov_b32_e32 v11, v10
.LBB267_7:                              ;   Parent Loop BB267_5 Depth=1
                                        ; =>  This Inner Loop Header: Depth=2
	s_wait_dscnt 0x0
	s_clause 0x1
	global_load_b32 v13, v12, s[6:7] scale_offset
	global_load_b32 v20, v12, s[8:9] scale_offset
	s_wait_xcnt 0x0
	v_add_nc_u32_e32 v12, 16, v12
	s_delay_alu instid0(VALU_DEP_1)
	v_cmp_ge_i32_e64 s0, v12, v7
	s_or_b32 s19, s0, s19
	s_wait_loadcnt 0x1
	global_load_b64 v[22:23], v13, s[10:11] scale_offset
	s_wait_loadcnt 0x1
	v_pk_fma_f32 v[20:21], v[2:3], v[20:21], v[8:9] op_sel_hi:[1,0,1]
	s_wait_loadcnt 0x0
	s_delay_alu instid0(VALU_DEP_1) | instskip(NEXT) | instid1(VALU_DEP_1)
	v_pk_fma_f32 v[10:11], v[20:21], v[22:23], v[10:11] op_sel_hi:[1,0,1]
	v_pk_fma_f32 v[10:11], v[20:21], v[22:23], v[10:11] op_sel:[1,1,0] op_sel_hi:[0,1,1] neg_lo:[1,0,0]
	s_wait_xcnt 0x0
	s_and_not1_b32 exec_lo, exec_lo, s19
	s_cbranch_execnz .LBB267_7
; %bb.8:                                ;   in Loop: Header=BB267_5 Depth=1
	s_or_b32 exec_lo, exec_lo, s19
.LBB267_9:                              ;   in Loop: Header=BB267_5 Depth=1
	s_delay_alu instid0(SALU_CYCLE_1)
	s_or_b32 exec_lo, exec_lo, s18
	ds_bpermute_b32 v12, v15, v10
	s_wait_dscnt 0x1
	ds_bpermute_b32 v13, v15, v11
	v_ashrrev_i32_e32 v7, 31, v6
	s_wait_dscnt 0x0
	v_pk_add_f32 v[10:11], v[10:11], v[12:13]
	ds_bpermute_b32 v12, v16, v10
	ds_bpermute_b32 v13, v16, v11
	s_wait_dscnt 0x0
	v_pk_add_f32 v[10:11], v[10:11], v[12:13]
	ds_bpermute_b32 v12, v17, v10
	ds_bpermute_b32 v13, v17, v11
	;; [unrolled: 4-line block ×3, first 2 shown]
	s_and_saveexec_b32 s0, vcc_lo
	s_cbranch_execz .LBB267_4
; %bb.10:                               ;   in Loop: Header=BB267_5 Depth=1
	s_wait_dscnt 0x0
	v_pk_add_f32 v[12:13], v[10:11], v[12:13]
	v_lshl_add_u64 v[10:11], v[6:7], 3, s[2:3]
	s_and_saveexec_b32 s18, s1
	s_cbranch_execz .LBB267_3
; %bb.11:                               ;   in Loop: Header=BB267_5 Depth=1
	global_load_b64 v[20:21], v[10:11], off
	s_wait_loadcnt 0x0
	v_pk_fma_f32 v[12:13], v[4:5], v[20:21], v[12:13] op_sel_hi:[1,0,1]
	s_delay_alu instid0(VALU_DEP_1)
	v_pk_fma_f32 v[12:13], v[0:1], v[20:21], v[12:13] op_sel:[0,1,0]
	s_branch .LBB267_3
.LBB267_12:
	s_endpgm
	.section	.rodata,"a",@progbits
	.p2align	6, 0x0
	.amdhsa_kernel _ZN9rocsparseL21csrmvn_general_kernelILj256ELj16Eiif21rocsparse_complex_numIfES2_S2_EEvbT2_NS_24const_host_device_scalarIT6_EEPKT1_S9_PKS3_PKT3_PKT4_S6_PT5_21rocsparse_index_base_b
		.amdhsa_group_segment_fixed_size 0
		.amdhsa_private_segment_fixed_size 0
		.amdhsa_kernarg_size 336
		.amdhsa_user_sgpr_count 2
		.amdhsa_user_sgpr_dispatch_ptr 0
		.amdhsa_user_sgpr_queue_ptr 0
		.amdhsa_user_sgpr_kernarg_segment_ptr 1
		.amdhsa_user_sgpr_dispatch_id 0
		.amdhsa_user_sgpr_kernarg_preload_length 0
		.amdhsa_user_sgpr_kernarg_preload_offset 0
		.amdhsa_user_sgpr_private_segment_size 0
		.amdhsa_wavefront_size32 1
		.amdhsa_uses_dynamic_stack 0
		.amdhsa_enable_private_segment 0
		.amdhsa_system_sgpr_workgroup_id_x 1
		.amdhsa_system_sgpr_workgroup_id_y 0
		.amdhsa_system_sgpr_workgroup_id_z 0
		.amdhsa_system_sgpr_workgroup_info 0
		.amdhsa_system_vgpr_workitem_id 0
		.amdhsa_next_free_vgpr 24
		.amdhsa_next_free_sgpr 20
		.amdhsa_named_barrier_count 0
		.amdhsa_reserve_vcc 1
		.amdhsa_float_round_mode_32 0
		.amdhsa_float_round_mode_16_64 0
		.amdhsa_float_denorm_mode_32 3
		.amdhsa_float_denorm_mode_16_64 3
		.amdhsa_fp16_overflow 0
		.amdhsa_memory_ordered 1
		.amdhsa_forward_progress 1
		.amdhsa_inst_pref_size 8
		.amdhsa_round_robin_scheduling 0
		.amdhsa_exception_fp_ieee_invalid_op 0
		.amdhsa_exception_fp_denorm_src 0
		.amdhsa_exception_fp_ieee_div_zero 0
		.amdhsa_exception_fp_ieee_overflow 0
		.amdhsa_exception_fp_ieee_underflow 0
		.amdhsa_exception_fp_ieee_inexact 0
		.amdhsa_exception_int_div_zero 0
	.end_amdhsa_kernel
	.section	.text._ZN9rocsparseL21csrmvn_general_kernelILj256ELj16Eiif21rocsparse_complex_numIfES2_S2_EEvbT2_NS_24const_host_device_scalarIT6_EEPKT1_S9_PKS3_PKT3_PKT4_S6_PT5_21rocsparse_index_base_b,"axG",@progbits,_ZN9rocsparseL21csrmvn_general_kernelILj256ELj16Eiif21rocsparse_complex_numIfES2_S2_EEvbT2_NS_24const_host_device_scalarIT6_EEPKT1_S9_PKS3_PKT3_PKT4_S6_PT5_21rocsparse_index_base_b,comdat
.Lfunc_end267:
	.size	_ZN9rocsparseL21csrmvn_general_kernelILj256ELj16Eiif21rocsparse_complex_numIfES2_S2_EEvbT2_NS_24const_host_device_scalarIT6_EEPKT1_S9_PKS3_PKT3_PKT4_S6_PT5_21rocsparse_index_base_b, .Lfunc_end267-_ZN9rocsparseL21csrmvn_general_kernelILj256ELj16Eiif21rocsparse_complex_numIfES2_S2_EEvbT2_NS_24const_host_device_scalarIT6_EEPKT1_S9_PKS3_PKT3_PKT4_S6_PT5_21rocsparse_index_base_b
                                        ; -- End function
	.set _ZN9rocsparseL21csrmvn_general_kernelILj256ELj16Eiif21rocsparse_complex_numIfES2_S2_EEvbT2_NS_24const_host_device_scalarIT6_EEPKT1_S9_PKS3_PKT3_PKT4_S6_PT5_21rocsparse_index_base_b.num_vgpr, 24
	.set _ZN9rocsparseL21csrmvn_general_kernelILj256ELj16Eiif21rocsparse_complex_numIfES2_S2_EEvbT2_NS_24const_host_device_scalarIT6_EEPKT1_S9_PKS3_PKT3_PKT4_S6_PT5_21rocsparse_index_base_b.num_agpr, 0
	.set _ZN9rocsparseL21csrmvn_general_kernelILj256ELj16Eiif21rocsparse_complex_numIfES2_S2_EEvbT2_NS_24const_host_device_scalarIT6_EEPKT1_S9_PKS3_PKT3_PKT4_S6_PT5_21rocsparse_index_base_b.numbered_sgpr, 20
	.set _ZN9rocsparseL21csrmvn_general_kernelILj256ELj16Eiif21rocsparse_complex_numIfES2_S2_EEvbT2_NS_24const_host_device_scalarIT6_EEPKT1_S9_PKS3_PKT3_PKT4_S6_PT5_21rocsparse_index_base_b.num_named_barrier, 0
	.set _ZN9rocsparseL21csrmvn_general_kernelILj256ELj16Eiif21rocsparse_complex_numIfES2_S2_EEvbT2_NS_24const_host_device_scalarIT6_EEPKT1_S9_PKS3_PKT3_PKT4_S6_PT5_21rocsparse_index_base_b.private_seg_size, 0
	.set _ZN9rocsparseL21csrmvn_general_kernelILj256ELj16Eiif21rocsparse_complex_numIfES2_S2_EEvbT2_NS_24const_host_device_scalarIT6_EEPKT1_S9_PKS3_PKT3_PKT4_S6_PT5_21rocsparse_index_base_b.uses_vcc, 1
	.set _ZN9rocsparseL21csrmvn_general_kernelILj256ELj16Eiif21rocsparse_complex_numIfES2_S2_EEvbT2_NS_24const_host_device_scalarIT6_EEPKT1_S9_PKS3_PKT3_PKT4_S6_PT5_21rocsparse_index_base_b.uses_flat_scratch, 1
	.set _ZN9rocsparseL21csrmvn_general_kernelILj256ELj16Eiif21rocsparse_complex_numIfES2_S2_EEvbT2_NS_24const_host_device_scalarIT6_EEPKT1_S9_PKS3_PKT3_PKT4_S6_PT5_21rocsparse_index_base_b.has_dyn_sized_stack, 0
	.set _ZN9rocsparseL21csrmvn_general_kernelILj256ELj16Eiif21rocsparse_complex_numIfES2_S2_EEvbT2_NS_24const_host_device_scalarIT6_EEPKT1_S9_PKS3_PKT3_PKT4_S6_PT5_21rocsparse_index_base_b.has_recursion, 0
	.set _ZN9rocsparseL21csrmvn_general_kernelILj256ELj16Eiif21rocsparse_complex_numIfES2_S2_EEvbT2_NS_24const_host_device_scalarIT6_EEPKT1_S9_PKS3_PKT3_PKT4_S6_PT5_21rocsparse_index_base_b.has_indirect_call, 0
	.section	.AMDGPU.csdata,"",@progbits
; Kernel info:
; codeLenInByte = 928
; TotalNumSgprs: 22
; NumVgprs: 24
; ScratchSize: 0
; MemoryBound: 0
; FloatMode: 240
; IeeeMode: 1
; LDSByteSize: 0 bytes/workgroup (compile time only)
; SGPRBlocks: 0
; VGPRBlocks: 1
; NumSGPRsForWavesPerEU: 22
; NumVGPRsForWavesPerEU: 24
; NamedBarCnt: 0
; Occupancy: 16
; WaveLimiterHint : 1
; COMPUTE_PGM_RSRC2:SCRATCH_EN: 0
; COMPUTE_PGM_RSRC2:USER_SGPR: 2
; COMPUTE_PGM_RSRC2:TRAP_HANDLER: 0
; COMPUTE_PGM_RSRC2:TGID_X_EN: 1
; COMPUTE_PGM_RSRC2:TGID_Y_EN: 0
; COMPUTE_PGM_RSRC2:TGID_Z_EN: 0
; COMPUTE_PGM_RSRC2:TIDIG_COMP_CNT: 0
	.section	.text._ZN9rocsparseL21csrmvn_general_kernelILj256ELj32Eiif21rocsparse_complex_numIfES2_S2_EEvbT2_NS_24const_host_device_scalarIT6_EEPKT1_S9_PKS3_PKT3_PKT4_S6_PT5_21rocsparse_index_base_b,"axG",@progbits,_ZN9rocsparseL21csrmvn_general_kernelILj256ELj32Eiif21rocsparse_complex_numIfES2_S2_EEvbT2_NS_24const_host_device_scalarIT6_EEPKT1_S9_PKS3_PKT3_PKT4_S6_PT5_21rocsparse_index_base_b,comdat
	.globl	_ZN9rocsparseL21csrmvn_general_kernelILj256ELj32Eiif21rocsparse_complex_numIfES2_S2_EEvbT2_NS_24const_host_device_scalarIT6_EEPKT1_S9_PKS3_PKT3_PKT4_S6_PT5_21rocsparse_index_base_b ; -- Begin function _ZN9rocsparseL21csrmvn_general_kernelILj256ELj32Eiif21rocsparse_complex_numIfES2_S2_EEvbT2_NS_24const_host_device_scalarIT6_EEPKT1_S9_PKS3_PKT3_PKT4_S6_PT5_21rocsparse_index_base_b
	.p2align	8
	.type	_ZN9rocsparseL21csrmvn_general_kernelILj256ELj32Eiif21rocsparse_complex_numIfES2_S2_EEvbT2_NS_24const_host_device_scalarIT6_EEPKT1_S9_PKS3_PKT3_PKT4_S6_PT5_21rocsparse_index_base_b,@function
_ZN9rocsparseL21csrmvn_general_kernelILj256ELj32Eiif21rocsparse_complex_numIfES2_S2_EEvbT2_NS_24const_host_device_scalarIT6_EEPKT1_S9_PKS3_PKT3_PKT4_S6_PT5_21rocsparse_index_base_b: ; @_ZN9rocsparseL21csrmvn_general_kernelILj256ELj32Eiif21rocsparse_complex_numIfES2_S2_EEvbT2_NS_24const_host_device_scalarIT6_EEPKT1_S9_PKS3_PKT3_PKT4_S6_PT5_21rocsparse_index_base_b
; %bb.0:
	s_clause 0x2
	s_load_b64 s[16:17], s[0:1], 0x48
	s_load_b128 s[12:15], s[0:1], 0x8
	s_load_b64 s[2:3], s[0:1], 0x38
	v_mov_b32_e32 v1, 0
	s_add_nc_u64 s[4:5], s[0:1], 8
	s_add_nc_u64 s[6:7], s[0:1], 56
	s_wait_kmcnt 0x0
	s_bitcmp1_b32 s17, 0
	s_cselect_b32 s5, s5, s13
	s_cselect_b32 s4, s4, s12
	;; [unrolled: 1-line block ×4, first 2 shown]
	s_clause 0x1
	flat_load_b64 v[2:3], v1, s[4:5]
	flat_load_b64 v[4:5], v1, s[2:3]
	s_wait_loadcnt_dscnt 0x101
	v_cmp_neq_f32_e32 vcc_lo, 0, v2
	s_wait_xcnt 0x0
	v_cmp_neq_f32_e64 s2, 0, v3
	s_wait_loadcnt_dscnt 0x0
	v_cmp_neq_f32_e64 s3, 1.0, v4
	v_cmp_neq_f32_e64 s4, 0, v5
	s_or_b32 s2, vcc_lo, s2
	s_or_b32 s3, s3, s4
	s_delay_alu instid0(SALU_CYCLE_1) | instskip(NEXT) | instid1(SALU_CYCLE_1)
	s_or_b32 s2, s2, s3
	s_and_saveexec_b32 s3, s2
	s_cbranch_execz .LBB268_12
; %bb.1:
	s_bfe_u32 s2, ttmp6, 0x4000c
	s_load_b32 s12, s[0:1], 0x4
	s_add_co_i32 s2, s2, 1
	s_and_b32 s3, ttmp6, 15
	s_mul_i32 s2, ttmp9, s2
	s_getreg_b32 s4, hwreg(HW_REG_IB_STS2, 6, 4)
	s_add_co_i32 s3, s3, s2
	s_cmp_eq_u32 s4, 0
	s_cselect_b32 s2, ttmp9, s3
	s_delay_alu instid0(SALU_CYCLE_1) | instskip(NEXT) | instid1(VALU_DEP_1)
	v_lshl_or_b32 v1, s2, 8, v0
	v_lshrrev_b32_e32 v6, 5, v1
	s_wait_kmcnt 0x0
	s_delay_alu instid0(VALU_DEP_1)
	v_cmp_gt_i32_e32 vcc_lo, s12, v6
	s_and_b32 exec_lo, exec_lo, vcc_lo
	s_cbranch_execz .LBB268_12
; %bb.2:
	v_mbcnt_lo_u32_b32 v10, -1, 0
	s_clause 0x2
	s_load_b32 s13, s[0:1], 0x50
	s_load_b64 s[2:3], s[0:1], 0x40
	s_load_b256 s[4:11], s[0:1], 0x18
	s_wait_xcnt 0x0
	v_cmp_neq_f32_e64 s0, 0, v4
	v_cmp_neq_f32_e64 s1, 0, v5
	s_ashr_i32 s17, s16, 31
	v_xor_b32_e32 v12, 8, v10
	v_xor_b32_e32 v11, 16, v10
	s_lshl_b64 s[18:19], s[16:17], 3
	s_mov_b32 s17, 0
	s_or_b32 s1, s0, s1
	s_delay_alu instid0(VALU_DEP_1) | instskip(SKIP_3) | instid1(VALU_DEP_3)
	v_cmp_gt_i32_e32 vcc_lo, 32, v11
	v_and_b32_e32 v7, 31, v0
	v_mov_b64_e32 v[0:1], 0x8000000000000000
	v_cndmask_b32_e32 v11, v10, v11, vcc_lo
	v_subrev_nc_u32_e32 v14, s16, v7
	s_wait_kmcnt 0x0
	s_lshl_b32 s13, s13, 3
	s_delay_alu instid0(VALU_DEP_3) | instskip(SKIP_2) | instid1(VALU_DEP_2)
	v_pk_mul_f32 v[8:9], v[2:3], v[0:1]
	v_xor_b32_e32 v13, 4, v10
	s_sub_nc_u64 s[10:11], s[10:11], s[18:19]
	v_mov_b32_e32 v0, v9
	v_cmp_gt_i32_e32 vcc_lo, 32, v12
	v_dual_mov_b32 v1, v8 :: v_dual_cndmask_b32 v12, v10, v12
	v_cmp_gt_i32_e32 vcc_lo, 32, v13
	v_dual_cndmask_b32 v9, v10, v13, vcc_lo :: v_dual_bitop2_b32 v15, 2, v10 bitop3:0x14
	s_delay_alu instid0(VALU_DEP_1) | instskip(NEXT) | instid1(VALU_DEP_4)
	v_cmp_gt_i32_e32 vcc_lo, 32, v15
	v_dual_lshlrev_b32 v16, 2, v12 :: v_dual_bitop2_b32 v8, 1, v10 bitop3:0x14
	s_delay_alu instid0(VALU_DEP_3) | instskip(NEXT) | instid1(VALU_DEP_2)
	v_dual_lshlrev_b32 v17, 2, v9 :: v_dual_cndmask_b32 v13, v10, v15, vcc_lo
	v_cmp_gt_i32_e32 vcc_lo, 32, v8
	v_dual_lshlrev_b32 v15, 2, v11 :: v_dual_mov_b32 v9, v4
	s_delay_alu instid0(VALU_DEP_3) | instskip(SKIP_1) | instid1(VALU_DEP_2)
	v_dual_cndmask_b32 v8, v10, v8, vcc_lo :: v_dual_lshlrev_b32 v18, 2, v13
	v_cmp_eq_u32_e32 vcc_lo, 31, v7
	v_lshlrev_b32_e32 v19, 2, v8
	v_xor_b32_e32 v8, 0x80000000, v5
	s_branch .LBB268_5
.LBB268_3:                              ;   in Loop: Header=BB268_5 Depth=1
	s_wait_xcnt 0x0
	s_or_b32 exec_lo, exec_lo, s18
	global_store_b64 v[10:11], v[12:13], off
.LBB268_4:                              ;   in Loop: Header=BB268_5 Depth=1
	s_wait_xcnt 0x0
	s_or_b32 exec_lo, exec_lo, s0
	v_add_nc_u32_e32 v6, s13, v6
	s_delay_alu instid0(VALU_DEP_1) | instskip(SKIP_1) | instid1(SALU_CYCLE_1)
	v_cmp_le_i32_e64 s0, s12, v6
	s_or_b32 s17, s0, s17
	s_and_not1_b32 exec_lo, exec_lo, s17
	s_cbranch_execz .LBB268_12
.LBB268_5:                              ; =>This Loop Header: Depth=1
                                        ;     Child Loop BB268_7 Depth 2
	s_clause 0x1
	global_load_b32 v7, v6, s[4:5] scale_offset
	global_load_b32 v10, v6, s[14:15] scale_offset
	s_mov_b32 s18, exec_lo
	v_mov_b32_e32 v11, 0
	s_wait_loadcnt 0x1
	v_subrev_nc_u32_e32 v7, s16, v7
	s_wait_loadcnt_dscnt 0x1
	s_delay_alu instid0(VALU_DEP_2) | instskip(SKIP_1) | instid1(VALU_DEP_1)
	v_dual_add_nc_u32 v12, v10, v14 :: v_dual_mov_b32 v10, v11
	s_wait_xcnt 0x0
	v_cmpx_lt_i32_e64 v12, v7
	s_cbranch_execz .LBB268_9
; %bb.6:                                ;   in Loop: Header=BB268_5 Depth=1
	v_mov_b32_e32 v11, 0
	s_mov_b32 s19, 0
	s_delay_alu instid0(VALU_DEP_1)
	v_mov_b32_e32 v10, v11
.LBB268_7:                              ;   Parent Loop BB268_5 Depth=1
                                        ; =>  This Inner Loop Header: Depth=2
	s_wait_dscnt 0x0
	s_clause 0x1
	global_load_b32 v13, v12, s[6:7] scale_offset
	global_load_b32 v20, v12, s[8:9] scale_offset
	s_wait_xcnt 0x0
	v_add_nc_u32_e32 v12, 32, v12
	s_delay_alu instid0(VALU_DEP_1)
	v_cmp_ge_i32_e64 s0, v12, v7
	s_or_b32 s19, s0, s19
	s_wait_loadcnt 0x1
	global_load_b64 v[22:23], v13, s[10:11] scale_offset
	s_wait_loadcnt 0x1
	v_pk_fma_f32 v[20:21], v[2:3], v[20:21], v[0:1] op_sel_hi:[1,0,1]
	s_wait_loadcnt 0x0
	s_delay_alu instid0(VALU_DEP_1) | instskip(NEXT) | instid1(VALU_DEP_1)
	v_pk_fma_f32 v[10:11], v[20:21], v[22:23], v[10:11] op_sel_hi:[1,0,1]
	v_pk_fma_f32 v[10:11], v[20:21], v[22:23], v[10:11] op_sel:[1,1,0] op_sel_hi:[0,1,1] neg_lo:[1,0,0]
	s_wait_xcnt 0x0
	s_and_not1_b32 exec_lo, exec_lo, s19
	s_cbranch_execnz .LBB268_7
; %bb.8:                                ;   in Loop: Header=BB268_5 Depth=1
	s_or_b32 exec_lo, exec_lo, s19
.LBB268_9:                              ;   in Loop: Header=BB268_5 Depth=1
	s_delay_alu instid0(SALU_CYCLE_1)
	s_or_b32 exec_lo, exec_lo, s18
	ds_bpermute_b32 v12, v15, v10
	s_wait_dscnt 0x1
	ds_bpermute_b32 v13, v15, v11
	v_ashrrev_i32_e32 v7, 31, v6
	s_wait_dscnt 0x0
	v_pk_add_f32 v[10:11], v[10:11], v[12:13]
	ds_bpermute_b32 v12, v16, v10
	ds_bpermute_b32 v13, v16, v11
	s_wait_dscnt 0x0
	v_pk_add_f32 v[10:11], v[10:11], v[12:13]
	ds_bpermute_b32 v12, v17, v10
	ds_bpermute_b32 v13, v17, v11
	;; [unrolled: 4-line block ×4, first 2 shown]
	s_and_saveexec_b32 s0, vcc_lo
	s_cbranch_execz .LBB268_4
; %bb.10:                               ;   in Loop: Header=BB268_5 Depth=1
	s_wait_dscnt 0x0
	v_pk_add_f32 v[12:13], v[10:11], v[12:13]
	v_lshl_add_u64 v[10:11], v[6:7], 3, s[2:3]
	s_and_saveexec_b32 s18, s1
	s_cbranch_execz .LBB268_3
; %bb.11:                               ;   in Loop: Header=BB268_5 Depth=1
	global_load_b64 v[20:21], v[10:11], off
	s_wait_loadcnt 0x0
	v_pk_fma_f32 v[12:13], v[4:5], v[20:21], v[12:13] op_sel_hi:[1,0,1]
	s_delay_alu instid0(VALU_DEP_1)
	v_pk_fma_f32 v[12:13], v[8:9], v[20:21], v[12:13] op_sel:[0,1,0]
	s_branch .LBB268_3
.LBB268_12:
	s_endpgm
	.section	.rodata,"a",@progbits
	.p2align	6, 0x0
	.amdhsa_kernel _ZN9rocsparseL21csrmvn_general_kernelILj256ELj32Eiif21rocsparse_complex_numIfES2_S2_EEvbT2_NS_24const_host_device_scalarIT6_EEPKT1_S9_PKS3_PKT3_PKT4_S6_PT5_21rocsparse_index_base_b
		.amdhsa_group_segment_fixed_size 0
		.amdhsa_private_segment_fixed_size 0
		.amdhsa_kernarg_size 336
		.amdhsa_user_sgpr_count 2
		.amdhsa_user_sgpr_dispatch_ptr 0
		.amdhsa_user_sgpr_queue_ptr 0
		.amdhsa_user_sgpr_kernarg_segment_ptr 1
		.amdhsa_user_sgpr_dispatch_id 0
		.amdhsa_user_sgpr_kernarg_preload_length 0
		.amdhsa_user_sgpr_kernarg_preload_offset 0
		.amdhsa_user_sgpr_private_segment_size 0
		.amdhsa_wavefront_size32 1
		.amdhsa_uses_dynamic_stack 0
		.amdhsa_enable_private_segment 0
		.amdhsa_system_sgpr_workgroup_id_x 1
		.amdhsa_system_sgpr_workgroup_id_y 0
		.amdhsa_system_sgpr_workgroup_id_z 0
		.amdhsa_system_sgpr_workgroup_info 0
		.amdhsa_system_vgpr_workitem_id 0
		.amdhsa_next_free_vgpr 24
		.amdhsa_next_free_sgpr 20
		.amdhsa_named_barrier_count 0
		.amdhsa_reserve_vcc 1
		.amdhsa_float_round_mode_32 0
		.amdhsa_float_round_mode_16_64 0
		.amdhsa_float_denorm_mode_32 3
		.amdhsa_float_denorm_mode_16_64 3
		.amdhsa_fp16_overflow 0
		.amdhsa_memory_ordered 1
		.amdhsa_forward_progress 1
		.amdhsa_inst_pref_size 8
		.amdhsa_round_robin_scheduling 0
		.amdhsa_exception_fp_ieee_invalid_op 0
		.amdhsa_exception_fp_denorm_src 0
		.amdhsa_exception_fp_ieee_div_zero 0
		.amdhsa_exception_fp_ieee_overflow 0
		.amdhsa_exception_fp_ieee_underflow 0
		.amdhsa_exception_fp_ieee_inexact 0
		.amdhsa_exception_int_div_zero 0
	.end_amdhsa_kernel
	.section	.text._ZN9rocsparseL21csrmvn_general_kernelILj256ELj32Eiif21rocsparse_complex_numIfES2_S2_EEvbT2_NS_24const_host_device_scalarIT6_EEPKT1_S9_PKS3_PKT3_PKT4_S6_PT5_21rocsparse_index_base_b,"axG",@progbits,_ZN9rocsparseL21csrmvn_general_kernelILj256ELj32Eiif21rocsparse_complex_numIfES2_S2_EEvbT2_NS_24const_host_device_scalarIT6_EEPKT1_S9_PKS3_PKT3_PKT4_S6_PT5_21rocsparse_index_base_b,comdat
.Lfunc_end268:
	.size	_ZN9rocsparseL21csrmvn_general_kernelILj256ELj32Eiif21rocsparse_complex_numIfES2_S2_EEvbT2_NS_24const_host_device_scalarIT6_EEPKT1_S9_PKS3_PKT3_PKT4_S6_PT5_21rocsparse_index_base_b, .Lfunc_end268-_ZN9rocsparseL21csrmvn_general_kernelILj256ELj32Eiif21rocsparse_complex_numIfES2_S2_EEvbT2_NS_24const_host_device_scalarIT6_EEPKT1_S9_PKS3_PKT3_PKT4_S6_PT5_21rocsparse_index_base_b
                                        ; -- End function
	.set _ZN9rocsparseL21csrmvn_general_kernelILj256ELj32Eiif21rocsparse_complex_numIfES2_S2_EEvbT2_NS_24const_host_device_scalarIT6_EEPKT1_S9_PKS3_PKT3_PKT4_S6_PT5_21rocsparse_index_base_b.num_vgpr, 24
	.set _ZN9rocsparseL21csrmvn_general_kernelILj256ELj32Eiif21rocsparse_complex_numIfES2_S2_EEvbT2_NS_24const_host_device_scalarIT6_EEPKT1_S9_PKS3_PKT3_PKT4_S6_PT5_21rocsparse_index_base_b.num_agpr, 0
	.set _ZN9rocsparseL21csrmvn_general_kernelILj256ELj32Eiif21rocsparse_complex_numIfES2_S2_EEvbT2_NS_24const_host_device_scalarIT6_EEPKT1_S9_PKS3_PKT3_PKT4_S6_PT5_21rocsparse_index_base_b.numbered_sgpr, 20
	.set _ZN9rocsparseL21csrmvn_general_kernelILj256ELj32Eiif21rocsparse_complex_numIfES2_S2_EEvbT2_NS_24const_host_device_scalarIT6_EEPKT1_S9_PKS3_PKT3_PKT4_S6_PT5_21rocsparse_index_base_b.num_named_barrier, 0
	.set _ZN9rocsparseL21csrmvn_general_kernelILj256ELj32Eiif21rocsparse_complex_numIfES2_S2_EEvbT2_NS_24const_host_device_scalarIT6_EEPKT1_S9_PKS3_PKT3_PKT4_S6_PT5_21rocsparse_index_base_b.private_seg_size, 0
	.set _ZN9rocsparseL21csrmvn_general_kernelILj256ELj32Eiif21rocsparse_complex_numIfES2_S2_EEvbT2_NS_24const_host_device_scalarIT6_EEPKT1_S9_PKS3_PKT3_PKT4_S6_PT5_21rocsparse_index_base_b.uses_vcc, 1
	.set _ZN9rocsparseL21csrmvn_general_kernelILj256ELj32Eiif21rocsparse_complex_numIfES2_S2_EEvbT2_NS_24const_host_device_scalarIT6_EEPKT1_S9_PKS3_PKT3_PKT4_S6_PT5_21rocsparse_index_base_b.uses_flat_scratch, 1
	.set _ZN9rocsparseL21csrmvn_general_kernelILj256ELj32Eiif21rocsparse_complex_numIfES2_S2_EEvbT2_NS_24const_host_device_scalarIT6_EEPKT1_S9_PKS3_PKT3_PKT4_S6_PT5_21rocsparse_index_base_b.has_dyn_sized_stack, 0
	.set _ZN9rocsparseL21csrmvn_general_kernelILj256ELj32Eiif21rocsparse_complex_numIfES2_S2_EEvbT2_NS_24const_host_device_scalarIT6_EEPKT1_S9_PKS3_PKT3_PKT4_S6_PT5_21rocsparse_index_base_b.has_recursion, 0
	.set _ZN9rocsparseL21csrmvn_general_kernelILj256ELj32Eiif21rocsparse_complex_numIfES2_S2_EEvbT2_NS_24const_host_device_scalarIT6_EEPKT1_S9_PKS3_PKT3_PKT4_S6_PT5_21rocsparse_index_base_b.has_indirect_call, 0
	.section	.AMDGPU.csdata,"",@progbits
; Kernel info:
; codeLenInByte = 996
; TotalNumSgprs: 22
; NumVgprs: 24
; ScratchSize: 0
; MemoryBound: 0
; FloatMode: 240
; IeeeMode: 1
; LDSByteSize: 0 bytes/workgroup (compile time only)
; SGPRBlocks: 0
; VGPRBlocks: 1
; NumSGPRsForWavesPerEU: 22
; NumVGPRsForWavesPerEU: 24
; NamedBarCnt: 0
; Occupancy: 16
; WaveLimiterHint : 1
; COMPUTE_PGM_RSRC2:SCRATCH_EN: 0
; COMPUTE_PGM_RSRC2:USER_SGPR: 2
; COMPUTE_PGM_RSRC2:TRAP_HANDLER: 0
; COMPUTE_PGM_RSRC2:TGID_X_EN: 1
; COMPUTE_PGM_RSRC2:TGID_Y_EN: 0
; COMPUTE_PGM_RSRC2:TGID_Z_EN: 0
; COMPUTE_PGM_RSRC2:TIDIG_COMP_CNT: 0
	.section	.text._ZN9rocsparseL21csrmvn_general_kernelILj256ELj64Eiif21rocsparse_complex_numIfES2_S2_EEvbT2_NS_24const_host_device_scalarIT6_EEPKT1_S9_PKS3_PKT3_PKT4_S6_PT5_21rocsparse_index_base_b,"axG",@progbits,_ZN9rocsparseL21csrmvn_general_kernelILj256ELj64Eiif21rocsparse_complex_numIfES2_S2_EEvbT2_NS_24const_host_device_scalarIT6_EEPKT1_S9_PKS3_PKT3_PKT4_S6_PT5_21rocsparse_index_base_b,comdat
	.globl	_ZN9rocsparseL21csrmvn_general_kernelILj256ELj64Eiif21rocsparse_complex_numIfES2_S2_EEvbT2_NS_24const_host_device_scalarIT6_EEPKT1_S9_PKS3_PKT3_PKT4_S6_PT5_21rocsparse_index_base_b ; -- Begin function _ZN9rocsparseL21csrmvn_general_kernelILj256ELj64Eiif21rocsparse_complex_numIfES2_S2_EEvbT2_NS_24const_host_device_scalarIT6_EEPKT1_S9_PKS3_PKT3_PKT4_S6_PT5_21rocsparse_index_base_b
	.p2align	8
	.type	_ZN9rocsparseL21csrmvn_general_kernelILj256ELj64Eiif21rocsparse_complex_numIfES2_S2_EEvbT2_NS_24const_host_device_scalarIT6_EEPKT1_S9_PKS3_PKT3_PKT4_S6_PT5_21rocsparse_index_base_b,@function
_ZN9rocsparseL21csrmvn_general_kernelILj256ELj64Eiif21rocsparse_complex_numIfES2_S2_EEvbT2_NS_24const_host_device_scalarIT6_EEPKT1_S9_PKS3_PKT3_PKT4_S6_PT5_21rocsparse_index_base_b: ; @_ZN9rocsparseL21csrmvn_general_kernelILj256ELj64Eiif21rocsparse_complex_numIfES2_S2_EEvbT2_NS_24const_host_device_scalarIT6_EEPKT1_S9_PKS3_PKT3_PKT4_S6_PT5_21rocsparse_index_base_b
; %bb.0:
	s_clause 0x2
	s_load_b64 s[16:17], s[0:1], 0x48
	s_load_b128 s[12:15], s[0:1], 0x8
	s_load_b64 s[2:3], s[0:1], 0x38
	v_mov_b32_e32 v1, 0
	s_add_nc_u64 s[4:5], s[0:1], 8
	s_add_nc_u64 s[6:7], s[0:1], 56
	s_wait_kmcnt 0x0
	s_bitcmp1_b32 s17, 0
	s_cselect_b32 s5, s5, s13
	s_cselect_b32 s4, s4, s12
	;; [unrolled: 1-line block ×4, first 2 shown]
	s_clause 0x1
	flat_load_b64 v[2:3], v1, s[4:5]
	flat_load_b64 v[4:5], v1, s[2:3]
	s_wait_loadcnt_dscnt 0x101
	v_cmp_neq_f32_e32 vcc_lo, 0, v2
	s_wait_xcnt 0x0
	v_cmp_neq_f32_e64 s2, 0, v3
	s_wait_loadcnt_dscnt 0x0
	v_cmp_neq_f32_e64 s3, 1.0, v4
	v_cmp_neq_f32_e64 s4, 0, v5
	s_or_b32 s2, vcc_lo, s2
	s_or_b32 s3, s3, s4
	s_delay_alu instid0(SALU_CYCLE_1) | instskip(NEXT) | instid1(SALU_CYCLE_1)
	s_or_b32 s2, s2, s3
	s_and_saveexec_b32 s3, s2
	s_cbranch_execz .LBB269_12
; %bb.1:
	s_bfe_u32 s2, ttmp6, 0x4000c
	s_load_b32 s12, s[0:1], 0x4
	s_add_co_i32 s2, s2, 1
	s_and_b32 s3, ttmp6, 15
	s_mul_i32 s2, ttmp9, s2
	s_getreg_b32 s4, hwreg(HW_REG_IB_STS2, 6, 4)
	s_add_co_i32 s3, s3, s2
	s_cmp_eq_u32 s4, 0
	s_cselect_b32 s2, ttmp9, s3
	s_delay_alu instid0(SALU_CYCLE_1) | instskip(NEXT) | instid1(VALU_DEP_1)
	v_lshl_or_b32 v1, s2, 8, v0
	v_lshrrev_b32_e32 v6, 6, v1
	s_wait_kmcnt 0x0
	s_delay_alu instid0(VALU_DEP_1)
	v_cmp_gt_i32_e32 vcc_lo, s12, v6
	s_and_b32 exec_lo, exec_lo, vcc_lo
	s_cbranch_execz .LBB269_12
; %bb.2:
	v_mbcnt_lo_u32_b32 v10, -1, 0
	s_clause 0x2
	s_load_b256 s[4:11], s[0:1], 0x18
	s_load_b32 s13, s[0:1], 0x50
	s_load_b64 s[2:3], s[0:1], 0x40
	s_wait_xcnt 0x0
	v_cmp_neq_f32_e64 s0, 0, v4
	v_cmp_neq_f32_e64 s1, 0, v5
	v_xor_b32_e32 v12, 16, v10
	v_or_b32_e32 v11, 32, v10
	s_ashr_i32 s17, s16, 31
	s_delay_alu instid0(SALU_CYCLE_1) | instskip(SKIP_1) | instid1(VALU_DEP_1)
	s_lshl_b64 s[18:19], s[16:17], 3
	s_mov_b32 s17, 0
	v_cmp_gt_i32_e32 vcc_lo, 32, v11
	v_and_b32_e32 v7, 63, v0
	v_mov_b64_e32 v[0:1], 0x8000000000000000
	s_or_b32 s1, s0, s1
	v_cndmask_b32_e32 v11, v10, v11, vcc_lo
	s_delay_alu instid0(VALU_DEP_3) | instskip(NEXT) | instid1(VALU_DEP_3)
	v_subrev_nc_u32_e32 v14, s16, v7
	v_pk_mul_f32 v[8:9], v[2:3], v[0:1]
	s_delay_alu instid0(VALU_DEP_3)
	v_dual_lshlrev_b32 v15, 2, v11 :: v_dual_bitop2_b32 v13, 8, v10 bitop3:0x14
	s_wait_kmcnt 0x0
	s_lshl_b32 s13, s13, 2
	s_sub_nc_u64 s[10:11], s[10:11], s[18:19]
	v_mov_b32_e32 v0, v9
	v_cmp_gt_i32_e32 vcc_lo, 32, v12
	v_dual_mov_b32 v1, v8 :: v_dual_bitop2_b32 v8, 4, v10 bitop3:0x14
	v_cndmask_b32_e32 v12, v10, v12, vcc_lo
	v_cmp_gt_i32_e32 vcc_lo, 32, v13
	s_delay_alu instid0(VALU_DEP_2) | instskip(SKIP_2) | instid1(VALU_DEP_2)
	v_dual_lshlrev_b32 v16, 2, v12 :: v_dual_bitop2_b32 v9, 2, v10 bitop3:0x14
	v_cndmask_b32_e32 v11, v10, v13, vcc_lo
	v_cmp_gt_i32_e32 vcc_lo, 32, v8
	v_dual_lshlrev_b32 v17, 2, v11 :: v_dual_bitop2_b32 v13, 1, v10 bitop3:0x14
	v_cndmask_b32_e32 v8, v10, v8, vcc_lo
	v_cmp_gt_i32_e32 vcc_lo, 32, v9
	v_cndmask_b32_e32 v9, v10, v9, vcc_lo
	s_delay_alu instid0(VALU_DEP_4) | instskip(NEXT) | instid1(VALU_DEP_4)
	v_cmp_gt_i32_e32 vcc_lo, 32, v13
	v_lshlrev_b32_e32 v18, 2, v8
	v_xor_b32_e32 v8, 0x80000000, v5
	s_delay_alu instid0(VALU_DEP_4) | instskip(SKIP_2) | instid1(VALU_DEP_2)
	v_lshlrev_b32_e32 v19, 2, v9
	v_dual_cndmask_b32 v10, v10, v13 :: v_dual_mov_b32 v9, v4
	v_cmp_eq_u32_e32 vcc_lo, 63, v7
	v_lshlrev_b32_e32 v20, 2, v10
	s_branch .LBB269_5
.LBB269_3:                              ;   in Loop: Header=BB269_5 Depth=1
	s_wait_xcnt 0x0
	s_or_b32 exec_lo, exec_lo, s18
	global_store_b64 v[10:11], v[12:13], off
.LBB269_4:                              ;   in Loop: Header=BB269_5 Depth=1
	s_wait_xcnt 0x0
	s_or_b32 exec_lo, exec_lo, s0
	v_add_nc_u32_e32 v6, s13, v6
	s_delay_alu instid0(VALU_DEP_1) | instskip(SKIP_1) | instid1(SALU_CYCLE_1)
	v_cmp_le_i32_e64 s0, s12, v6
	s_or_b32 s17, s0, s17
	s_and_not1_b32 exec_lo, exec_lo, s17
	s_cbranch_execz .LBB269_12
.LBB269_5:                              ; =>This Loop Header: Depth=1
                                        ;     Child Loop BB269_7 Depth 2
	s_clause 0x1
	global_load_b32 v7, v6, s[4:5] scale_offset
	global_load_b32 v10, v6, s[14:15] scale_offset
	s_mov_b32 s18, exec_lo
	v_mov_b32_e32 v11, 0
	s_wait_loadcnt 0x1
	v_subrev_nc_u32_e32 v7, s16, v7
	s_wait_loadcnt_dscnt 0x1
	s_delay_alu instid0(VALU_DEP_2) | instskip(SKIP_1) | instid1(VALU_DEP_1)
	v_dual_add_nc_u32 v12, v10, v14 :: v_dual_mov_b32 v10, v11
	s_wait_xcnt 0x0
	v_cmpx_lt_i32_e64 v12, v7
	s_cbranch_execz .LBB269_9
; %bb.6:                                ;   in Loop: Header=BB269_5 Depth=1
	v_mov_b32_e32 v10, 0
	s_mov_b32 s19, 0
	s_delay_alu instid0(VALU_DEP_1)
	v_mov_b32_e32 v11, v10
.LBB269_7:                              ;   Parent Loop BB269_5 Depth=1
                                        ; =>  This Inner Loop Header: Depth=2
	s_wait_dscnt 0x0
	s_clause 0x1
	global_load_b32 v13, v12, s[6:7] scale_offset
	global_load_b32 v22, v12, s[8:9] scale_offset
	s_wait_xcnt 0x0
	v_add_nc_u32_e32 v12, 64, v12
	s_delay_alu instid0(VALU_DEP_1)
	v_cmp_ge_i32_e64 s0, v12, v7
	s_or_b32 s19, s0, s19
	s_wait_loadcnt 0x1
	global_load_b64 v[24:25], v13, s[10:11] scale_offset
	s_wait_loadcnt 0x1
	v_pk_fma_f32 v[22:23], v[2:3], v[22:23], v[0:1] op_sel_hi:[1,0,1]
	s_wait_loadcnt 0x0
	s_delay_alu instid0(VALU_DEP_1) | instskip(NEXT) | instid1(VALU_DEP_1)
	v_pk_fma_f32 v[10:11], v[22:23], v[24:25], v[10:11] op_sel_hi:[1,0,1]
	v_pk_fma_f32 v[10:11], v[22:23], v[24:25], v[10:11] op_sel:[1,1,0] op_sel_hi:[0,1,1] neg_lo:[1,0,0]
	s_wait_xcnt 0x0
	s_and_not1_b32 exec_lo, exec_lo, s19
	s_cbranch_execnz .LBB269_7
; %bb.8:                                ;   in Loop: Header=BB269_5 Depth=1
	s_or_b32 exec_lo, exec_lo, s19
.LBB269_9:                              ;   in Loop: Header=BB269_5 Depth=1
	s_delay_alu instid0(SALU_CYCLE_1)
	s_or_b32 exec_lo, exec_lo, s18
	ds_bpermute_b32 v12, v15, v10
	s_wait_dscnt 0x1
	ds_bpermute_b32 v13, v15, v11
	v_ashrrev_i32_e32 v7, 31, v6
	s_wait_dscnt 0x0
	v_pk_add_f32 v[10:11], v[10:11], v[12:13]
	ds_bpermute_b32 v12, v16, v10
	ds_bpermute_b32 v13, v16, v11
	s_wait_dscnt 0x0
	v_pk_add_f32 v[10:11], v[10:11], v[12:13]
	ds_bpermute_b32 v12, v17, v10
	ds_bpermute_b32 v13, v17, v11
	;; [unrolled: 4-line block ×5, first 2 shown]
	s_and_saveexec_b32 s0, vcc_lo
	s_cbranch_execz .LBB269_4
; %bb.10:                               ;   in Loop: Header=BB269_5 Depth=1
	s_wait_dscnt 0x0
	v_pk_add_f32 v[12:13], v[10:11], v[12:13]
	v_lshl_add_u64 v[10:11], v[6:7], 3, s[2:3]
	s_and_saveexec_b32 s18, s1
	s_cbranch_execz .LBB269_3
; %bb.11:                               ;   in Loop: Header=BB269_5 Depth=1
	global_load_b64 v[22:23], v[10:11], off
	s_wait_loadcnt 0x0
	v_pk_fma_f32 v[12:13], v[4:5], v[22:23], v[12:13] op_sel_hi:[1,0,1]
	s_delay_alu instid0(VALU_DEP_1)
	v_pk_fma_f32 v[12:13], v[8:9], v[22:23], v[12:13] op_sel:[0,1,0]
	s_branch .LBB269_3
.LBB269_12:
	s_endpgm
	.section	.rodata,"a",@progbits
	.p2align	6, 0x0
	.amdhsa_kernel _ZN9rocsparseL21csrmvn_general_kernelILj256ELj64Eiif21rocsparse_complex_numIfES2_S2_EEvbT2_NS_24const_host_device_scalarIT6_EEPKT1_S9_PKS3_PKT3_PKT4_S6_PT5_21rocsparse_index_base_b
		.amdhsa_group_segment_fixed_size 0
		.amdhsa_private_segment_fixed_size 0
		.amdhsa_kernarg_size 336
		.amdhsa_user_sgpr_count 2
		.amdhsa_user_sgpr_dispatch_ptr 0
		.amdhsa_user_sgpr_queue_ptr 0
		.amdhsa_user_sgpr_kernarg_segment_ptr 1
		.amdhsa_user_sgpr_dispatch_id 0
		.amdhsa_user_sgpr_kernarg_preload_length 0
		.amdhsa_user_sgpr_kernarg_preload_offset 0
		.amdhsa_user_sgpr_private_segment_size 0
		.amdhsa_wavefront_size32 1
		.amdhsa_uses_dynamic_stack 0
		.amdhsa_enable_private_segment 0
		.amdhsa_system_sgpr_workgroup_id_x 1
		.amdhsa_system_sgpr_workgroup_id_y 0
		.amdhsa_system_sgpr_workgroup_id_z 0
		.amdhsa_system_sgpr_workgroup_info 0
		.amdhsa_system_vgpr_workitem_id 0
		.amdhsa_next_free_vgpr 26
		.amdhsa_next_free_sgpr 20
		.amdhsa_named_barrier_count 0
		.amdhsa_reserve_vcc 1
		.amdhsa_float_round_mode_32 0
		.amdhsa_float_round_mode_16_64 0
		.amdhsa_float_denorm_mode_32 3
		.amdhsa_float_denorm_mode_16_64 3
		.amdhsa_fp16_overflow 0
		.amdhsa_memory_ordered 1
		.amdhsa_forward_progress 1
		.amdhsa_inst_pref_size 9
		.amdhsa_round_robin_scheduling 0
		.amdhsa_exception_fp_ieee_invalid_op 0
		.amdhsa_exception_fp_denorm_src 0
		.amdhsa_exception_fp_ieee_div_zero 0
		.amdhsa_exception_fp_ieee_overflow 0
		.amdhsa_exception_fp_ieee_underflow 0
		.amdhsa_exception_fp_ieee_inexact 0
		.amdhsa_exception_int_div_zero 0
	.end_amdhsa_kernel
	.section	.text._ZN9rocsparseL21csrmvn_general_kernelILj256ELj64Eiif21rocsparse_complex_numIfES2_S2_EEvbT2_NS_24const_host_device_scalarIT6_EEPKT1_S9_PKS3_PKT3_PKT4_S6_PT5_21rocsparse_index_base_b,"axG",@progbits,_ZN9rocsparseL21csrmvn_general_kernelILj256ELj64Eiif21rocsparse_complex_numIfES2_S2_EEvbT2_NS_24const_host_device_scalarIT6_EEPKT1_S9_PKS3_PKT3_PKT4_S6_PT5_21rocsparse_index_base_b,comdat
.Lfunc_end269:
	.size	_ZN9rocsparseL21csrmvn_general_kernelILj256ELj64Eiif21rocsparse_complex_numIfES2_S2_EEvbT2_NS_24const_host_device_scalarIT6_EEPKT1_S9_PKS3_PKT3_PKT4_S6_PT5_21rocsparse_index_base_b, .Lfunc_end269-_ZN9rocsparseL21csrmvn_general_kernelILj256ELj64Eiif21rocsparse_complex_numIfES2_S2_EEvbT2_NS_24const_host_device_scalarIT6_EEPKT1_S9_PKS3_PKT3_PKT4_S6_PT5_21rocsparse_index_base_b
                                        ; -- End function
	.set _ZN9rocsparseL21csrmvn_general_kernelILj256ELj64Eiif21rocsparse_complex_numIfES2_S2_EEvbT2_NS_24const_host_device_scalarIT6_EEPKT1_S9_PKS3_PKT3_PKT4_S6_PT5_21rocsparse_index_base_b.num_vgpr, 26
	.set _ZN9rocsparseL21csrmvn_general_kernelILj256ELj64Eiif21rocsparse_complex_numIfES2_S2_EEvbT2_NS_24const_host_device_scalarIT6_EEPKT1_S9_PKS3_PKT3_PKT4_S6_PT5_21rocsparse_index_base_b.num_agpr, 0
	.set _ZN9rocsparseL21csrmvn_general_kernelILj256ELj64Eiif21rocsparse_complex_numIfES2_S2_EEvbT2_NS_24const_host_device_scalarIT6_EEPKT1_S9_PKS3_PKT3_PKT4_S6_PT5_21rocsparse_index_base_b.numbered_sgpr, 20
	.set _ZN9rocsparseL21csrmvn_general_kernelILj256ELj64Eiif21rocsparse_complex_numIfES2_S2_EEvbT2_NS_24const_host_device_scalarIT6_EEPKT1_S9_PKS3_PKT3_PKT4_S6_PT5_21rocsparse_index_base_b.num_named_barrier, 0
	.set _ZN9rocsparseL21csrmvn_general_kernelILj256ELj64Eiif21rocsparse_complex_numIfES2_S2_EEvbT2_NS_24const_host_device_scalarIT6_EEPKT1_S9_PKS3_PKT3_PKT4_S6_PT5_21rocsparse_index_base_b.private_seg_size, 0
	.set _ZN9rocsparseL21csrmvn_general_kernelILj256ELj64Eiif21rocsparse_complex_numIfES2_S2_EEvbT2_NS_24const_host_device_scalarIT6_EEPKT1_S9_PKS3_PKT3_PKT4_S6_PT5_21rocsparse_index_base_b.uses_vcc, 1
	.set _ZN9rocsparseL21csrmvn_general_kernelILj256ELj64Eiif21rocsparse_complex_numIfES2_S2_EEvbT2_NS_24const_host_device_scalarIT6_EEPKT1_S9_PKS3_PKT3_PKT4_S6_PT5_21rocsparse_index_base_b.uses_flat_scratch, 1
	.set _ZN9rocsparseL21csrmvn_general_kernelILj256ELj64Eiif21rocsparse_complex_numIfES2_S2_EEvbT2_NS_24const_host_device_scalarIT6_EEPKT1_S9_PKS3_PKT3_PKT4_S6_PT5_21rocsparse_index_base_b.has_dyn_sized_stack, 0
	.set _ZN9rocsparseL21csrmvn_general_kernelILj256ELj64Eiif21rocsparse_complex_numIfES2_S2_EEvbT2_NS_24const_host_device_scalarIT6_EEPKT1_S9_PKS3_PKT3_PKT4_S6_PT5_21rocsparse_index_base_b.has_recursion, 0
	.set _ZN9rocsparseL21csrmvn_general_kernelILj256ELj64Eiif21rocsparse_complex_numIfES2_S2_EEvbT2_NS_24const_host_device_scalarIT6_EEPKT1_S9_PKS3_PKT3_PKT4_S6_PT5_21rocsparse_index_base_b.has_indirect_call, 0
	.section	.AMDGPU.csdata,"",@progbits
; Kernel info:
; codeLenInByte = 1040
; TotalNumSgprs: 22
; NumVgprs: 26
; ScratchSize: 0
; MemoryBound: 0
; FloatMode: 240
; IeeeMode: 1
; LDSByteSize: 0 bytes/workgroup (compile time only)
; SGPRBlocks: 0
; VGPRBlocks: 1
; NumSGPRsForWavesPerEU: 22
; NumVGPRsForWavesPerEU: 26
; NamedBarCnt: 0
; Occupancy: 16
; WaveLimiterHint : 1
; COMPUTE_PGM_RSRC2:SCRATCH_EN: 0
; COMPUTE_PGM_RSRC2:USER_SGPR: 2
; COMPUTE_PGM_RSRC2:TRAP_HANDLER: 0
; COMPUTE_PGM_RSRC2:TGID_X_EN: 1
; COMPUTE_PGM_RSRC2:TGID_Y_EN: 0
; COMPUTE_PGM_RSRC2:TGID_Z_EN: 0
; COMPUTE_PGM_RSRC2:TIDIG_COMP_CNT: 0
	.section	.text._ZN9rocsparseL21csrmvt_general_kernelILj256ELj4Eiif21rocsparse_complex_numIfES2_S2_EEvbbT2_NS_24const_host_device_scalarIT6_EEPKT1_S9_PKS3_PKT3_PKT4_PT5_21rocsparse_index_base_b,"axG",@progbits,_ZN9rocsparseL21csrmvt_general_kernelILj256ELj4Eiif21rocsparse_complex_numIfES2_S2_EEvbbT2_NS_24const_host_device_scalarIT6_EEPKT1_S9_PKS3_PKT3_PKT4_PT5_21rocsparse_index_base_b,comdat
	.globl	_ZN9rocsparseL21csrmvt_general_kernelILj256ELj4Eiif21rocsparse_complex_numIfES2_S2_EEvbbT2_NS_24const_host_device_scalarIT6_EEPKT1_S9_PKS3_PKT3_PKT4_PT5_21rocsparse_index_base_b ; -- Begin function _ZN9rocsparseL21csrmvt_general_kernelILj256ELj4Eiif21rocsparse_complex_numIfES2_S2_EEvbbT2_NS_24const_host_device_scalarIT6_EEPKT1_S9_PKS3_PKT3_PKT4_PT5_21rocsparse_index_base_b
	.p2align	8
	.type	_ZN9rocsparseL21csrmvt_general_kernelILj256ELj4Eiif21rocsparse_complex_numIfES2_S2_EEvbbT2_NS_24const_host_device_scalarIT6_EEPKT1_S9_PKS3_PKT3_PKT4_PT5_21rocsparse_index_base_b,@function
_ZN9rocsparseL21csrmvt_general_kernelILj256ELj4Eiif21rocsparse_complex_numIfES2_S2_EEvbbT2_NS_24const_host_device_scalarIT6_EEPKT1_S9_PKS3_PKT3_PKT4_PT5_21rocsparse_index_base_b: ; @_ZN9rocsparseL21csrmvt_general_kernelILj256ELj4Eiif21rocsparse_complex_numIfES2_S2_EEvbbT2_NS_24const_host_device_scalarIT6_EEPKT1_S9_PKS3_PKT3_PKT4_PT5_21rocsparse_index_base_b
; %bb.0:
	s_clause 0x1
	s_load_b64 s[16:17], s[0:1], 0x40
	s_load_b128 s[12:15], s[0:1], 0x8
	v_mov_b32_e32 v1, 0
	s_add_nc_u64 s[2:3], s[0:1], 8
	s_wait_kmcnt 0x0
	s_bitcmp1_b32 s17, 0
	s_cselect_b32 s3, s3, s13
	s_cselect_b32 s2, s2, s12
	flat_load_b64 v[2:3], v1, s[2:3]
	s_wait_loadcnt_dscnt 0x0
	v_cmp_neq_f32_e32 vcc_lo, 0, v2
	v_cmp_neq_f32_e64 s2, 0, v3
	s_or_b32 s2, vcc_lo, s2
	s_delay_alu instid0(SALU_CYCLE_1)
	s_and_saveexec_b32 s3, s2
	s_cbranch_execz .LBB270_18
; %bb.1:
	s_clause 0x3
	s_load_b64 s[2:3], s[0:1], 0x0
	s_load_b32 s17, s[0:1], 0x48
	s_load_b64 s[12:13], s[0:1], 0x38
	s_load_b256 s[4:11], s[0:1], 0x18
	s_wait_xcnt 0x0
	s_bfe_u32 s0, ttmp6, 0x4000c
	s_and_b32 s18, ttmp6, 15
	s_add_co_i32 s0, s0, 1
	s_getreg_b32 s19, hwreg(HW_REG_IB_STS2, 6, 4)
	s_mul_i32 s0, ttmp9, s0
	v_and_b32_e32 v5, 3, v0
	s_add_co_i32 s18, s18, s0
	s_wait_kmcnt 0x0
	s_and_b32 s2, s2, 1
	s_lshl_b32 s1, s17, 6
	s_cmp_eq_u32 s19, 0
	s_cselect_b32 s0, ttmp9, s18
	s_cmp_eq_u32 s2, 0
	v_lshl_or_b32 v1, s0, 8, v0
	s_mov_b32 s2, -1
	s_delay_alu instid0(VALU_DEP_1) | instskip(NEXT) | instid1(VALU_DEP_1)
	v_lshrrev_b32_e32 v4, 2, v1
	v_cmp_gt_i32_e64 s0, s3, v4
	s_cbranch_scc0 .LBB270_9
; %bb.2:
	s_and_saveexec_b32 s2, s0
	s_cbranch_execz .LBB270_8
; %bb.3:
	v_subrev_nc_u32_e32 v6, s16, v5
	v_mov_b32_e32 v0, v4
	s_mov_b32 s17, 0
	s_branch .LBB270_5
.LBB270_4:                              ;   in Loop: Header=BB270_5 Depth=1
	s_or_b32 exec_lo, exec_lo, s18
	v_add_nc_u32_e32 v0, s1, v0
	s_delay_alu instid0(VALU_DEP_1) | instskip(SKIP_1) | instid1(SALU_CYCLE_1)
	v_cmp_le_i32_e32 vcc_lo, s3, v0
	s_or_b32 s17, vcc_lo, s17
	s_and_not1_b32 exec_lo, exec_lo, s17
	s_cbranch_execz .LBB270_8
.LBB270_5:                              ; =>This Loop Header: Depth=1
                                        ;     Child Loop BB270_7 Depth 2
	s_clause 0x1
	global_load_b32 v1, v0, s[4:5] scale_offset
	global_load_b32 v8, v0, s[14:15] scale_offset
	s_mov_b32 s18, exec_lo
	s_wait_loadcnt 0x1
	v_subrev_nc_u32_e32 v7, s16, v1
	s_wait_loadcnt 0x0
	v_add_nc_u32_e32 v8, v8, v6
	s_wait_xcnt 0x0
	s_delay_alu instid0(VALU_DEP_1)
	v_cmpx_lt_i32_e64 v8, v7
	s_cbranch_execz .LBB270_4
; %bb.6:                                ;   in Loop: Header=BB270_5 Depth=1
	v_ashrrev_i32_e32 v1, 31, v0
	s_mov_b32 s19, 0
	s_delay_alu instid0(VALU_DEP_1) | instskip(SKIP_3) | instid1(VALU_DEP_1)
	v_lshl_add_u64 v[10:11], v[0:1], 3, s[10:11]
	global_load_b64 v[10:11], v[10:11], off
	s_wait_loadcnt 0x0
	v_mul_f32_e64 v9, v11, -v3
	v_dual_mul_f32 v1, v2, v11 :: v_dual_fmac_f32 v9, v2, v10
	s_wait_xcnt 0x0
	s_delay_alu instid0(VALU_DEP_1) | instskip(NEXT) | instid1(VALU_DEP_1)
	v_dual_fmac_f32 v1, v3, v10 :: v_dual_mul_f32 v11, 0, v9
	v_mul_f32_e32 v10, 0x80000000, v1
.LBB270_7:                              ;   Parent Loop BB270_5 Depth=1
                                        ; =>  This Inner Loop Header: Depth=2
	s_clause 0x1
	global_load_b32 v12, v8, s[6:7] scale_offset
	global_load_b32 v14, v8, s[8:9] scale_offset
	s_wait_xcnt 0x0
	v_add_nc_u32_e32 v8, 4, v8
	s_delay_alu instid0(VALU_DEP_1)
	v_cmp_ge_i32_e32 vcc_lo, v8, v7
	s_or_b32 s19, vcc_lo, s19
	s_wait_loadcnt 0x1
	v_subrev_nc_u32_e32 v12, s16, v12
	s_wait_loadcnt 0x0
	v_fma_f32 v15, v9, v14, v10
	s_delay_alu instid0(VALU_DEP_2) | instskip(NEXT) | instid1(VALU_DEP_1)
	v_dual_fma_f32 v14, v1, v14, v11 :: v_dual_ashrrev_i32 v13, 31, v12
	v_lshl_add_u64 v[12:13], v[12:13], 3, s[12:13]
	global_atomic_add_f32 v[12:13], v15, off scope:SCOPE_DEV
	s_wait_xcnt 0x0
	global_atomic_add_f32 v[12:13], v14, off offset:4 scope:SCOPE_DEV
	s_wait_xcnt 0x0
	s_and_not1_b32 exec_lo, exec_lo, s19
	s_cbranch_execnz .LBB270_7
	s_branch .LBB270_4
.LBB270_8:
	s_or_b32 exec_lo, exec_lo, s2
	s_mov_b32 s2, 0
.LBB270_9:
	s_delay_alu instid0(SALU_CYCLE_1)
	s_and_not1_b32 vcc_lo, exec_lo, s2
	s_cbranch_vccnz .LBB270_18
; %bb.10:
	s_and_b32 exec_lo, exec_lo, s0
	s_cbranch_execz .LBB270_18
; %bb.11:
	v_subrev_nc_u32_e32 v8, s16, v5
	s_mov_b32 s0, 0
	s_branch .LBB270_13
.LBB270_12:                             ;   in Loop: Header=BB270_13 Depth=1
	s_or_b32 exec_lo, exec_lo, s2
	v_add_nc_u32_e32 v4, s1, v4
	s_delay_alu instid0(VALU_DEP_1) | instskip(SKIP_1) | instid1(SALU_CYCLE_1)
	v_cmp_le_i32_e32 vcc_lo, s3, v4
	s_or_b32 s0, vcc_lo, s0
	s_and_not1_b32 exec_lo, exec_lo, s0
	s_cbranch_execz .LBB270_18
.LBB270_13:                             ; =>This Loop Header: Depth=1
                                        ;     Child Loop BB270_16 Depth 2
	s_clause 0x1
	global_load_b32 v0, v4, s[4:5] scale_offset
	global_load_b32 v1, v4, s[14:15] scale_offset
	s_mov_b32 s2, exec_lo
	s_wait_loadcnt 0x1
	v_subrev_nc_u32_e32 v9, s16, v0
	s_wait_loadcnt 0x0
	v_add_nc_u32_e32 v0, v1, v8
	s_wait_xcnt 0x0
	s_delay_alu instid0(VALU_DEP_1)
	v_cmpx_lt_i32_e64 v0, v9
	s_cbranch_execz .LBB270_12
; %bb.14:                               ;   in Loop: Header=BB270_13 Depth=1
	v_ashrrev_i32_e32 v5, 31, v4
	s_mov_b32 s17, 0
	s_delay_alu instid0(VALU_DEP_1) | instskip(SKIP_3) | instid1(VALU_DEP_1)
	v_lshl_add_u64 v[6:7], v[4:5], 3, s[10:11]
	global_load_b64 v[6:7], v[6:7], off
	s_wait_loadcnt 0x0
	v_mul_f32_e64 v10, v7, -v3
	v_dual_mul_f32 v5, v2, v7 :: v_dual_fmac_f32 v10, v2, v6
	s_delay_alu instid0(VALU_DEP_1) | instskip(NEXT) | instid1(VALU_DEP_1)
	v_fmac_f32_e32 v5, v3, v6
	v_dual_mul_f32 v12, 0, v10 :: v_dual_mul_f32 v11, 0x80000000, v5
	s_branch .LBB270_16
.LBB270_15:                             ;   in Loop: Header=BB270_16 Depth=2
	s_wait_xcnt 0x0
	s_or_b32 exec_lo, exec_lo, s18
	v_add_nc_u32_e32 v0, 4, v0
	s_delay_alu instid0(VALU_DEP_1) | instskip(SKIP_1) | instid1(SALU_CYCLE_1)
	v_cmp_ge_i32_e32 vcc_lo, v0, v9
	s_or_b32 s17, vcc_lo, s17
	s_and_not1_b32 exec_lo, exec_lo, s17
	s_cbranch_execz .LBB270_12
.LBB270_16:                             ;   Parent Loop BB270_13 Depth=1
                                        ; =>  This Inner Loop Header: Depth=2
	global_load_b32 v1, v0, s[6:7] scale_offset
	s_mov_b32 s18, exec_lo
	s_wait_loadcnt 0x0
	s_wait_xcnt 0x1
	v_subrev_nc_u32_e32 v6, s16, v1
	v_ashrrev_i32_e32 v1, 31, v0
	s_wait_xcnt 0x0
	s_delay_alu instid0(VALU_DEP_2)
	v_cmpx_ne_u32_e64 v6, v4
	s_cbranch_execz .LBB270_15
; %bb.17:                               ;   in Loop: Header=BB270_16 Depth=2
	s_delay_alu instid0(VALU_DEP_2) | instskip(SKIP_3) | instid1(VALU_DEP_1)
	v_lshl_add_u64 v[14:15], v[0:1], 2, s[8:9]
	global_load_b32 v1, v[14:15], off
	s_wait_loadcnt 0x0
	v_dual_ashrrev_i32 v7, 31, v6 :: v_dual_fma_f32 v13, v10, v1, v11
	v_lshl_add_u64 v[6:7], v[6:7], 3, s[12:13]
	v_fma_f32 v1, v5, v1, v12
	s_wait_xcnt 0x0
	global_atomic_add_f32 v[6:7], v13, off scope:SCOPE_DEV
	s_wait_xcnt 0x0
	global_atomic_add_f32 v[6:7], v1, off offset:4 scope:SCOPE_DEV
	s_branch .LBB270_15
.LBB270_18:
	s_endpgm
	.section	.rodata,"a",@progbits
	.p2align	6, 0x0
	.amdhsa_kernel _ZN9rocsparseL21csrmvt_general_kernelILj256ELj4Eiif21rocsparse_complex_numIfES2_S2_EEvbbT2_NS_24const_host_device_scalarIT6_EEPKT1_S9_PKS3_PKT3_PKT4_PT5_21rocsparse_index_base_b
		.amdhsa_group_segment_fixed_size 0
		.amdhsa_private_segment_fixed_size 0
		.amdhsa_kernarg_size 328
		.amdhsa_user_sgpr_count 2
		.amdhsa_user_sgpr_dispatch_ptr 0
		.amdhsa_user_sgpr_queue_ptr 0
		.amdhsa_user_sgpr_kernarg_segment_ptr 1
		.amdhsa_user_sgpr_dispatch_id 0
		.amdhsa_user_sgpr_kernarg_preload_length 0
		.amdhsa_user_sgpr_kernarg_preload_offset 0
		.amdhsa_user_sgpr_private_segment_size 0
		.amdhsa_wavefront_size32 1
		.amdhsa_uses_dynamic_stack 0
		.amdhsa_enable_private_segment 0
		.amdhsa_system_sgpr_workgroup_id_x 1
		.amdhsa_system_sgpr_workgroup_id_y 0
		.amdhsa_system_sgpr_workgroup_id_z 0
		.amdhsa_system_sgpr_workgroup_info 0
		.amdhsa_system_vgpr_workitem_id 0
		.amdhsa_next_free_vgpr 16
		.amdhsa_next_free_sgpr 20
		.amdhsa_named_barrier_count 0
		.amdhsa_reserve_vcc 1
		.amdhsa_float_round_mode_32 0
		.amdhsa_float_round_mode_16_64 0
		.amdhsa_float_denorm_mode_32 3
		.amdhsa_float_denorm_mode_16_64 3
		.amdhsa_fp16_overflow 0
		.amdhsa_memory_ordered 1
		.amdhsa_forward_progress 1
		.amdhsa_inst_pref_size 8
		.amdhsa_round_robin_scheduling 0
		.amdhsa_exception_fp_ieee_invalid_op 0
		.amdhsa_exception_fp_denorm_src 0
		.amdhsa_exception_fp_ieee_div_zero 0
		.amdhsa_exception_fp_ieee_overflow 0
		.amdhsa_exception_fp_ieee_underflow 0
		.amdhsa_exception_fp_ieee_inexact 0
		.amdhsa_exception_int_div_zero 0
	.end_amdhsa_kernel
	.section	.text._ZN9rocsparseL21csrmvt_general_kernelILj256ELj4Eiif21rocsparse_complex_numIfES2_S2_EEvbbT2_NS_24const_host_device_scalarIT6_EEPKT1_S9_PKS3_PKT3_PKT4_PT5_21rocsparse_index_base_b,"axG",@progbits,_ZN9rocsparseL21csrmvt_general_kernelILj256ELj4Eiif21rocsparse_complex_numIfES2_S2_EEvbbT2_NS_24const_host_device_scalarIT6_EEPKT1_S9_PKS3_PKT3_PKT4_PT5_21rocsparse_index_base_b,comdat
.Lfunc_end270:
	.size	_ZN9rocsparseL21csrmvt_general_kernelILj256ELj4Eiif21rocsparse_complex_numIfES2_S2_EEvbbT2_NS_24const_host_device_scalarIT6_EEPKT1_S9_PKS3_PKT3_PKT4_PT5_21rocsparse_index_base_b, .Lfunc_end270-_ZN9rocsparseL21csrmvt_general_kernelILj256ELj4Eiif21rocsparse_complex_numIfES2_S2_EEvbbT2_NS_24const_host_device_scalarIT6_EEPKT1_S9_PKS3_PKT3_PKT4_PT5_21rocsparse_index_base_b
                                        ; -- End function
	.set _ZN9rocsparseL21csrmvt_general_kernelILj256ELj4Eiif21rocsparse_complex_numIfES2_S2_EEvbbT2_NS_24const_host_device_scalarIT6_EEPKT1_S9_PKS3_PKT3_PKT4_PT5_21rocsparse_index_base_b.num_vgpr, 16
	.set _ZN9rocsparseL21csrmvt_general_kernelILj256ELj4Eiif21rocsparse_complex_numIfES2_S2_EEvbbT2_NS_24const_host_device_scalarIT6_EEPKT1_S9_PKS3_PKT3_PKT4_PT5_21rocsparse_index_base_b.num_agpr, 0
	.set _ZN9rocsparseL21csrmvt_general_kernelILj256ELj4Eiif21rocsparse_complex_numIfES2_S2_EEvbbT2_NS_24const_host_device_scalarIT6_EEPKT1_S9_PKS3_PKT3_PKT4_PT5_21rocsparse_index_base_b.numbered_sgpr, 20
	.set _ZN9rocsparseL21csrmvt_general_kernelILj256ELj4Eiif21rocsparse_complex_numIfES2_S2_EEvbbT2_NS_24const_host_device_scalarIT6_EEPKT1_S9_PKS3_PKT3_PKT4_PT5_21rocsparse_index_base_b.num_named_barrier, 0
	.set _ZN9rocsparseL21csrmvt_general_kernelILj256ELj4Eiif21rocsparse_complex_numIfES2_S2_EEvbbT2_NS_24const_host_device_scalarIT6_EEPKT1_S9_PKS3_PKT3_PKT4_PT5_21rocsparse_index_base_b.private_seg_size, 0
	.set _ZN9rocsparseL21csrmvt_general_kernelILj256ELj4Eiif21rocsparse_complex_numIfES2_S2_EEvbbT2_NS_24const_host_device_scalarIT6_EEPKT1_S9_PKS3_PKT3_PKT4_PT5_21rocsparse_index_base_b.uses_vcc, 1
	.set _ZN9rocsparseL21csrmvt_general_kernelILj256ELj4Eiif21rocsparse_complex_numIfES2_S2_EEvbbT2_NS_24const_host_device_scalarIT6_EEPKT1_S9_PKS3_PKT3_PKT4_PT5_21rocsparse_index_base_b.uses_flat_scratch, 0
	.set _ZN9rocsparseL21csrmvt_general_kernelILj256ELj4Eiif21rocsparse_complex_numIfES2_S2_EEvbbT2_NS_24const_host_device_scalarIT6_EEPKT1_S9_PKS3_PKT3_PKT4_PT5_21rocsparse_index_base_b.has_dyn_sized_stack, 0
	.set _ZN9rocsparseL21csrmvt_general_kernelILj256ELj4Eiif21rocsparse_complex_numIfES2_S2_EEvbbT2_NS_24const_host_device_scalarIT6_EEPKT1_S9_PKS3_PKT3_PKT4_PT5_21rocsparse_index_base_b.has_recursion, 0
	.set _ZN9rocsparseL21csrmvt_general_kernelILj256ELj4Eiif21rocsparse_complex_numIfES2_S2_EEvbbT2_NS_24const_host_device_scalarIT6_EEPKT1_S9_PKS3_PKT3_PKT4_PT5_21rocsparse_index_base_b.has_indirect_call, 0
	.section	.AMDGPU.csdata,"",@progbits
; Kernel info:
; codeLenInByte = 948
; TotalNumSgprs: 22
; NumVgprs: 16
; ScratchSize: 0
; MemoryBound: 0
; FloatMode: 240
; IeeeMode: 1
; LDSByteSize: 0 bytes/workgroup (compile time only)
; SGPRBlocks: 0
; VGPRBlocks: 0
; NumSGPRsForWavesPerEU: 22
; NumVGPRsForWavesPerEU: 16
; NamedBarCnt: 0
; Occupancy: 16
; WaveLimiterHint : 1
; COMPUTE_PGM_RSRC2:SCRATCH_EN: 0
; COMPUTE_PGM_RSRC2:USER_SGPR: 2
; COMPUTE_PGM_RSRC2:TRAP_HANDLER: 0
; COMPUTE_PGM_RSRC2:TGID_X_EN: 1
; COMPUTE_PGM_RSRC2:TGID_Y_EN: 0
; COMPUTE_PGM_RSRC2:TGID_Z_EN: 0
; COMPUTE_PGM_RSRC2:TIDIG_COMP_CNT: 0
	.section	.text._ZN9rocsparseL21csrmvt_general_kernelILj256ELj8Eiif21rocsparse_complex_numIfES2_S2_EEvbbT2_NS_24const_host_device_scalarIT6_EEPKT1_S9_PKS3_PKT3_PKT4_PT5_21rocsparse_index_base_b,"axG",@progbits,_ZN9rocsparseL21csrmvt_general_kernelILj256ELj8Eiif21rocsparse_complex_numIfES2_S2_EEvbbT2_NS_24const_host_device_scalarIT6_EEPKT1_S9_PKS3_PKT3_PKT4_PT5_21rocsparse_index_base_b,comdat
	.globl	_ZN9rocsparseL21csrmvt_general_kernelILj256ELj8Eiif21rocsparse_complex_numIfES2_S2_EEvbbT2_NS_24const_host_device_scalarIT6_EEPKT1_S9_PKS3_PKT3_PKT4_PT5_21rocsparse_index_base_b ; -- Begin function _ZN9rocsparseL21csrmvt_general_kernelILj256ELj8Eiif21rocsparse_complex_numIfES2_S2_EEvbbT2_NS_24const_host_device_scalarIT6_EEPKT1_S9_PKS3_PKT3_PKT4_PT5_21rocsparse_index_base_b
	.p2align	8
	.type	_ZN9rocsparseL21csrmvt_general_kernelILj256ELj8Eiif21rocsparse_complex_numIfES2_S2_EEvbbT2_NS_24const_host_device_scalarIT6_EEPKT1_S9_PKS3_PKT3_PKT4_PT5_21rocsparse_index_base_b,@function
_ZN9rocsparseL21csrmvt_general_kernelILj256ELj8Eiif21rocsparse_complex_numIfES2_S2_EEvbbT2_NS_24const_host_device_scalarIT6_EEPKT1_S9_PKS3_PKT3_PKT4_PT5_21rocsparse_index_base_b: ; @_ZN9rocsparseL21csrmvt_general_kernelILj256ELj8Eiif21rocsparse_complex_numIfES2_S2_EEvbbT2_NS_24const_host_device_scalarIT6_EEPKT1_S9_PKS3_PKT3_PKT4_PT5_21rocsparse_index_base_b
; %bb.0:
	s_clause 0x1
	s_load_b64 s[16:17], s[0:1], 0x40
	s_load_b128 s[12:15], s[0:1], 0x8
	v_mov_b32_e32 v1, 0
	s_add_nc_u64 s[2:3], s[0:1], 8
	s_wait_kmcnt 0x0
	s_bitcmp1_b32 s17, 0
	s_cselect_b32 s3, s3, s13
	s_cselect_b32 s2, s2, s12
	flat_load_b64 v[2:3], v1, s[2:3]
	s_wait_loadcnt_dscnt 0x0
	v_cmp_neq_f32_e32 vcc_lo, 0, v2
	v_cmp_neq_f32_e64 s2, 0, v3
	s_or_b32 s2, vcc_lo, s2
	s_delay_alu instid0(SALU_CYCLE_1)
	s_and_saveexec_b32 s3, s2
	s_cbranch_execz .LBB271_18
; %bb.1:
	s_clause 0x3
	s_load_b64 s[2:3], s[0:1], 0x0
	s_load_b32 s17, s[0:1], 0x48
	s_load_b64 s[12:13], s[0:1], 0x38
	s_load_b256 s[4:11], s[0:1], 0x18
	s_wait_xcnt 0x0
	s_bfe_u32 s0, ttmp6, 0x4000c
	s_and_b32 s18, ttmp6, 15
	s_add_co_i32 s0, s0, 1
	s_getreg_b32 s19, hwreg(HW_REG_IB_STS2, 6, 4)
	s_mul_i32 s0, ttmp9, s0
	v_and_b32_e32 v5, 7, v0
	s_add_co_i32 s18, s18, s0
	s_wait_kmcnt 0x0
	s_and_b32 s2, s2, 1
	s_lshl_b32 s1, s17, 5
	s_cmp_eq_u32 s19, 0
	s_cselect_b32 s0, ttmp9, s18
	s_cmp_eq_u32 s2, 0
	v_lshl_or_b32 v1, s0, 8, v0
	s_mov_b32 s2, -1
	s_delay_alu instid0(VALU_DEP_1) | instskip(NEXT) | instid1(VALU_DEP_1)
	v_lshrrev_b32_e32 v4, 3, v1
	v_cmp_gt_i32_e64 s0, s3, v4
	s_cbranch_scc0 .LBB271_9
; %bb.2:
	s_and_saveexec_b32 s2, s0
	s_cbranch_execz .LBB271_8
; %bb.3:
	v_subrev_nc_u32_e32 v6, s16, v5
	v_mov_b32_e32 v0, v4
	s_mov_b32 s17, 0
	s_branch .LBB271_5
.LBB271_4:                              ;   in Loop: Header=BB271_5 Depth=1
	s_or_b32 exec_lo, exec_lo, s18
	v_add_nc_u32_e32 v0, s1, v0
	s_delay_alu instid0(VALU_DEP_1) | instskip(SKIP_1) | instid1(SALU_CYCLE_1)
	v_cmp_le_i32_e32 vcc_lo, s3, v0
	s_or_b32 s17, vcc_lo, s17
	s_and_not1_b32 exec_lo, exec_lo, s17
	s_cbranch_execz .LBB271_8
.LBB271_5:                              ; =>This Loop Header: Depth=1
                                        ;     Child Loop BB271_7 Depth 2
	s_clause 0x1
	global_load_b32 v1, v0, s[4:5] scale_offset
	global_load_b32 v8, v0, s[14:15] scale_offset
	s_mov_b32 s18, exec_lo
	s_wait_loadcnt 0x1
	v_subrev_nc_u32_e32 v7, s16, v1
	s_wait_loadcnt 0x0
	v_add_nc_u32_e32 v8, v8, v6
	s_wait_xcnt 0x0
	s_delay_alu instid0(VALU_DEP_1)
	v_cmpx_lt_i32_e64 v8, v7
	s_cbranch_execz .LBB271_4
; %bb.6:                                ;   in Loop: Header=BB271_5 Depth=1
	v_ashrrev_i32_e32 v1, 31, v0
	s_mov_b32 s19, 0
	s_delay_alu instid0(VALU_DEP_1) | instskip(SKIP_3) | instid1(VALU_DEP_1)
	v_lshl_add_u64 v[10:11], v[0:1], 3, s[10:11]
	global_load_b64 v[10:11], v[10:11], off
	s_wait_loadcnt 0x0
	v_mul_f32_e64 v9, v11, -v3
	v_dual_mul_f32 v1, v2, v11 :: v_dual_fmac_f32 v9, v2, v10
	s_wait_xcnt 0x0
	s_delay_alu instid0(VALU_DEP_1) | instskip(NEXT) | instid1(VALU_DEP_1)
	v_dual_fmac_f32 v1, v3, v10 :: v_dual_mul_f32 v11, 0, v9
	v_mul_f32_e32 v10, 0x80000000, v1
.LBB271_7:                              ;   Parent Loop BB271_5 Depth=1
                                        ; =>  This Inner Loop Header: Depth=2
	s_clause 0x1
	global_load_b32 v12, v8, s[6:7] scale_offset
	global_load_b32 v14, v8, s[8:9] scale_offset
	s_wait_xcnt 0x0
	v_add_nc_u32_e32 v8, 8, v8
	s_delay_alu instid0(VALU_DEP_1)
	v_cmp_ge_i32_e32 vcc_lo, v8, v7
	s_or_b32 s19, vcc_lo, s19
	s_wait_loadcnt 0x1
	v_subrev_nc_u32_e32 v12, s16, v12
	s_wait_loadcnt 0x0
	v_fma_f32 v15, v9, v14, v10
	s_delay_alu instid0(VALU_DEP_2) | instskip(NEXT) | instid1(VALU_DEP_1)
	v_dual_fma_f32 v14, v1, v14, v11 :: v_dual_ashrrev_i32 v13, 31, v12
	v_lshl_add_u64 v[12:13], v[12:13], 3, s[12:13]
	global_atomic_add_f32 v[12:13], v15, off scope:SCOPE_DEV
	s_wait_xcnt 0x0
	global_atomic_add_f32 v[12:13], v14, off offset:4 scope:SCOPE_DEV
	s_wait_xcnt 0x0
	s_and_not1_b32 exec_lo, exec_lo, s19
	s_cbranch_execnz .LBB271_7
	s_branch .LBB271_4
.LBB271_8:
	s_or_b32 exec_lo, exec_lo, s2
	s_mov_b32 s2, 0
.LBB271_9:
	s_delay_alu instid0(SALU_CYCLE_1)
	s_and_not1_b32 vcc_lo, exec_lo, s2
	s_cbranch_vccnz .LBB271_18
; %bb.10:
	s_and_b32 exec_lo, exec_lo, s0
	s_cbranch_execz .LBB271_18
; %bb.11:
	v_subrev_nc_u32_e32 v8, s16, v5
	s_mov_b32 s0, 0
	s_branch .LBB271_13
.LBB271_12:                             ;   in Loop: Header=BB271_13 Depth=1
	s_or_b32 exec_lo, exec_lo, s2
	v_add_nc_u32_e32 v4, s1, v4
	s_delay_alu instid0(VALU_DEP_1) | instskip(SKIP_1) | instid1(SALU_CYCLE_1)
	v_cmp_le_i32_e32 vcc_lo, s3, v4
	s_or_b32 s0, vcc_lo, s0
	s_and_not1_b32 exec_lo, exec_lo, s0
	s_cbranch_execz .LBB271_18
.LBB271_13:                             ; =>This Loop Header: Depth=1
                                        ;     Child Loop BB271_16 Depth 2
	s_clause 0x1
	global_load_b32 v0, v4, s[4:5] scale_offset
	global_load_b32 v1, v4, s[14:15] scale_offset
	s_mov_b32 s2, exec_lo
	s_wait_loadcnt 0x1
	v_subrev_nc_u32_e32 v9, s16, v0
	s_wait_loadcnt 0x0
	v_add_nc_u32_e32 v0, v1, v8
	s_wait_xcnt 0x0
	s_delay_alu instid0(VALU_DEP_1)
	v_cmpx_lt_i32_e64 v0, v9
	s_cbranch_execz .LBB271_12
; %bb.14:                               ;   in Loop: Header=BB271_13 Depth=1
	v_ashrrev_i32_e32 v5, 31, v4
	s_mov_b32 s17, 0
	s_delay_alu instid0(VALU_DEP_1) | instskip(SKIP_3) | instid1(VALU_DEP_1)
	v_lshl_add_u64 v[6:7], v[4:5], 3, s[10:11]
	global_load_b64 v[6:7], v[6:7], off
	s_wait_loadcnt 0x0
	v_mul_f32_e64 v10, v7, -v3
	v_dual_mul_f32 v5, v2, v7 :: v_dual_fmac_f32 v10, v2, v6
	s_delay_alu instid0(VALU_DEP_1) | instskip(NEXT) | instid1(VALU_DEP_1)
	v_fmac_f32_e32 v5, v3, v6
	v_dual_mul_f32 v12, 0, v10 :: v_dual_mul_f32 v11, 0x80000000, v5
	s_branch .LBB271_16
.LBB271_15:                             ;   in Loop: Header=BB271_16 Depth=2
	s_wait_xcnt 0x0
	s_or_b32 exec_lo, exec_lo, s18
	v_add_nc_u32_e32 v0, 8, v0
	s_delay_alu instid0(VALU_DEP_1) | instskip(SKIP_1) | instid1(SALU_CYCLE_1)
	v_cmp_ge_i32_e32 vcc_lo, v0, v9
	s_or_b32 s17, vcc_lo, s17
	s_and_not1_b32 exec_lo, exec_lo, s17
	s_cbranch_execz .LBB271_12
.LBB271_16:                             ;   Parent Loop BB271_13 Depth=1
                                        ; =>  This Inner Loop Header: Depth=2
	global_load_b32 v1, v0, s[6:7] scale_offset
	s_mov_b32 s18, exec_lo
	s_wait_loadcnt 0x0
	s_wait_xcnt 0x1
	v_subrev_nc_u32_e32 v6, s16, v1
	v_ashrrev_i32_e32 v1, 31, v0
	s_wait_xcnt 0x0
	s_delay_alu instid0(VALU_DEP_2)
	v_cmpx_ne_u32_e64 v6, v4
	s_cbranch_execz .LBB271_15
; %bb.17:                               ;   in Loop: Header=BB271_16 Depth=2
	s_delay_alu instid0(VALU_DEP_2) | instskip(SKIP_3) | instid1(VALU_DEP_1)
	v_lshl_add_u64 v[14:15], v[0:1], 2, s[8:9]
	global_load_b32 v1, v[14:15], off
	s_wait_loadcnt 0x0
	v_dual_ashrrev_i32 v7, 31, v6 :: v_dual_fma_f32 v13, v10, v1, v11
	v_lshl_add_u64 v[6:7], v[6:7], 3, s[12:13]
	v_fma_f32 v1, v5, v1, v12
	s_wait_xcnt 0x0
	global_atomic_add_f32 v[6:7], v13, off scope:SCOPE_DEV
	s_wait_xcnt 0x0
	global_atomic_add_f32 v[6:7], v1, off offset:4 scope:SCOPE_DEV
	s_branch .LBB271_15
.LBB271_18:
	s_endpgm
	.section	.rodata,"a",@progbits
	.p2align	6, 0x0
	.amdhsa_kernel _ZN9rocsparseL21csrmvt_general_kernelILj256ELj8Eiif21rocsparse_complex_numIfES2_S2_EEvbbT2_NS_24const_host_device_scalarIT6_EEPKT1_S9_PKS3_PKT3_PKT4_PT5_21rocsparse_index_base_b
		.amdhsa_group_segment_fixed_size 0
		.amdhsa_private_segment_fixed_size 0
		.amdhsa_kernarg_size 328
		.amdhsa_user_sgpr_count 2
		.amdhsa_user_sgpr_dispatch_ptr 0
		.amdhsa_user_sgpr_queue_ptr 0
		.amdhsa_user_sgpr_kernarg_segment_ptr 1
		.amdhsa_user_sgpr_dispatch_id 0
		.amdhsa_user_sgpr_kernarg_preload_length 0
		.amdhsa_user_sgpr_kernarg_preload_offset 0
		.amdhsa_user_sgpr_private_segment_size 0
		.amdhsa_wavefront_size32 1
		.amdhsa_uses_dynamic_stack 0
		.amdhsa_enable_private_segment 0
		.amdhsa_system_sgpr_workgroup_id_x 1
		.amdhsa_system_sgpr_workgroup_id_y 0
		.amdhsa_system_sgpr_workgroup_id_z 0
		.amdhsa_system_sgpr_workgroup_info 0
		.amdhsa_system_vgpr_workitem_id 0
		.amdhsa_next_free_vgpr 16
		.amdhsa_next_free_sgpr 20
		.amdhsa_named_barrier_count 0
		.amdhsa_reserve_vcc 1
		.amdhsa_float_round_mode_32 0
		.amdhsa_float_round_mode_16_64 0
		.amdhsa_float_denorm_mode_32 3
		.amdhsa_float_denorm_mode_16_64 3
		.amdhsa_fp16_overflow 0
		.amdhsa_memory_ordered 1
		.amdhsa_forward_progress 1
		.amdhsa_inst_pref_size 8
		.amdhsa_round_robin_scheduling 0
		.amdhsa_exception_fp_ieee_invalid_op 0
		.amdhsa_exception_fp_denorm_src 0
		.amdhsa_exception_fp_ieee_div_zero 0
		.amdhsa_exception_fp_ieee_overflow 0
		.amdhsa_exception_fp_ieee_underflow 0
		.amdhsa_exception_fp_ieee_inexact 0
		.amdhsa_exception_int_div_zero 0
	.end_amdhsa_kernel
	.section	.text._ZN9rocsparseL21csrmvt_general_kernelILj256ELj8Eiif21rocsparse_complex_numIfES2_S2_EEvbbT2_NS_24const_host_device_scalarIT6_EEPKT1_S9_PKS3_PKT3_PKT4_PT5_21rocsparse_index_base_b,"axG",@progbits,_ZN9rocsparseL21csrmvt_general_kernelILj256ELj8Eiif21rocsparse_complex_numIfES2_S2_EEvbbT2_NS_24const_host_device_scalarIT6_EEPKT1_S9_PKS3_PKT3_PKT4_PT5_21rocsparse_index_base_b,comdat
.Lfunc_end271:
	.size	_ZN9rocsparseL21csrmvt_general_kernelILj256ELj8Eiif21rocsparse_complex_numIfES2_S2_EEvbbT2_NS_24const_host_device_scalarIT6_EEPKT1_S9_PKS3_PKT3_PKT4_PT5_21rocsparse_index_base_b, .Lfunc_end271-_ZN9rocsparseL21csrmvt_general_kernelILj256ELj8Eiif21rocsparse_complex_numIfES2_S2_EEvbbT2_NS_24const_host_device_scalarIT6_EEPKT1_S9_PKS3_PKT3_PKT4_PT5_21rocsparse_index_base_b
                                        ; -- End function
	.set _ZN9rocsparseL21csrmvt_general_kernelILj256ELj8Eiif21rocsparse_complex_numIfES2_S2_EEvbbT2_NS_24const_host_device_scalarIT6_EEPKT1_S9_PKS3_PKT3_PKT4_PT5_21rocsparse_index_base_b.num_vgpr, 16
	.set _ZN9rocsparseL21csrmvt_general_kernelILj256ELj8Eiif21rocsparse_complex_numIfES2_S2_EEvbbT2_NS_24const_host_device_scalarIT6_EEPKT1_S9_PKS3_PKT3_PKT4_PT5_21rocsparse_index_base_b.num_agpr, 0
	.set _ZN9rocsparseL21csrmvt_general_kernelILj256ELj8Eiif21rocsparse_complex_numIfES2_S2_EEvbbT2_NS_24const_host_device_scalarIT6_EEPKT1_S9_PKS3_PKT3_PKT4_PT5_21rocsparse_index_base_b.numbered_sgpr, 20
	.set _ZN9rocsparseL21csrmvt_general_kernelILj256ELj8Eiif21rocsparse_complex_numIfES2_S2_EEvbbT2_NS_24const_host_device_scalarIT6_EEPKT1_S9_PKS3_PKT3_PKT4_PT5_21rocsparse_index_base_b.num_named_barrier, 0
	.set _ZN9rocsparseL21csrmvt_general_kernelILj256ELj8Eiif21rocsparse_complex_numIfES2_S2_EEvbbT2_NS_24const_host_device_scalarIT6_EEPKT1_S9_PKS3_PKT3_PKT4_PT5_21rocsparse_index_base_b.private_seg_size, 0
	.set _ZN9rocsparseL21csrmvt_general_kernelILj256ELj8Eiif21rocsparse_complex_numIfES2_S2_EEvbbT2_NS_24const_host_device_scalarIT6_EEPKT1_S9_PKS3_PKT3_PKT4_PT5_21rocsparse_index_base_b.uses_vcc, 1
	.set _ZN9rocsparseL21csrmvt_general_kernelILj256ELj8Eiif21rocsparse_complex_numIfES2_S2_EEvbbT2_NS_24const_host_device_scalarIT6_EEPKT1_S9_PKS3_PKT3_PKT4_PT5_21rocsparse_index_base_b.uses_flat_scratch, 0
	.set _ZN9rocsparseL21csrmvt_general_kernelILj256ELj8Eiif21rocsparse_complex_numIfES2_S2_EEvbbT2_NS_24const_host_device_scalarIT6_EEPKT1_S9_PKS3_PKT3_PKT4_PT5_21rocsparse_index_base_b.has_dyn_sized_stack, 0
	.set _ZN9rocsparseL21csrmvt_general_kernelILj256ELj8Eiif21rocsparse_complex_numIfES2_S2_EEvbbT2_NS_24const_host_device_scalarIT6_EEPKT1_S9_PKS3_PKT3_PKT4_PT5_21rocsparse_index_base_b.has_recursion, 0
	.set _ZN9rocsparseL21csrmvt_general_kernelILj256ELj8Eiif21rocsparse_complex_numIfES2_S2_EEvbbT2_NS_24const_host_device_scalarIT6_EEPKT1_S9_PKS3_PKT3_PKT4_PT5_21rocsparse_index_base_b.has_indirect_call, 0
	.section	.AMDGPU.csdata,"",@progbits
; Kernel info:
; codeLenInByte = 948
; TotalNumSgprs: 22
; NumVgprs: 16
; ScratchSize: 0
; MemoryBound: 0
; FloatMode: 240
; IeeeMode: 1
; LDSByteSize: 0 bytes/workgroup (compile time only)
; SGPRBlocks: 0
; VGPRBlocks: 0
; NumSGPRsForWavesPerEU: 22
; NumVGPRsForWavesPerEU: 16
; NamedBarCnt: 0
; Occupancy: 16
; WaveLimiterHint : 1
; COMPUTE_PGM_RSRC2:SCRATCH_EN: 0
; COMPUTE_PGM_RSRC2:USER_SGPR: 2
; COMPUTE_PGM_RSRC2:TRAP_HANDLER: 0
; COMPUTE_PGM_RSRC2:TGID_X_EN: 1
; COMPUTE_PGM_RSRC2:TGID_Y_EN: 0
; COMPUTE_PGM_RSRC2:TGID_Z_EN: 0
; COMPUTE_PGM_RSRC2:TIDIG_COMP_CNT: 0
	.section	.text._ZN9rocsparseL21csrmvt_general_kernelILj256ELj16Eiif21rocsparse_complex_numIfES2_S2_EEvbbT2_NS_24const_host_device_scalarIT6_EEPKT1_S9_PKS3_PKT3_PKT4_PT5_21rocsparse_index_base_b,"axG",@progbits,_ZN9rocsparseL21csrmvt_general_kernelILj256ELj16Eiif21rocsparse_complex_numIfES2_S2_EEvbbT2_NS_24const_host_device_scalarIT6_EEPKT1_S9_PKS3_PKT3_PKT4_PT5_21rocsparse_index_base_b,comdat
	.globl	_ZN9rocsparseL21csrmvt_general_kernelILj256ELj16Eiif21rocsparse_complex_numIfES2_S2_EEvbbT2_NS_24const_host_device_scalarIT6_EEPKT1_S9_PKS3_PKT3_PKT4_PT5_21rocsparse_index_base_b ; -- Begin function _ZN9rocsparseL21csrmvt_general_kernelILj256ELj16Eiif21rocsparse_complex_numIfES2_S2_EEvbbT2_NS_24const_host_device_scalarIT6_EEPKT1_S9_PKS3_PKT3_PKT4_PT5_21rocsparse_index_base_b
	.p2align	8
	.type	_ZN9rocsparseL21csrmvt_general_kernelILj256ELj16Eiif21rocsparse_complex_numIfES2_S2_EEvbbT2_NS_24const_host_device_scalarIT6_EEPKT1_S9_PKS3_PKT3_PKT4_PT5_21rocsparse_index_base_b,@function
_ZN9rocsparseL21csrmvt_general_kernelILj256ELj16Eiif21rocsparse_complex_numIfES2_S2_EEvbbT2_NS_24const_host_device_scalarIT6_EEPKT1_S9_PKS3_PKT3_PKT4_PT5_21rocsparse_index_base_b: ; @_ZN9rocsparseL21csrmvt_general_kernelILj256ELj16Eiif21rocsparse_complex_numIfES2_S2_EEvbbT2_NS_24const_host_device_scalarIT6_EEPKT1_S9_PKS3_PKT3_PKT4_PT5_21rocsparse_index_base_b
; %bb.0:
	s_clause 0x1
	s_load_b64 s[16:17], s[0:1], 0x40
	s_load_b128 s[12:15], s[0:1], 0x8
	v_mov_b32_e32 v1, 0
	s_add_nc_u64 s[2:3], s[0:1], 8
	s_wait_kmcnt 0x0
	s_bitcmp1_b32 s17, 0
	s_cselect_b32 s3, s3, s13
	s_cselect_b32 s2, s2, s12
	flat_load_b64 v[2:3], v1, s[2:3]
	s_wait_loadcnt_dscnt 0x0
	v_cmp_neq_f32_e32 vcc_lo, 0, v2
	v_cmp_neq_f32_e64 s2, 0, v3
	s_or_b32 s2, vcc_lo, s2
	s_delay_alu instid0(SALU_CYCLE_1)
	s_and_saveexec_b32 s3, s2
	s_cbranch_execz .LBB272_18
; %bb.1:
	s_clause 0x3
	s_load_b64 s[2:3], s[0:1], 0x0
	s_load_b32 s17, s[0:1], 0x48
	s_load_b64 s[12:13], s[0:1], 0x38
	s_load_b256 s[4:11], s[0:1], 0x18
	s_wait_xcnt 0x0
	s_bfe_u32 s0, ttmp6, 0x4000c
	s_and_b32 s18, ttmp6, 15
	s_add_co_i32 s0, s0, 1
	s_getreg_b32 s19, hwreg(HW_REG_IB_STS2, 6, 4)
	s_mul_i32 s0, ttmp9, s0
	v_and_b32_e32 v5, 15, v0
	s_add_co_i32 s18, s18, s0
	s_wait_kmcnt 0x0
	s_and_b32 s2, s2, 1
	s_lshl_b32 s1, s17, 4
	s_cmp_eq_u32 s19, 0
	s_cselect_b32 s0, ttmp9, s18
	s_cmp_eq_u32 s2, 0
	v_lshl_or_b32 v1, s0, 8, v0
	s_mov_b32 s2, -1
	s_delay_alu instid0(VALU_DEP_1) | instskip(NEXT) | instid1(VALU_DEP_1)
	v_lshrrev_b32_e32 v4, 4, v1
	v_cmp_gt_i32_e64 s0, s3, v4
	s_cbranch_scc0 .LBB272_9
; %bb.2:
	s_and_saveexec_b32 s2, s0
	s_cbranch_execz .LBB272_8
; %bb.3:
	v_subrev_nc_u32_e32 v6, s16, v5
	v_mov_b32_e32 v0, v4
	s_mov_b32 s17, 0
	s_branch .LBB272_5
.LBB272_4:                              ;   in Loop: Header=BB272_5 Depth=1
	s_or_b32 exec_lo, exec_lo, s18
	v_add_nc_u32_e32 v0, s1, v0
	s_delay_alu instid0(VALU_DEP_1) | instskip(SKIP_1) | instid1(SALU_CYCLE_1)
	v_cmp_le_i32_e32 vcc_lo, s3, v0
	s_or_b32 s17, vcc_lo, s17
	s_and_not1_b32 exec_lo, exec_lo, s17
	s_cbranch_execz .LBB272_8
.LBB272_5:                              ; =>This Loop Header: Depth=1
                                        ;     Child Loop BB272_7 Depth 2
	s_clause 0x1
	global_load_b32 v1, v0, s[4:5] scale_offset
	global_load_b32 v8, v0, s[14:15] scale_offset
	s_mov_b32 s18, exec_lo
	s_wait_loadcnt 0x1
	v_subrev_nc_u32_e32 v7, s16, v1
	s_wait_loadcnt 0x0
	v_add_nc_u32_e32 v8, v8, v6
	s_wait_xcnt 0x0
	s_delay_alu instid0(VALU_DEP_1)
	v_cmpx_lt_i32_e64 v8, v7
	s_cbranch_execz .LBB272_4
; %bb.6:                                ;   in Loop: Header=BB272_5 Depth=1
	v_ashrrev_i32_e32 v1, 31, v0
	s_mov_b32 s19, 0
	s_delay_alu instid0(VALU_DEP_1) | instskip(SKIP_3) | instid1(VALU_DEP_1)
	v_lshl_add_u64 v[10:11], v[0:1], 3, s[10:11]
	global_load_b64 v[10:11], v[10:11], off
	s_wait_loadcnt 0x0
	v_mul_f32_e64 v9, v11, -v3
	v_dual_mul_f32 v1, v2, v11 :: v_dual_fmac_f32 v9, v2, v10
	s_wait_xcnt 0x0
	s_delay_alu instid0(VALU_DEP_1) | instskip(NEXT) | instid1(VALU_DEP_1)
	v_dual_fmac_f32 v1, v3, v10 :: v_dual_mul_f32 v11, 0, v9
	v_mul_f32_e32 v10, 0x80000000, v1
.LBB272_7:                              ;   Parent Loop BB272_5 Depth=1
                                        ; =>  This Inner Loop Header: Depth=2
	s_clause 0x1
	global_load_b32 v12, v8, s[6:7] scale_offset
	global_load_b32 v14, v8, s[8:9] scale_offset
	s_wait_xcnt 0x0
	v_add_nc_u32_e32 v8, 16, v8
	s_delay_alu instid0(VALU_DEP_1)
	v_cmp_ge_i32_e32 vcc_lo, v8, v7
	s_or_b32 s19, vcc_lo, s19
	s_wait_loadcnt 0x1
	v_subrev_nc_u32_e32 v12, s16, v12
	s_wait_loadcnt 0x0
	v_fma_f32 v15, v9, v14, v10
	s_delay_alu instid0(VALU_DEP_2) | instskip(NEXT) | instid1(VALU_DEP_1)
	v_dual_fma_f32 v14, v1, v14, v11 :: v_dual_ashrrev_i32 v13, 31, v12
	v_lshl_add_u64 v[12:13], v[12:13], 3, s[12:13]
	global_atomic_add_f32 v[12:13], v15, off scope:SCOPE_DEV
	s_wait_xcnt 0x0
	global_atomic_add_f32 v[12:13], v14, off offset:4 scope:SCOPE_DEV
	s_wait_xcnt 0x0
	s_and_not1_b32 exec_lo, exec_lo, s19
	s_cbranch_execnz .LBB272_7
	s_branch .LBB272_4
.LBB272_8:
	s_or_b32 exec_lo, exec_lo, s2
	s_mov_b32 s2, 0
.LBB272_9:
	s_delay_alu instid0(SALU_CYCLE_1)
	s_and_not1_b32 vcc_lo, exec_lo, s2
	s_cbranch_vccnz .LBB272_18
; %bb.10:
	s_and_b32 exec_lo, exec_lo, s0
	s_cbranch_execz .LBB272_18
; %bb.11:
	v_subrev_nc_u32_e32 v8, s16, v5
	s_mov_b32 s0, 0
	s_branch .LBB272_13
.LBB272_12:                             ;   in Loop: Header=BB272_13 Depth=1
	s_or_b32 exec_lo, exec_lo, s2
	v_add_nc_u32_e32 v4, s1, v4
	s_delay_alu instid0(VALU_DEP_1) | instskip(SKIP_1) | instid1(SALU_CYCLE_1)
	v_cmp_le_i32_e32 vcc_lo, s3, v4
	s_or_b32 s0, vcc_lo, s0
	s_and_not1_b32 exec_lo, exec_lo, s0
	s_cbranch_execz .LBB272_18
.LBB272_13:                             ; =>This Loop Header: Depth=1
                                        ;     Child Loop BB272_16 Depth 2
	s_clause 0x1
	global_load_b32 v0, v4, s[4:5] scale_offset
	global_load_b32 v1, v4, s[14:15] scale_offset
	s_mov_b32 s2, exec_lo
	s_wait_loadcnt 0x1
	v_subrev_nc_u32_e32 v9, s16, v0
	s_wait_loadcnt 0x0
	v_add_nc_u32_e32 v0, v1, v8
	s_wait_xcnt 0x0
	s_delay_alu instid0(VALU_DEP_1)
	v_cmpx_lt_i32_e64 v0, v9
	s_cbranch_execz .LBB272_12
; %bb.14:                               ;   in Loop: Header=BB272_13 Depth=1
	v_ashrrev_i32_e32 v5, 31, v4
	s_mov_b32 s17, 0
	s_delay_alu instid0(VALU_DEP_1) | instskip(SKIP_3) | instid1(VALU_DEP_1)
	v_lshl_add_u64 v[6:7], v[4:5], 3, s[10:11]
	global_load_b64 v[6:7], v[6:7], off
	s_wait_loadcnt 0x0
	v_mul_f32_e64 v10, v7, -v3
	v_dual_mul_f32 v5, v2, v7 :: v_dual_fmac_f32 v10, v2, v6
	s_delay_alu instid0(VALU_DEP_1) | instskip(NEXT) | instid1(VALU_DEP_1)
	v_fmac_f32_e32 v5, v3, v6
	v_dual_mul_f32 v12, 0, v10 :: v_dual_mul_f32 v11, 0x80000000, v5
	s_branch .LBB272_16
.LBB272_15:                             ;   in Loop: Header=BB272_16 Depth=2
	s_wait_xcnt 0x0
	s_or_b32 exec_lo, exec_lo, s18
	v_add_nc_u32_e32 v0, 16, v0
	s_delay_alu instid0(VALU_DEP_1) | instskip(SKIP_1) | instid1(SALU_CYCLE_1)
	v_cmp_ge_i32_e32 vcc_lo, v0, v9
	s_or_b32 s17, vcc_lo, s17
	s_and_not1_b32 exec_lo, exec_lo, s17
	s_cbranch_execz .LBB272_12
.LBB272_16:                             ;   Parent Loop BB272_13 Depth=1
                                        ; =>  This Inner Loop Header: Depth=2
	global_load_b32 v1, v0, s[6:7] scale_offset
	s_mov_b32 s18, exec_lo
	s_wait_loadcnt 0x0
	s_wait_xcnt 0x1
	v_subrev_nc_u32_e32 v6, s16, v1
	v_ashrrev_i32_e32 v1, 31, v0
	s_wait_xcnt 0x0
	s_delay_alu instid0(VALU_DEP_2)
	v_cmpx_ne_u32_e64 v6, v4
	s_cbranch_execz .LBB272_15
; %bb.17:                               ;   in Loop: Header=BB272_16 Depth=2
	s_delay_alu instid0(VALU_DEP_2) | instskip(SKIP_3) | instid1(VALU_DEP_1)
	v_lshl_add_u64 v[14:15], v[0:1], 2, s[8:9]
	global_load_b32 v1, v[14:15], off
	s_wait_loadcnt 0x0
	v_dual_ashrrev_i32 v7, 31, v6 :: v_dual_fma_f32 v13, v10, v1, v11
	v_lshl_add_u64 v[6:7], v[6:7], 3, s[12:13]
	v_fma_f32 v1, v5, v1, v12
	s_wait_xcnt 0x0
	global_atomic_add_f32 v[6:7], v13, off scope:SCOPE_DEV
	s_wait_xcnt 0x0
	global_atomic_add_f32 v[6:7], v1, off offset:4 scope:SCOPE_DEV
	s_branch .LBB272_15
.LBB272_18:
	s_endpgm
	.section	.rodata,"a",@progbits
	.p2align	6, 0x0
	.amdhsa_kernel _ZN9rocsparseL21csrmvt_general_kernelILj256ELj16Eiif21rocsparse_complex_numIfES2_S2_EEvbbT2_NS_24const_host_device_scalarIT6_EEPKT1_S9_PKS3_PKT3_PKT4_PT5_21rocsparse_index_base_b
		.amdhsa_group_segment_fixed_size 0
		.amdhsa_private_segment_fixed_size 0
		.amdhsa_kernarg_size 328
		.amdhsa_user_sgpr_count 2
		.amdhsa_user_sgpr_dispatch_ptr 0
		.amdhsa_user_sgpr_queue_ptr 0
		.amdhsa_user_sgpr_kernarg_segment_ptr 1
		.amdhsa_user_sgpr_dispatch_id 0
		.amdhsa_user_sgpr_kernarg_preload_length 0
		.amdhsa_user_sgpr_kernarg_preload_offset 0
		.amdhsa_user_sgpr_private_segment_size 0
		.amdhsa_wavefront_size32 1
		.amdhsa_uses_dynamic_stack 0
		.amdhsa_enable_private_segment 0
		.amdhsa_system_sgpr_workgroup_id_x 1
		.amdhsa_system_sgpr_workgroup_id_y 0
		.amdhsa_system_sgpr_workgroup_id_z 0
		.amdhsa_system_sgpr_workgroup_info 0
		.amdhsa_system_vgpr_workitem_id 0
		.amdhsa_next_free_vgpr 16
		.amdhsa_next_free_sgpr 20
		.amdhsa_named_barrier_count 0
		.amdhsa_reserve_vcc 1
		.amdhsa_float_round_mode_32 0
		.amdhsa_float_round_mode_16_64 0
		.amdhsa_float_denorm_mode_32 3
		.amdhsa_float_denorm_mode_16_64 3
		.amdhsa_fp16_overflow 0
		.amdhsa_memory_ordered 1
		.amdhsa_forward_progress 1
		.amdhsa_inst_pref_size 8
		.amdhsa_round_robin_scheduling 0
		.amdhsa_exception_fp_ieee_invalid_op 0
		.amdhsa_exception_fp_denorm_src 0
		.amdhsa_exception_fp_ieee_div_zero 0
		.amdhsa_exception_fp_ieee_overflow 0
		.amdhsa_exception_fp_ieee_underflow 0
		.amdhsa_exception_fp_ieee_inexact 0
		.amdhsa_exception_int_div_zero 0
	.end_amdhsa_kernel
	.section	.text._ZN9rocsparseL21csrmvt_general_kernelILj256ELj16Eiif21rocsparse_complex_numIfES2_S2_EEvbbT2_NS_24const_host_device_scalarIT6_EEPKT1_S9_PKS3_PKT3_PKT4_PT5_21rocsparse_index_base_b,"axG",@progbits,_ZN9rocsparseL21csrmvt_general_kernelILj256ELj16Eiif21rocsparse_complex_numIfES2_S2_EEvbbT2_NS_24const_host_device_scalarIT6_EEPKT1_S9_PKS3_PKT3_PKT4_PT5_21rocsparse_index_base_b,comdat
.Lfunc_end272:
	.size	_ZN9rocsparseL21csrmvt_general_kernelILj256ELj16Eiif21rocsparse_complex_numIfES2_S2_EEvbbT2_NS_24const_host_device_scalarIT6_EEPKT1_S9_PKS3_PKT3_PKT4_PT5_21rocsparse_index_base_b, .Lfunc_end272-_ZN9rocsparseL21csrmvt_general_kernelILj256ELj16Eiif21rocsparse_complex_numIfES2_S2_EEvbbT2_NS_24const_host_device_scalarIT6_EEPKT1_S9_PKS3_PKT3_PKT4_PT5_21rocsparse_index_base_b
                                        ; -- End function
	.set _ZN9rocsparseL21csrmvt_general_kernelILj256ELj16Eiif21rocsparse_complex_numIfES2_S2_EEvbbT2_NS_24const_host_device_scalarIT6_EEPKT1_S9_PKS3_PKT3_PKT4_PT5_21rocsparse_index_base_b.num_vgpr, 16
	.set _ZN9rocsparseL21csrmvt_general_kernelILj256ELj16Eiif21rocsparse_complex_numIfES2_S2_EEvbbT2_NS_24const_host_device_scalarIT6_EEPKT1_S9_PKS3_PKT3_PKT4_PT5_21rocsparse_index_base_b.num_agpr, 0
	.set _ZN9rocsparseL21csrmvt_general_kernelILj256ELj16Eiif21rocsparse_complex_numIfES2_S2_EEvbbT2_NS_24const_host_device_scalarIT6_EEPKT1_S9_PKS3_PKT3_PKT4_PT5_21rocsparse_index_base_b.numbered_sgpr, 20
	.set _ZN9rocsparseL21csrmvt_general_kernelILj256ELj16Eiif21rocsparse_complex_numIfES2_S2_EEvbbT2_NS_24const_host_device_scalarIT6_EEPKT1_S9_PKS3_PKT3_PKT4_PT5_21rocsparse_index_base_b.num_named_barrier, 0
	.set _ZN9rocsparseL21csrmvt_general_kernelILj256ELj16Eiif21rocsparse_complex_numIfES2_S2_EEvbbT2_NS_24const_host_device_scalarIT6_EEPKT1_S9_PKS3_PKT3_PKT4_PT5_21rocsparse_index_base_b.private_seg_size, 0
	.set _ZN9rocsparseL21csrmvt_general_kernelILj256ELj16Eiif21rocsparse_complex_numIfES2_S2_EEvbbT2_NS_24const_host_device_scalarIT6_EEPKT1_S9_PKS3_PKT3_PKT4_PT5_21rocsparse_index_base_b.uses_vcc, 1
	.set _ZN9rocsparseL21csrmvt_general_kernelILj256ELj16Eiif21rocsparse_complex_numIfES2_S2_EEvbbT2_NS_24const_host_device_scalarIT6_EEPKT1_S9_PKS3_PKT3_PKT4_PT5_21rocsparse_index_base_b.uses_flat_scratch, 0
	.set _ZN9rocsparseL21csrmvt_general_kernelILj256ELj16Eiif21rocsparse_complex_numIfES2_S2_EEvbbT2_NS_24const_host_device_scalarIT6_EEPKT1_S9_PKS3_PKT3_PKT4_PT5_21rocsparse_index_base_b.has_dyn_sized_stack, 0
	.set _ZN9rocsparseL21csrmvt_general_kernelILj256ELj16Eiif21rocsparse_complex_numIfES2_S2_EEvbbT2_NS_24const_host_device_scalarIT6_EEPKT1_S9_PKS3_PKT3_PKT4_PT5_21rocsparse_index_base_b.has_recursion, 0
	.set _ZN9rocsparseL21csrmvt_general_kernelILj256ELj16Eiif21rocsparse_complex_numIfES2_S2_EEvbbT2_NS_24const_host_device_scalarIT6_EEPKT1_S9_PKS3_PKT3_PKT4_PT5_21rocsparse_index_base_b.has_indirect_call, 0
	.section	.AMDGPU.csdata,"",@progbits
; Kernel info:
; codeLenInByte = 948
; TotalNumSgprs: 22
; NumVgprs: 16
; ScratchSize: 0
; MemoryBound: 0
; FloatMode: 240
; IeeeMode: 1
; LDSByteSize: 0 bytes/workgroup (compile time only)
; SGPRBlocks: 0
; VGPRBlocks: 0
; NumSGPRsForWavesPerEU: 22
; NumVGPRsForWavesPerEU: 16
; NamedBarCnt: 0
; Occupancy: 16
; WaveLimiterHint : 1
; COMPUTE_PGM_RSRC2:SCRATCH_EN: 0
; COMPUTE_PGM_RSRC2:USER_SGPR: 2
; COMPUTE_PGM_RSRC2:TRAP_HANDLER: 0
; COMPUTE_PGM_RSRC2:TGID_X_EN: 1
; COMPUTE_PGM_RSRC2:TGID_Y_EN: 0
; COMPUTE_PGM_RSRC2:TGID_Z_EN: 0
; COMPUTE_PGM_RSRC2:TIDIG_COMP_CNT: 0
	.section	.text._ZN9rocsparseL21csrmvt_general_kernelILj256ELj32Eiif21rocsparse_complex_numIfES2_S2_EEvbbT2_NS_24const_host_device_scalarIT6_EEPKT1_S9_PKS3_PKT3_PKT4_PT5_21rocsparse_index_base_b,"axG",@progbits,_ZN9rocsparseL21csrmvt_general_kernelILj256ELj32Eiif21rocsparse_complex_numIfES2_S2_EEvbbT2_NS_24const_host_device_scalarIT6_EEPKT1_S9_PKS3_PKT3_PKT4_PT5_21rocsparse_index_base_b,comdat
	.globl	_ZN9rocsparseL21csrmvt_general_kernelILj256ELj32Eiif21rocsparse_complex_numIfES2_S2_EEvbbT2_NS_24const_host_device_scalarIT6_EEPKT1_S9_PKS3_PKT3_PKT4_PT5_21rocsparse_index_base_b ; -- Begin function _ZN9rocsparseL21csrmvt_general_kernelILj256ELj32Eiif21rocsparse_complex_numIfES2_S2_EEvbbT2_NS_24const_host_device_scalarIT6_EEPKT1_S9_PKS3_PKT3_PKT4_PT5_21rocsparse_index_base_b
	.p2align	8
	.type	_ZN9rocsparseL21csrmvt_general_kernelILj256ELj32Eiif21rocsparse_complex_numIfES2_S2_EEvbbT2_NS_24const_host_device_scalarIT6_EEPKT1_S9_PKS3_PKT3_PKT4_PT5_21rocsparse_index_base_b,@function
_ZN9rocsparseL21csrmvt_general_kernelILj256ELj32Eiif21rocsparse_complex_numIfES2_S2_EEvbbT2_NS_24const_host_device_scalarIT6_EEPKT1_S9_PKS3_PKT3_PKT4_PT5_21rocsparse_index_base_b: ; @_ZN9rocsparseL21csrmvt_general_kernelILj256ELj32Eiif21rocsparse_complex_numIfES2_S2_EEvbbT2_NS_24const_host_device_scalarIT6_EEPKT1_S9_PKS3_PKT3_PKT4_PT5_21rocsparse_index_base_b
; %bb.0:
	s_clause 0x1
	s_load_b64 s[16:17], s[0:1], 0x40
	s_load_b128 s[12:15], s[0:1], 0x8
	v_mov_b32_e32 v1, 0
	s_add_nc_u64 s[2:3], s[0:1], 8
	s_wait_kmcnt 0x0
	s_bitcmp1_b32 s17, 0
	s_cselect_b32 s3, s3, s13
	s_cselect_b32 s2, s2, s12
	flat_load_b64 v[2:3], v1, s[2:3]
	s_wait_loadcnt_dscnt 0x0
	v_cmp_neq_f32_e32 vcc_lo, 0, v2
	v_cmp_neq_f32_e64 s2, 0, v3
	s_or_b32 s2, vcc_lo, s2
	s_delay_alu instid0(SALU_CYCLE_1)
	s_and_saveexec_b32 s3, s2
	s_cbranch_execz .LBB273_18
; %bb.1:
	s_clause 0x3
	s_load_b64 s[2:3], s[0:1], 0x0
	s_load_b32 s17, s[0:1], 0x48
	s_load_b64 s[12:13], s[0:1], 0x38
	s_load_b256 s[4:11], s[0:1], 0x18
	s_wait_xcnt 0x0
	s_bfe_u32 s0, ttmp6, 0x4000c
	s_and_b32 s18, ttmp6, 15
	s_add_co_i32 s0, s0, 1
	s_getreg_b32 s19, hwreg(HW_REG_IB_STS2, 6, 4)
	s_mul_i32 s0, ttmp9, s0
	v_and_b32_e32 v5, 31, v0
	s_add_co_i32 s18, s18, s0
	s_wait_kmcnt 0x0
	s_and_b32 s2, s2, 1
	s_lshl_b32 s1, s17, 3
	s_cmp_eq_u32 s19, 0
	s_cselect_b32 s0, ttmp9, s18
	s_cmp_eq_u32 s2, 0
	v_lshl_or_b32 v1, s0, 8, v0
	s_mov_b32 s2, -1
	s_delay_alu instid0(VALU_DEP_1) | instskip(NEXT) | instid1(VALU_DEP_1)
	v_lshrrev_b32_e32 v4, 5, v1
	v_cmp_gt_i32_e64 s0, s3, v4
	s_cbranch_scc0 .LBB273_9
; %bb.2:
	s_and_saveexec_b32 s2, s0
	s_cbranch_execz .LBB273_8
; %bb.3:
	v_subrev_nc_u32_e32 v6, s16, v5
	v_mov_b32_e32 v0, v4
	s_mov_b32 s17, 0
	s_branch .LBB273_5
.LBB273_4:                              ;   in Loop: Header=BB273_5 Depth=1
	s_or_b32 exec_lo, exec_lo, s18
	v_add_nc_u32_e32 v0, s1, v0
	s_delay_alu instid0(VALU_DEP_1) | instskip(SKIP_1) | instid1(SALU_CYCLE_1)
	v_cmp_le_i32_e32 vcc_lo, s3, v0
	s_or_b32 s17, vcc_lo, s17
	s_and_not1_b32 exec_lo, exec_lo, s17
	s_cbranch_execz .LBB273_8
.LBB273_5:                              ; =>This Loop Header: Depth=1
                                        ;     Child Loop BB273_7 Depth 2
	s_clause 0x1
	global_load_b32 v1, v0, s[4:5] scale_offset
	global_load_b32 v8, v0, s[14:15] scale_offset
	s_mov_b32 s18, exec_lo
	s_wait_loadcnt 0x1
	v_subrev_nc_u32_e32 v7, s16, v1
	s_wait_loadcnt 0x0
	v_add_nc_u32_e32 v8, v8, v6
	s_wait_xcnt 0x0
	s_delay_alu instid0(VALU_DEP_1)
	v_cmpx_lt_i32_e64 v8, v7
	s_cbranch_execz .LBB273_4
; %bb.6:                                ;   in Loop: Header=BB273_5 Depth=1
	v_ashrrev_i32_e32 v1, 31, v0
	s_mov_b32 s19, 0
	s_delay_alu instid0(VALU_DEP_1) | instskip(SKIP_3) | instid1(VALU_DEP_1)
	v_lshl_add_u64 v[10:11], v[0:1], 3, s[10:11]
	global_load_b64 v[10:11], v[10:11], off
	s_wait_loadcnt 0x0
	v_mul_f32_e64 v9, v11, -v3
	v_dual_mul_f32 v1, v2, v11 :: v_dual_fmac_f32 v9, v2, v10
	s_wait_xcnt 0x0
	s_delay_alu instid0(VALU_DEP_1) | instskip(NEXT) | instid1(VALU_DEP_1)
	v_dual_fmac_f32 v1, v3, v10 :: v_dual_mul_f32 v11, 0, v9
	v_mul_f32_e32 v10, 0x80000000, v1
.LBB273_7:                              ;   Parent Loop BB273_5 Depth=1
                                        ; =>  This Inner Loop Header: Depth=2
	s_clause 0x1
	global_load_b32 v12, v8, s[6:7] scale_offset
	global_load_b32 v14, v8, s[8:9] scale_offset
	s_wait_xcnt 0x0
	v_add_nc_u32_e32 v8, 32, v8
	s_delay_alu instid0(VALU_DEP_1)
	v_cmp_ge_i32_e32 vcc_lo, v8, v7
	s_or_b32 s19, vcc_lo, s19
	s_wait_loadcnt 0x1
	v_subrev_nc_u32_e32 v12, s16, v12
	s_wait_loadcnt 0x0
	v_fma_f32 v15, v9, v14, v10
	s_delay_alu instid0(VALU_DEP_2) | instskip(NEXT) | instid1(VALU_DEP_1)
	v_dual_fma_f32 v14, v1, v14, v11 :: v_dual_ashrrev_i32 v13, 31, v12
	v_lshl_add_u64 v[12:13], v[12:13], 3, s[12:13]
	global_atomic_add_f32 v[12:13], v15, off scope:SCOPE_DEV
	s_wait_xcnt 0x0
	global_atomic_add_f32 v[12:13], v14, off offset:4 scope:SCOPE_DEV
	s_wait_xcnt 0x0
	s_and_not1_b32 exec_lo, exec_lo, s19
	s_cbranch_execnz .LBB273_7
	s_branch .LBB273_4
.LBB273_8:
	s_or_b32 exec_lo, exec_lo, s2
	s_mov_b32 s2, 0
.LBB273_9:
	s_delay_alu instid0(SALU_CYCLE_1)
	s_and_not1_b32 vcc_lo, exec_lo, s2
	s_cbranch_vccnz .LBB273_18
; %bb.10:
	s_and_b32 exec_lo, exec_lo, s0
	s_cbranch_execz .LBB273_18
; %bb.11:
	v_subrev_nc_u32_e32 v8, s16, v5
	s_mov_b32 s0, 0
	s_branch .LBB273_13
.LBB273_12:                             ;   in Loop: Header=BB273_13 Depth=1
	s_or_b32 exec_lo, exec_lo, s2
	v_add_nc_u32_e32 v4, s1, v4
	s_delay_alu instid0(VALU_DEP_1) | instskip(SKIP_1) | instid1(SALU_CYCLE_1)
	v_cmp_le_i32_e32 vcc_lo, s3, v4
	s_or_b32 s0, vcc_lo, s0
	s_and_not1_b32 exec_lo, exec_lo, s0
	s_cbranch_execz .LBB273_18
.LBB273_13:                             ; =>This Loop Header: Depth=1
                                        ;     Child Loop BB273_16 Depth 2
	s_clause 0x1
	global_load_b32 v0, v4, s[4:5] scale_offset
	global_load_b32 v1, v4, s[14:15] scale_offset
	s_mov_b32 s2, exec_lo
	s_wait_loadcnt 0x1
	v_subrev_nc_u32_e32 v9, s16, v0
	s_wait_loadcnt 0x0
	v_add_nc_u32_e32 v0, v1, v8
	s_wait_xcnt 0x0
	s_delay_alu instid0(VALU_DEP_1)
	v_cmpx_lt_i32_e64 v0, v9
	s_cbranch_execz .LBB273_12
; %bb.14:                               ;   in Loop: Header=BB273_13 Depth=1
	v_ashrrev_i32_e32 v5, 31, v4
	s_mov_b32 s17, 0
	s_delay_alu instid0(VALU_DEP_1) | instskip(SKIP_3) | instid1(VALU_DEP_1)
	v_lshl_add_u64 v[6:7], v[4:5], 3, s[10:11]
	global_load_b64 v[6:7], v[6:7], off
	s_wait_loadcnt 0x0
	v_mul_f32_e64 v10, v7, -v3
	v_dual_mul_f32 v5, v2, v7 :: v_dual_fmac_f32 v10, v2, v6
	s_delay_alu instid0(VALU_DEP_1) | instskip(NEXT) | instid1(VALU_DEP_1)
	v_fmac_f32_e32 v5, v3, v6
	v_dual_mul_f32 v12, 0, v10 :: v_dual_mul_f32 v11, 0x80000000, v5
	s_branch .LBB273_16
.LBB273_15:                             ;   in Loop: Header=BB273_16 Depth=2
	s_wait_xcnt 0x0
	s_or_b32 exec_lo, exec_lo, s18
	v_add_nc_u32_e32 v0, 32, v0
	s_delay_alu instid0(VALU_DEP_1) | instskip(SKIP_1) | instid1(SALU_CYCLE_1)
	v_cmp_ge_i32_e32 vcc_lo, v0, v9
	s_or_b32 s17, vcc_lo, s17
	s_and_not1_b32 exec_lo, exec_lo, s17
	s_cbranch_execz .LBB273_12
.LBB273_16:                             ;   Parent Loop BB273_13 Depth=1
                                        ; =>  This Inner Loop Header: Depth=2
	global_load_b32 v1, v0, s[6:7] scale_offset
	s_mov_b32 s18, exec_lo
	s_wait_loadcnt 0x0
	s_wait_xcnt 0x1
	v_subrev_nc_u32_e32 v6, s16, v1
	v_ashrrev_i32_e32 v1, 31, v0
	s_wait_xcnt 0x0
	s_delay_alu instid0(VALU_DEP_2)
	v_cmpx_ne_u32_e64 v6, v4
	s_cbranch_execz .LBB273_15
; %bb.17:                               ;   in Loop: Header=BB273_16 Depth=2
	s_delay_alu instid0(VALU_DEP_2) | instskip(SKIP_3) | instid1(VALU_DEP_1)
	v_lshl_add_u64 v[14:15], v[0:1], 2, s[8:9]
	global_load_b32 v1, v[14:15], off
	s_wait_loadcnt 0x0
	v_dual_ashrrev_i32 v7, 31, v6 :: v_dual_fma_f32 v13, v10, v1, v11
	v_lshl_add_u64 v[6:7], v[6:7], 3, s[12:13]
	v_fma_f32 v1, v5, v1, v12
	s_wait_xcnt 0x0
	global_atomic_add_f32 v[6:7], v13, off scope:SCOPE_DEV
	s_wait_xcnt 0x0
	global_atomic_add_f32 v[6:7], v1, off offset:4 scope:SCOPE_DEV
	s_branch .LBB273_15
.LBB273_18:
	s_endpgm
	.section	.rodata,"a",@progbits
	.p2align	6, 0x0
	.amdhsa_kernel _ZN9rocsparseL21csrmvt_general_kernelILj256ELj32Eiif21rocsparse_complex_numIfES2_S2_EEvbbT2_NS_24const_host_device_scalarIT6_EEPKT1_S9_PKS3_PKT3_PKT4_PT5_21rocsparse_index_base_b
		.amdhsa_group_segment_fixed_size 0
		.amdhsa_private_segment_fixed_size 0
		.amdhsa_kernarg_size 328
		.amdhsa_user_sgpr_count 2
		.amdhsa_user_sgpr_dispatch_ptr 0
		.amdhsa_user_sgpr_queue_ptr 0
		.amdhsa_user_sgpr_kernarg_segment_ptr 1
		.amdhsa_user_sgpr_dispatch_id 0
		.amdhsa_user_sgpr_kernarg_preload_length 0
		.amdhsa_user_sgpr_kernarg_preload_offset 0
		.amdhsa_user_sgpr_private_segment_size 0
		.amdhsa_wavefront_size32 1
		.amdhsa_uses_dynamic_stack 0
		.amdhsa_enable_private_segment 0
		.amdhsa_system_sgpr_workgroup_id_x 1
		.amdhsa_system_sgpr_workgroup_id_y 0
		.amdhsa_system_sgpr_workgroup_id_z 0
		.amdhsa_system_sgpr_workgroup_info 0
		.amdhsa_system_vgpr_workitem_id 0
		.amdhsa_next_free_vgpr 16
		.amdhsa_next_free_sgpr 20
		.amdhsa_named_barrier_count 0
		.amdhsa_reserve_vcc 1
		.amdhsa_float_round_mode_32 0
		.amdhsa_float_round_mode_16_64 0
		.amdhsa_float_denorm_mode_32 3
		.amdhsa_float_denorm_mode_16_64 3
		.amdhsa_fp16_overflow 0
		.amdhsa_memory_ordered 1
		.amdhsa_forward_progress 1
		.amdhsa_inst_pref_size 8
		.amdhsa_round_robin_scheduling 0
		.amdhsa_exception_fp_ieee_invalid_op 0
		.amdhsa_exception_fp_denorm_src 0
		.amdhsa_exception_fp_ieee_div_zero 0
		.amdhsa_exception_fp_ieee_overflow 0
		.amdhsa_exception_fp_ieee_underflow 0
		.amdhsa_exception_fp_ieee_inexact 0
		.amdhsa_exception_int_div_zero 0
	.end_amdhsa_kernel
	.section	.text._ZN9rocsparseL21csrmvt_general_kernelILj256ELj32Eiif21rocsparse_complex_numIfES2_S2_EEvbbT2_NS_24const_host_device_scalarIT6_EEPKT1_S9_PKS3_PKT3_PKT4_PT5_21rocsparse_index_base_b,"axG",@progbits,_ZN9rocsparseL21csrmvt_general_kernelILj256ELj32Eiif21rocsparse_complex_numIfES2_S2_EEvbbT2_NS_24const_host_device_scalarIT6_EEPKT1_S9_PKS3_PKT3_PKT4_PT5_21rocsparse_index_base_b,comdat
.Lfunc_end273:
	.size	_ZN9rocsparseL21csrmvt_general_kernelILj256ELj32Eiif21rocsparse_complex_numIfES2_S2_EEvbbT2_NS_24const_host_device_scalarIT6_EEPKT1_S9_PKS3_PKT3_PKT4_PT5_21rocsparse_index_base_b, .Lfunc_end273-_ZN9rocsparseL21csrmvt_general_kernelILj256ELj32Eiif21rocsparse_complex_numIfES2_S2_EEvbbT2_NS_24const_host_device_scalarIT6_EEPKT1_S9_PKS3_PKT3_PKT4_PT5_21rocsparse_index_base_b
                                        ; -- End function
	.set _ZN9rocsparseL21csrmvt_general_kernelILj256ELj32Eiif21rocsparse_complex_numIfES2_S2_EEvbbT2_NS_24const_host_device_scalarIT6_EEPKT1_S9_PKS3_PKT3_PKT4_PT5_21rocsparse_index_base_b.num_vgpr, 16
	.set _ZN9rocsparseL21csrmvt_general_kernelILj256ELj32Eiif21rocsparse_complex_numIfES2_S2_EEvbbT2_NS_24const_host_device_scalarIT6_EEPKT1_S9_PKS3_PKT3_PKT4_PT5_21rocsparse_index_base_b.num_agpr, 0
	.set _ZN9rocsparseL21csrmvt_general_kernelILj256ELj32Eiif21rocsparse_complex_numIfES2_S2_EEvbbT2_NS_24const_host_device_scalarIT6_EEPKT1_S9_PKS3_PKT3_PKT4_PT5_21rocsparse_index_base_b.numbered_sgpr, 20
	.set _ZN9rocsparseL21csrmvt_general_kernelILj256ELj32Eiif21rocsparse_complex_numIfES2_S2_EEvbbT2_NS_24const_host_device_scalarIT6_EEPKT1_S9_PKS3_PKT3_PKT4_PT5_21rocsparse_index_base_b.num_named_barrier, 0
	.set _ZN9rocsparseL21csrmvt_general_kernelILj256ELj32Eiif21rocsparse_complex_numIfES2_S2_EEvbbT2_NS_24const_host_device_scalarIT6_EEPKT1_S9_PKS3_PKT3_PKT4_PT5_21rocsparse_index_base_b.private_seg_size, 0
	.set _ZN9rocsparseL21csrmvt_general_kernelILj256ELj32Eiif21rocsparse_complex_numIfES2_S2_EEvbbT2_NS_24const_host_device_scalarIT6_EEPKT1_S9_PKS3_PKT3_PKT4_PT5_21rocsparse_index_base_b.uses_vcc, 1
	.set _ZN9rocsparseL21csrmvt_general_kernelILj256ELj32Eiif21rocsparse_complex_numIfES2_S2_EEvbbT2_NS_24const_host_device_scalarIT6_EEPKT1_S9_PKS3_PKT3_PKT4_PT5_21rocsparse_index_base_b.uses_flat_scratch, 0
	.set _ZN9rocsparseL21csrmvt_general_kernelILj256ELj32Eiif21rocsparse_complex_numIfES2_S2_EEvbbT2_NS_24const_host_device_scalarIT6_EEPKT1_S9_PKS3_PKT3_PKT4_PT5_21rocsparse_index_base_b.has_dyn_sized_stack, 0
	.set _ZN9rocsparseL21csrmvt_general_kernelILj256ELj32Eiif21rocsparse_complex_numIfES2_S2_EEvbbT2_NS_24const_host_device_scalarIT6_EEPKT1_S9_PKS3_PKT3_PKT4_PT5_21rocsparse_index_base_b.has_recursion, 0
	.set _ZN9rocsparseL21csrmvt_general_kernelILj256ELj32Eiif21rocsparse_complex_numIfES2_S2_EEvbbT2_NS_24const_host_device_scalarIT6_EEPKT1_S9_PKS3_PKT3_PKT4_PT5_21rocsparse_index_base_b.has_indirect_call, 0
	.section	.AMDGPU.csdata,"",@progbits
; Kernel info:
; codeLenInByte = 948
; TotalNumSgprs: 22
; NumVgprs: 16
; ScratchSize: 0
; MemoryBound: 0
; FloatMode: 240
; IeeeMode: 1
; LDSByteSize: 0 bytes/workgroup (compile time only)
; SGPRBlocks: 0
; VGPRBlocks: 0
; NumSGPRsForWavesPerEU: 22
; NumVGPRsForWavesPerEU: 16
; NamedBarCnt: 0
; Occupancy: 16
; WaveLimiterHint : 1
; COMPUTE_PGM_RSRC2:SCRATCH_EN: 0
; COMPUTE_PGM_RSRC2:USER_SGPR: 2
; COMPUTE_PGM_RSRC2:TRAP_HANDLER: 0
; COMPUTE_PGM_RSRC2:TGID_X_EN: 1
; COMPUTE_PGM_RSRC2:TGID_Y_EN: 0
; COMPUTE_PGM_RSRC2:TGID_Z_EN: 0
; COMPUTE_PGM_RSRC2:TIDIG_COMP_CNT: 0
	.section	.text._ZN9rocsparseL21csrmvt_general_kernelILj256ELj64Eiif21rocsparse_complex_numIfES2_S2_EEvbbT2_NS_24const_host_device_scalarIT6_EEPKT1_S9_PKS3_PKT3_PKT4_PT5_21rocsparse_index_base_b,"axG",@progbits,_ZN9rocsparseL21csrmvt_general_kernelILj256ELj64Eiif21rocsparse_complex_numIfES2_S2_EEvbbT2_NS_24const_host_device_scalarIT6_EEPKT1_S9_PKS3_PKT3_PKT4_PT5_21rocsparse_index_base_b,comdat
	.globl	_ZN9rocsparseL21csrmvt_general_kernelILj256ELj64Eiif21rocsparse_complex_numIfES2_S2_EEvbbT2_NS_24const_host_device_scalarIT6_EEPKT1_S9_PKS3_PKT3_PKT4_PT5_21rocsparse_index_base_b ; -- Begin function _ZN9rocsparseL21csrmvt_general_kernelILj256ELj64Eiif21rocsparse_complex_numIfES2_S2_EEvbbT2_NS_24const_host_device_scalarIT6_EEPKT1_S9_PKS3_PKT3_PKT4_PT5_21rocsparse_index_base_b
	.p2align	8
	.type	_ZN9rocsparseL21csrmvt_general_kernelILj256ELj64Eiif21rocsparse_complex_numIfES2_S2_EEvbbT2_NS_24const_host_device_scalarIT6_EEPKT1_S9_PKS3_PKT3_PKT4_PT5_21rocsparse_index_base_b,@function
_ZN9rocsparseL21csrmvt_general_kernelILj256ELj64Eiif21rocsparse_complex_numIfES2_S2_EEvbbT2_NS_24const_host_device_scalarIT6_EEPKT1_S9_PKS3_PKT3_PKT4_PT5_21rocsparse_index_base_b: ; @_ZN9rocsparseL21csrmvt_general_kernelILj256ELj64Eiif21rocsparse_complex_numIfES2_S2_EEvbbT2_NS_24const_host_device_scalarIT6_EEPKT1_S9_PKS3_PKT3_PKT4_PT5_21rocsparse_index_base_b
; %bb.0:
	s_clause 0x1
	s_load_b64 s[16:17], s[0:1], 0x40
	s_load_b128 s[12:15], s[0:1], 0x8
	v_mov_b32_e32 v1, 0
	s_add_nc_u64 s[2:3], s[0:1], 8
	s_wait_kmcnt 0x0
	s_bitcmp1_b32 s17, 0
	s_cselect_b32 s3, s3, s13
	s_cselect_b32 s2, s2, s12
	flat_load_b64 v[2:3], v1, s[2:3]
	s_wait_loadcnt_dscnt 0x0
	v_cmp_neq_f32_e32 vcc_lo, 0, v2
	v_cmp_neq_f32_e64 s2, 0, v3
	s_or_b32 s2, vcc_lo, s2
	s_delay_alu instid0(SALU_CYCLE_1)
	s_and_saveexec_b32 s3, s2
	s_cbranch_execz .LBB274_18
; %bb.1:
	s_clause 0x3
	s_load_b64 s[2:3], s[0:1], 0x0
	s_load_b32 s17, s[0:1], 0x48
	s_load_b64 s[12:13], s[0:1], 0x38
	s_load_b256 s[4:11], s[0:1], 0x18
	s_wait_xcnt 0x0
	s_bfe_u32 s0, ttmp6, 0x4000c
	s_and_b32 s18, ttmp6, 15
	s_add_co_i32 s0, s0, 1
	s_getreg_b32 s19, hwreg(HW_REG_IB_STS2, 6, 4)
	s_mul_i32 s0, ttmp9, s0
	v_and_b32_e32 v5, 63, v0
	s_add_co_i32 s18, s18, s0
	s_wait_kmcnt 0x0
	s_and_b32 s2, s2, 1
	s_lshl_b32 s1, s17, 2
	s_cmp_eq_u32 s19, 0
	s_cselect_b32 s0, ttmp9, s18
	s_cmp_eq_u32 s2, 0
	v_lshl_or_b32 v1, s0, 8, v0
	s_mov_b32 s2, -1
	s_delay_alu instid0(VALU_DEP_1) | instskip(NEXT) | instid1(VALU_DEP_1)
	v_lshrrev_b32_e32 v4, 6, v1
	v_cmp_gt_i32_e64 s0, s3, v4
	s_cbranch_scc0 .LBB274_9
; %bb.2:
	s_and_saveexec_b32 s2, s0
	s_cbranch_execz .LBB274_8
; %bb.3:
	v_subrev_nc_u32_e32 v6, s16, v5
	v_mov_b32_e32 v0, v4
	s_mov_b32 s17, 0
	s_branch .LBB274_5
.LBB274_4:                              ;   in Loop: Header=BB274_5 Depth=1
	s_or_b32 exec_lo, exec_lo, s18
	v_add_nc_u32_e32 v0, s1, v0
	s_delay_alu instid0(VALU_DEP_1) | instskip(SKIP_1) | instid1(SALU_CYCLE_1)
	v_cmp_le_i32_e32 vcc_lo, s3, v0
	s_or_b32 s17, vcc_lo, s17
	s_and_not1_b32 exec_lo, exec_lo, s17
	s_cbranch_execz .LBB274_8
.LBB274_5:                              ; =>This Loop Header: Depth=1
                                        ;     Child Loop BB274_7 Depth 2
	s_clause 0x1
	global_load_b32 v1, v0, s[4:5] scale_offset
	global_load_b32 v8, v0, s[14:15] scale_offset
	s_mov_b32 s18, exec_lo
	s_wait_loadcnt 0x1
	v_subrev_nc_u32_e32 v7, s16, v1
	s_wait_loadcnt 0x0
	v_add_nc_u32_e32 v8, v8, v6
	s_wait_xcnt 0x0
	s_delay_alu instid0(VALU_DEP_1)
	v_cmpx_lt_i32_e64 v8, v7
	s_cbranch_execz .LBB274_4
; %bb.6:                                ;   in Loop: Header=BB274_5 Depth=1
	v_ashrrev_i32_e32 v1, 31, v0
	s_mov_b32 s19, 0
	s_delay_alu instid0(VALU_DEP_1) | instskip(SKIP_3) | instid1(VALU_DEP_1)
	v_lshl_add_u64 v[10:11], v[0:1], 3, s[10:11]
	global_load_b64 v[10:11], v[10:11], off
	s_wait_loadcnt 0x0
	v_mul_f32_e64 v9, v11, -v3
	v_dual_mul_f32 v1, v2, v11 :: v_dual_fmac_f32 v9, v2, v10
	s_wait_xcnt 0x0
	s_delay_alu instid0(VALU_DEP_1) | instskip(NEXT) | instid1(VALU_DEP_1)
	v_dual_fmac_f32 v1, v3, v10 :: v_dual_mul_f32 v11, 0, v9
	v_mul_f32_e32 v10, 0x80000000, v1
.LBB274_7:                              ;   Parent Loop BB274_5 Depth=1
                                        ; =>  This Inner Loop Header: Depth=2
	s_clause 0x1
	global_load_b32 v12, v8, s[6:7] scale_offset
	global_load_b32 v14, v8, s[8:9] scale_offset
	s_wait_xcnt 0x0
	v_add_nc_u32_e32 v8, 64, v8
	s_delay_alu instid0(VALU_DEP_1)
	v_cmp_ge_i32_e32 vcc_lo, v8, v7
	s_or_b32 s19, vcc_lo, s19
	s_wait_loadcnt 0x1
	v_subrev_nc_u32_e32 v12, s16, v12
	s_wait_loadcnt 0x0
	v_fma_f32 v15, v9, v14, v10
	s_delay_alu instid0(VALU_DEP_2) | instskip(NEXT) | instid1(VALU_DEP_1)
	v_dual_fma_f32 v14, v1, v14, v11 :: v_dual_ashrrev_i32 v13, 31, v12
	v_lshl_add_u64 v[12:13], v[12:13], 3, s[12:13]
	global_atomic_add_f32 v[12:13], v15, off scope:SCOPE_DEV
	s_wait_xcnt 0x0
	global_atomic_add_f32 v[12:13], v14, off offset:4 scope:SCOPE_DEV
	s_wait_xcnt 0x0
	s_and_not1_b32 exec_lo, exec_lo, s19
	s_cbranch_execnz .LBB274_7
	s_branch .LBB274_4
.LBB274_8:
	s_or_b32 exec_lo, exec_lo, s2
	s_mov_b32 s2, 0
.LBB274_9:
	s_delay_alu instid0(SALU_CYCLE_1)
	s_and_not1_b32 vcc_lo, exec_lo, s2
	s_cbranch_vccnz .LBB274_18
; %bb.10:
	s_and_b32 exec_lo, exec_lo, s0
	s_cbranch_execz .LBB274_18
; %bb.11:
	v_subrev_nc_u32_e32 v8, s16, v5
	s_mov_b32 s0, 0
	s_branch .LBB274_13
.LBB274_12:                             ;   in Loop: Header=BB274_13 Depth=1
	s_or_b32 exec_lo, exec_lo, s2
	v_add_nc_u32_e32 v4, s1, v4
	s_delay_alu instid0(VALU_DEP_1) | instskip(SKIP_1) | instid1(SALU_CYCLE_1)
	v_cmp_le_i32_e32 vcc_lo, s3, v4
	s_or_b32 s0, vcc_lo, s0
	s_and_not1_b32 exec_lo, exec_lo, s0
	s_cbranch_execz .LBB274_18
.LBB274_13:                             ; =>This Loop Header: Depth=1
                                        ;     Child Loop BB274_16 Depth 2
	s_clause 0x1
	global_load_b32 v0, v4, s[4:5] scale_offset
	global_load_b32 v1, v4, s[14:15] scale_offset
	s_mov_b32 s2, exec_lo
	s_wait_loadcnt 0x1
	v_subrev_nc_u32_e32 v9, s16, v0
	s_wait_loadcnt 0x0
	v_add_nc_u32_e32 v0, v1, v8
	s_wait_xcnt 0x0
	s_delay_alu instid0(VALU_DEP_1)
	v_cmpx_lt_i32_e64 v0, v9
	s_cbranch_execz .LBB274_12
; %bb.14:                               ;   in Loop: Header=BB274_13 Depth=1
	v_ashrrev_i32_e32 v5, 31, v4
	s_mov_b32 s17, 0
	s_delay_alu instid0(VALU_DEP_1) | instskip(SKIP_3) | instid1(VALU_DEP_1)
	v_lshl_add_u64 v[6:7], v[4:5], 3, s[10:11]
	global_load_b64 v[6:7], v[6:7], off
	s_wait_loadcnt 0x0
	v_mul_f32_e64 v10, v7, -v3
	v_dual_mul_f32 v5, v2, v7 :: v_dual_fmac_f32 v10, v2, v6
	s_delay_alu instid0(VALU_DEP_1) | instskip(NEXT) | instid1(VALU_DEP_1)
	v_fmac_f32_e32 v5, v3, v6
	v_dual_mul_f32 v12, 0, v10 :: v_dual_mul_f32 v11, 0x80000000, v5
	s_branch .LBB274_16
.LBB274_15:                             ;   in Loop: Header=BB274_16 Depth=2
	s_wait_xcnt 0x0
	s_or_b32 exec_lo, exec_lo, s18
	v_add_nc_u32_e32 v0, 64, v0
	s_delay_alu instid0(VALU_DEP_1) | instskip(SKIP_1) | instid1(SALU_CYCLE_1)
	v_cmp_ge_i32_e32 vcc_lo, v0, v9
	s_or_b32 s17, vcc_lo, s17
	s_and_not1_b32 exec_lo, exec_lo, s17
	s_cbranch_execz .LBB274_12
.LBB274_16:                             ;   Parent Loop BB274_13 Depth=1
                                        ; =>  This Inner Loop Header: Depth=2
	global_load_b32 v1, v0, s[6:7] scale_offset
	s_mov_b32 s18, exec_lo
	s_wait_loadcnt 0x0
	s_wait_xcnt 0x1
	v_subrev_nc_u32_e32 v6, s16, v1
	v_ashrrev_i32_e32 v1, 31, v0
	s_wait_xcnt 0x0
	s_delay_alu instid0(VALU_DEP_2)
	v_cmpx_ne_u32_e64 v6, v4
	s_cbranch_execz .LBB274_15
; %bb.17:                               ;   in Loop: Header=BB274_16 Depth=2
	s_delay_alu instid0(VALU_DEP_2) | instskip(SKIP_3) | instid1(VALU_DEP_1)
	v_lshl_add_u64 v[14:15], v[0:1], 2, s[8:9]
	global_load_b32 v1, v[14:15], off
	s_wait_loadcnt 0x0
	v_dual_ashrrev_i32 v7, 31, v6 :: v_dual_fma_f32 v13, v10, v1, v11
	v_lshl_add_u64 v[6:7], v[6:7], 3, s[12:13]
	v_fma_f32 v1, v5, v1, v12
	s_wait_xcnt 0x0
	global_atomic_add_f32 v[6:7], v13, off scope:SCOPE_DEV
	s_wait_xcnt 0x0
	global_atomic_add_f32 v[6:7], v1, off offset:4 scope:SCOPE_DEV
	s_branch .LBB274_15
.LBB274_18:
	s_endpgm
	.section	.rodata,"a",@progbits
	.p2align	6, 0x0
	.amdhsa_kernel _ZN9rocsparseL21csrmvt_general_kernelILj256ELj64Eiif21rocsparse_complex_numIfES2_S2_EEvbbT2_NS_24const_host_device_scalarIT6_EEPKT1_S9_PKS3_PKT3_PKT4_PT5_21rocsparse_index_base_b
		.amdhsa_group_segment_fixed_size 0
		.amdhsa_private_segment_fixed_size 0
		.amdhsa_kernarg_size 328
		.amdhsa_user_sgpr_count 2
		.amdhsa_user_sgpr_dispatch_ptr 0
		.amdhsa_user_sgpr_queue_ptr 0
		.amdhsa_user_sgpr_kernarg_segment_ptr 1
		.amdhsa_user_sgpr_dispatch_id 0
		.amdhsa_user_sgpr_kernarg_preload_length 0
		.amdhsa_user_sgpr_kernarg_preload_offset 0
		.amdhsa_user_sgpr_private_segment_size 0
		.amdhsa_wavefront_size32 1
		.amdhsa_uses_dynamic_stack 0
		.amdhsa_enable_private_segment 0
		.amdhsa_system_sgpr_workgroup_id_x 1
		.amdhsa_system_sgpr_workgroup_id_y 0
		.amdhsa_system_sgpr_workgroup_id_z 0
		.amdhsa_system_sgpr_workgroup_info 0
		.amdhsa_system_vgpr_workitem_id 0
		.amdhsa_next_free_vgpr 16
		.amdhsa_next_free_sgpr 20
		.amdhsa_named_barrier_count 0
		.amdhsa_reserve_vcc 1
		.amdhsa_float_round_mode_32 0
		.amdhsa_float_round_mode_16_64 0
		.amdhsa_float_denorm_mode_32 3
		.amdhsa_float_denorm_mode_16_64 3
		.amdhsa_fp16_overflow 0
		.amdhsa_memory_ordered 1
		.amdhsa_forward_progress 1
		.amdhsa_inst_pref_size 8
		.amdhsa_round_robin_scheduling 0
		.amdhsa_exception_fp_ieee_invalid_op 0
		.amdhsa_exception_fp_denorm_src 0
		.amdhsa_exception_fp_ieee_div_zero 0
		.amdhsa_exception_fp_ieee_overflow 0
		.amdhsa_exception_fp_ieee_underflow 0
		.amdhsa_exception_fp_ieee_inexact 0
		.amdhsa_exception_int_div_zero 0
	.end_amdhsa_kernel
	.section	.text._ZN9rocsparseL21csrmvt_general_kernelILj256ELj64Eiif21rocsparse_complex_numIfES2_S2_EEvbbT2_NS_24const_host_device_scalarIT6_EEPKT1_S9_PKS3_PKT3_PKT4_PT5_21rocsparse_index_base_b,"axG",@progbits,_ZN9rocsparseL21csrmvt_general_kernelILj256ELj64Eiif21rocsparse_complex_numIfES2_S2_EEvbbT2_NS_24const_host_device_scalarIT6_EEPKT1_S9_PKS3_PKT3_PKT4_PT5_21rocsparse_index_base_b,comdat
.Lfunc_end274:
	.size	_ZN9rocsparseL21csrmvt_general_kernelILj256ELj64Eiif21rocsparse_complex_numIfES2_S2_EEvbbT2_NS_24const_host_device_scalarIT6_EEPKT1_S9_PKS3_PKT3_PKT4_PT5_21rocsparse_index_base_b, .Lfunc_end274-_ZN9rocsparseL21csrmvt_general_kernelILj256ELj64Eiif21rocsparse_complex_numIfES2_S2_EEvbbT2_NS_24const_host_device_scalarIT6_EEPKT1_S9_PKS3_PKT3_PKT4_PT5_21rocsparse_index_base_b
                                        ; -- End function
	.set _ZN9rocsparseL21csrmvt_general_kernelILj256ELj64Eiif21rocsparse_complex_numIfES2_S2_EEvbbT2_NS_24const_host_device_scalarIT6_EEPKT1_S9_PKS3_PKT3_PKT4_PT5_21rocsparse_index_base_b.num_vgpr, 16
	.set _ZN9rocsparseL21csrmvt_general_kernelILj256ELj64Eiif21rocsparse_complex_numIfES2_S2_EEvbbT2_NS_24const_host_device_scalarIT6_EEPKT1_S9_PKS3_PKT3_PKT4_PT5_21rocsparse_index_base_b.num_agpr, 0
	.set _ZN9rocsparseL21csrmvt_general_kernelILj256ELj64Eiif21rocsparse_complex_numIfES2_S2_EEvbbT2_NS_24const_host_device_scalarIT6_EEPKT1_S9_PKS3_PKT3_PKT4_PT5_21rocsparse_index_base_b.numbered_sgpr, 20
	.set _ZN9rocsparseL21csrmvt_general_kernelILj256ELj64Eiif21rocsparse_complex_numIfES2_S2_EEvbbT2_NS_24const_host_device_scalarIT6_EEPKT1_S9_PKS3_PKT3_PKT4_PT5_21rocsparse_index_base_b.num_named_barrier, 0
	.set _ZN9rocsparseL21csrmvt_general_kernelILj256ELj64Eiif21rocsparse_complex_numIfES2_S2_EEvbbT2_NS_24const_host_device_scalarIT6_EEPKT1_S9_PKS3_PKT3_PKT4_PT5_21rocsparse_index_base_b.private_seg_size, 0
	.set _ZN9rocsparseL21csrmvt_general_kernelILj256ELj64Eiif21rocsparse_complex_numIfES2_S2_EEvbbT2_NS_24const_host_device_scalarIT6_EEPKT1_S9_PKS3_PKT3_PKT4_PT5_21rocsparse_index_base_b.uses_vcc, 1
	.set _ZN9rocsparseL21csrmvt_general_kernelILj256ELj64Eiif21rocsparse_complex_numIfES2_S2_EEvbbT2_NS_24const_host_device_scalarIT6_EEPKT1_S9_PKS3_PKT3_PKT4_PT5_21rocsparse_index_base_b.uses_flat_scratch, 0
	.set _ZN9rocsparseL21csrmvt_general_kernelILj256ELj64Eiif21rocsparse_complex_numIfES2_S2_EEvbbT2_NS_24const_host_device_scalarIT6_EEPKT1_S9_PKS3_PKT3_PKT4_PT5_21rocsparse_index_base_b.has_dyn_sized_stack, 0
	.set _ZN9rocsparseL21csrmvt_general_kernelILj256ELj64Eiif21rocsparse_complex_numIfES2_S2_EEvbbT2_NS_24const_host_device_scalarIT6_EEPKT1_S9_PKS3_PKT3_PKT4_PT5_21rocsparse_index_base_b.has_recursion, 0
	.set _ZN9rocsparseL21csrmvt_general_kernelILj256ELj64Eiif21rocsparse_complex_numIfES2_S2_EEvbbT2_NS_24const_host_device_scalarIT6_EEPKT1_S9_PKS3_PKT3_PKT4_PT5_21rocsparse_index_base_b.has_indirect_call, 0
	.section	.AMDGPU.csdata,"",@progbits
; Kernel info:
; codeLenInByte = 948
; TotalNumSgprs: 22
; NumVgprs: 16
; ScratchSize: 0
; MemoryBound: 0
; FloatMode: 240
; IeeeMode: 1
; LDSByteSize: 0 bytes/workgroup (compile time only)
; SGPRBlocks: 0
; VGPRBlocks: 0
; NumSGPRsForWavesPerEU: 22
; NumVGPRsForWavesPerEU: 16
; NamedBarCnt: 0
; Occupancy: 16
; WaveLimiterHint : 1
; COMPUTE_PGM_RSRC2:SCRATCH_EN: 0
; COMPUTE_PGM_RSRC2:USER_SGPR: 2
; COMPUTE_PGM_RSRC2:TRAP_HANDLER: 0
; COMPUTE_PGM_RSRC2:TGID_X_EN: 1
; COMPUTE_PGM_RSRC2:TGID_Y_EN: 0
; COMPUTE_PGM_RSRC2:TGID_Z_EN: 0
; COMPUTE_PGM_RSRC2:TIDIG_COMP_CNT: 0
	.section	.text._ZN9rocsparseL21csrmvn_general_kernelILj256ELj2Elif21rocsparse_complex_numIfES2_S2_EEvbT2_NS_24const_host_device_scalarIT6_EEPKT1_S9_PKS3_PKT3_PKT4_S6_PT5_21rocsparse_index_base_b,"axG",@progbits,_ZN9rocsparseL21csrmvn_general_kernelILj256ELj2Elif21rocsparse_complex_numIfES2_S2_EEvbT2_NS_24const_host_device_scalarIT6_EEPKT1_S9_PKS3_PKT3_PKT4_S6_PT5_21rocsparse_index_base_b,comdat
	.globl	_ZN9rocsparseL21csrmvn_general_kernelILj256ELj2Elif21rocsparse_complex_numIfES2_S2_EEvbT2_NS_24const_host_device_scalarIT6_EEPKT1_S9_PKS3_PKT3_PKT4_S6_PT5_21rocsparse_index_base_b ; -- Begin function _ZN9rocsparseL21csrmvn_general_kernelILj256ELj2Elif21rocsparse_complex_numIfES2_S2_EEvbT2_NS_24const_host_device_scalarIT6_EEPKT1_S9_PKS3_PKT3_PKT4_S6_PT5_21rocsparse_index_base_b
	.p2align	8
	.type	_ZN9rocsparseL21csrmvn_general_kernelILj256ELj2Elif21rocsparse_complex_numIfES2_S2_EEvbT2_NS_24const_host_device_scalarIT6_EEPKT1_S9_PKS3_PKT3_PKT4_S6_PT5_21rocsparse_index_base_b,@function
_ZN9rocsparseL21csrmvn_general_kernelILj256ELj2Elif21rocsparse_complex_numIfES2_S2_EEvbT2_NS_24const_host_device_scalarIT6_EEPKT1_S9_PKS3_PKT3_PKT4_S6_PT5_21rocsparse_index_base_b: ; @_ZN9rocsparseL21csrmvn_general_kernelILj256ELj2Elif21rocsparse_complex_numIfES2_S2_EEvbT2_NS_24const_host_device_scalarIT6_EEPKT1_S9_PKS3_PKT3_PKT4_S6_PT5_21rocsparse_index_base_b
; %bb.0:
	s_clause 0x2
	s_load_b64 s[16:17], s[0:1], 0x48
	s_load_b128 s[12:15], s[0:1], 0x8
	s_load_b64 s[2:3], s[0:1], 0x38
	v_mov_b32_e32 v1, 0
	s_add_nc_u64 s[4:5], s[0:1], 8
	s_add_nc_u64 s[6:7], s[0:1], 56
	s_wait_kmcnt 0x0
	s_bitcmp1_b32 s17, 0
	s_cselect_b32 s5, s5, s13
	s_cselect_b32 s4, s4, s12
	s_cselect_b32 s3, s7, s3
	s_cselect_b32 s2, s6, s2
	s_clause 0x1
	flat_load_b64 v[2:3], v1, s[4:5]
	flat_load_b64 v[4:5], v1, s[2:3]
	s_wait_loadcnt_dscnt 0x101
	v_cmp_neq_f32_e32 vcc_lo, 0, v2
	s_wait_xcnt 0x0
	v_cmp_neq_f32_e64 s2, 0, v3
	s_wait_loadcnt_dscnt 0x0
	v_cmp_neq_f32_e64 s3, 1.0, v4
	v_cmp_neq_f32_e64 s4, 0, v5
	s_or_b32 s2, vcc_lo, s2
	s_or_b32 s3, s3, s4
	s_delay_alu instid0(SALU_CYCLE_1) | instskip(NEXT) | instid1(SALU_CYCLE_1)
	s_or_b32 s2, s2, s3
	s_and_saveexec_b32 s3, s2
	s_cbranch_execz .LBB275_12
; %bb.1:
	s_bfe_u32 s2, ttmp6, 0x4000c
	s_load_b32 s12, s[0:1], 0x4
	s_add_co_i32 s2, s2, 1
	s_and_b32 s3, ttmp6, 15
	s_mul_i32 s2, ttmp9, s2
	s_getreg_b32 s4, hwreg(HW_REG_IB_STS2, 6, 4)
	s_add_co_i32 s3, s3, s2
	s_cmp_eq_u32 s4, 0
	s_cselect_b32 s2, ttmp9, s3
	s_delay_alu instid0(SALU_CYCLE_1) | instskip(NEXT) | instid1(VALU_DEP_1)
	v_lshl_or_b32 v1, s2, 8, v0
	v_lshrrev_b32_e32 v6, 1, v1
	s_wait_kmcnt 0x0
	s_delay_alu instid0(VALU_DEP_1)
	v_cmp_gt_i32_e32 vcc_lo, s12, v6
	s_and_b32 exec_lo, exec_lo, vcc_lo
	s_cbranch_execz .LBB275_12
; %bb.2:
	v_dual_mov_b32 v11, 0 :: v_dual_bitop2_b32 v10, 1, v0 bitop3:0x40
	v_mov_b64_e32 v[0:1], 0x8000000000000000
	v_mbcnt_lo_u32_b32 v7, -1, 0
	s_clause 0x2
	s_load_b32 s13, s[0:1], 0x50
	s_load_b64 s[2:3], s[0:1], 0x40
	s_load_b256 s[4:11], s[0:1], 0x18
	s_mov_b32 s17, 0
	s_wait_xcnt 0x0
	v_cmp_neq_f32_e64 s0, 0, v4
	v_cmp_neq_f32_e64 s1, 0, v5
	s_ashr_i32 s19, s16, 31
	v_pk_mul_f32 v[12:13], v[2:3], v[0:1]
	v_xor_b32_e32 v8, 1, v7
	v_sub_nc_u64_e64 v[0:1], v[10:11], s[16:17]
	s_mov_b32 s18, s16
	s_or_b32 s1, s0, s1
	v_mov_b32_e32 v9, v12
	v_cmp_gt_i32_e32 vcc_lo, 32, v8
	s_lshl_b64 s[18:19], s[18:19], 3
	v_dual_mov_b32 v11, v4 :: v_dual_cndmask_b32 v7, v7, v8, vcc_lo
	v_mov_b32_e32 v8, v13
	v_cmp_eq_u32_e32 vcc_lo, 1, v10
	v_xor_b32_e32 v10, 0x80000000, v5
	s_wait_kmcnt 0x0
	s_lshl_b32 s13, s13, 7
	v_lshlrev_b32_e32 v22, 2, v7
	s_sub_nc_u64 s[10:11], s[10:11], s[18:19]
	s_mov_b32 s18, s17
	s_branch .LBB275_5
.LBB275_3:                              ;   in Loop: Header=BB275_5 Depth=1
	s_wait_xcnt 0x0
	s_or_b32 exec_lo, exec_lo, s19
	global_store_b64 v[12:13], v[14:15], off
.LBB275_4:                              ;   in Loop: Header=BB275_5 Depth=1
	s_wait_xcnt 0x0
	s_or_b32 exec_lo, exec_lo, s0
	v_add_nc_u32_e32 v6, s13, v6
	s_delay_alu instid0(VALU_DEP_1) | instskip(SKIP_1) | instid1(SALU_CYCLE_1)
	v_cmp_le_i32_e64 s0, s12, v6
	s_or_b32 s18, s0, s18
	s_and_not1_b32 exec_lo, exec_lo, s18
	s_cbranch_execz .LBB275_12
.LBB275_5:                              ; =>This Loop Header: Depth=1
                                        ;     Child Loop BB275_7 Depth 2
	s_clause 0x1
	global_load_b64 v[12:13], v6, s[4:5] scale_offset
	global_load_b64 v[16:17], v6, s[14:15] scale_offset
	s_mov_b32 s19, exec_lo
	s_wait_loadcnt_dscnt 0x100
	v_sub_nc_u64_e64 v[14:15], v[12:13], s[16:17]
	s_wait_loadcnt 0x0
	v_add_nc_u64_e32 v[16:17], v[16:17], v[0:1]
	v_dual_mov_b32 v13, 0 :: v_dual_mov_b32 v12, 0
	s_wait_xcnt 0x0
	s_delay_alu instid0(VALU_DEP_2)
	v_cmpx_lt_i64_e64 v[16:17], v[14:15]
	s_cbranch_execz .LBB275_9
; %bb.6:                                ;   in Loop: Header=BB275_5 Depth=1
	v_lshlrev_b64_e32 v[20:21], 2, v[16:17]
	v_mov_b32_e32 v12, 0
	s_mov_b32 s20, 0
	s_delay_alu instid0(VALU_DEP_1) | instskip(NEXT) | instid1(VALU_DEP_3)
	v_mov_b32_e32 v13, v12
	v_add_nc_u64_e32 v[18:19], s[8:9], v[20:21]
	v_add_nc_u64_e32 v[20:21], s[6:7], v[20:21]
.LBB275_7:                              ;   Parent Loop BB275_5 Depth=1
                                        ; =>  This Inner Loop Header: Depth=2
	global_load_b32 v7, v[20:21], off
	global_load_b32 v24, v[18:19], off
	v_add_nc_u64_e32 v[16:17], 2, v[16:17]
	s_wait_xcnt 0x0
	v_add_nc_u64_e32 v[18:19], 8, v[18:19]
	v_add_nc_u64_e32 v[20:21], 8, v[20:21]
	s_delay_alu instid0(VALU_DEP_3)
	v_cmp_ge_i64_e64 s0, v[16:17], v[14:15]
	s_or_b32 s20, s0, s20
	s_wait_loadcnt 0x1
	global_load_b64 v[26:27], v7, s[10:11] scale_offset
	s_wait_loadcnt 0x1
	v_pk_fma_f32 v[24:25], v[2:3], v[24:25], v[8:9] op_sel_hi:[1,0,1]
	s_wait_loadcnt 0x0
	s_delay_alu instid0(VALU_DEP_1) | instskip(NEXT) | instid1(VALU_DEP_1)
	v_pk_fma_f32 v[12:13], v[24:25], v[26:27], v[12:13] op_sel_hi:[1,0,1]
	v_pk_fma_f32 v[12:13], v[24:25], v[26:27], v[12:13] op_sel:[1,1,0] op_sel_hi:[0,1,1] neg_lo:[1,0,0]
	s_wait_xcnt 0x0
	s_and_not1_b32 exec_lo, exec_lo, s20
	s_cbranch_execnz .LBB275_7
; %bb.8:                                ;   in Loop: Header=BB275_5 Depth=1
	s_or_b32 exec_lo, exec_lo, s20
.LBB275_9:                              ;   in Loop: Header=BB275_5 Depth=1
	s_delay_alu instid0(SALU_CYCLE_1)
	s_or_b32 exec_lo, exec_lo, s19
	ds_bpermute_b32 v14, v22, v12
	ds_bpermute_b32 v15, v22, v13
	v_ashrrev_i32_e32 v7, 31, v6
	s_and_saveexec_b32 s0, vcc_lo
	s_cbranch_execz .LBB275_4
; %bb.10:                               ;   in Loop: Header=BB275_5 Depth=1
	s_wait_dscnt 0x0
	v_pk_add_f32 v[14:15], v[12:13], v[14:15]
	v_lshl_add_u64 v[12:13], v[6:7], 3, s[2:3]
	s_and_saveexec_b32 s19, s1
	s_cbranch_execz .LBB275_3
; %bb.11:                               ;   in Loop: Header=BB275_5 Depth=1
	global_load_b64 v[16:17], v[12:13], off
	s_wait_loadcnt 0x0
	v_pk_fma_f32 v[14:15], v[4:5], v[16:17], v[14:15] op_sel_hi:[1,0,1]
	s_delay_alu instid0(VALU_DEP_1)
	v_pk_fma_f32 v[14:15], v[10:11], v[16:17], v[14:15] op_sel:[0,1,0]
	s_branch .LBB275_3
.LBB275_12:
	s_endpgm
	.section	.rodata,"a",@progbits
	.p2align	6, 0x0
	.amdhsa_kernel _ZN9rocsparseL21csrmvn_general_kernelILj256ELj2Elif21rocsparse_complex_numIfES2_S2_EEvbT2_NS_24const_host_device_scalarIT6_EEPKT1_S9_PKS3_PKT3_PKT4_S6_PT5_21rocsparse_index_base_b
		.amdhsa_group_segment_fixed_size 0
		.amdhsa_private_segment_fixed_size 0
		.amdhsa_kernarg_size 336
		.amdhsa_user_sgpr_count 2
		.amdhsa_user_sgpr_dispatch_ptr 0
		.amdhsa_user_sgpr_queue_ptr 0
		.amdhsa_user_sgpr_kernarg_segment_ptr 1
		.amdhsa_user_sgpr_dispatch_id 0
		.amdhsa_user_sgpr_kernarg_preload_length 0
		.amdhsa_user_sgpr_kernarg_preload_offset 0
		.amdhsa_user_sgpr_private_segment_size 0
		.amdhsa_wavefront_size32 1
		.amdhsa_uses_dynamic_stack 0
		.amdhsa_enable_private_segment 0
		.amdhsa_system_sgpr_workgroup_id_x 1
		.amdhsa_system_sgpr_workgroup_id_y 0
		.amdhsa_system_sgpr_workgroup_id_z 0
		.amdhsa_system_sgpr_workgroup_info 0
		.amdhsa_system_vgpr_workitem_id 0
		.amdhsa_next_free_vgpr 28
		.amdhsa_next_free_sgpr 21
		.amdhsa_named_barrier_count 0
		.amdhsa_reserve_vcc 1
		.amdhsa_float_round_mode_32 0
		.amdhsa_float_round_mode_16_64 0
		.amdhsa_float_denorm_mode_32 3
		.amdhsa_float_denorm_mode_16_64 3
		.amdhsa_fp16_overflow 0
		.amdhsa_memory_ordered 1
		.amdhsa_forward_progress 1
		.amdhsa_inst_pref_size 7
		.amdhsa_round_robin_scheduling 0
		.amdhsa_exception_fp_ieee_invalid_op 0
		.amdhsa_exception_fp_denorm_src 0
		.amdhsa_exception_fp_ieee_div_zero 0
		.amdhsa_exception_fp_ieee_overflow 0
		.amdhsa_exception_fp_ieee_underflow 0
		.amdhsa_exception_fp_ieee_inexact 0
		.amdhsa_exception_int_div_zero 0
	.end_amdhsa_kernel
	.section	.text._ZN9rocsparseL21csrmvn_general_kernelILj256ELj2Elif21rocsparse_complex_numIfES2_S2_EEvbT2_NS_24const_host_device_scalarIT6_EEPKT1_S9_PKS3_PKT3_PKT4_S6_PT5_21rocsparse_index_base_b,"axG",@progbits,_ZN9rocsparseL21csrmvn_general_kernelILj256ELj2Elif21rocsparse_complex_numIfES2_S2_EEvbT2_NS_24const_host_device_scalarIT6_EEPKT1_S9_PKS3_PKT3_PKT4_S6_PT5_21rocsparse_index_base_b,comdat
.Lfunc_end275:
	.size	_ZN9rocsparseL21csrmvn_general_kernelILj256ELj2Elif21rocsparse_complex_numIfES2_S2_EEvbT2_NS_24const_host_device_scalarIT6_EEPKT1_S9_PKS3_PKT3_PKT4_S6_PT5_21rocsparse_index_base_b, .Lfunc_end275-_ZN9rocsparseL21csrmvn_general_kernelILj256ELj2Elif21rocsparse_complex_numIfES2_S2_EEvbT2_NS_24const_host_device_scalarIT6_EEPKT1_S9_PKS3_PKT3_PKT4_S6_PT5_21rocsparse_index_base_b
                                        ; -- End function
	.set _ZN9rocsparseL21csrmvn_general_kernelILj256ELj2Elif21rocsparse_complex_numIfES2_S2_EEvbT2_NS_24const_host_device_scalarIT6_EEPKT1_S9_PKS3_PKT3_PKT4_S6_PT5_21rocsparse_index_base_b.num_vgpr, 28
	.set _ZN9rocsparseL21csrmvn_general_kernelILj256ELj2Elif21rocsparse_complex_numIfES2_S2_EEvbT2_NS_24const_host_device_scalarIT6_EEPKT1_S9_PKS3_PKT3_PKT4_S6_PT5_21rocsparse_index_base_b.num_agpr, 0
	.set _ZN9rocsparseL21csrmvn_general_kernelILj256ELj2Elif21rocsparse_complex_numIfES2_S2_EEvbT2_NS_24const_host_device_scalarIT6_EEPKT1_S9_PKS3_PKT3_PKT4_S6_PT5_21rocsparse_index_base_b.numbered_sgpr, 21
	.set _ZN9rocsparseL21csrmvn_general_kernelILj256ELj2Elif21rocsparse_complex_numIfES2_S2_EEvbT2_NS_24const_host_device_scalarIT6_EEPKT1_S9_PKS3_PKT3_PKT4_S6_PT5_21rocsparse_index_base_b.num_named_barrier, 0
	.set _ZN9rocsparseL21csrmvn_general_kernelILj256ELj2Elif21rocsparse_complex_numIfES2_S2_EEvbT2_NS_24const_host_device_scalarIT6_EEPKT1_S9_PKS3_PKT3_PKT4_S6_PT5_21rocsparse_index_base_b.private_seg_size, 0
	.set _ZN9rocsparseL21csrmvn_general_kernelILj256ELj2Elif21rocsparse_complex_numIfES2_S2_EEvbT2_NS_24const_host_device_scalarIT6_EEPKT1_S9_PKS3_PKT3_PKT4_S6_PT5_21rocsparse_index_base_b.uses_vcc, 1
	.set _ZN9rocsparseL21csrmvn_general_kernelILj256ELj2Elif21rocsparse_complex_numIfES2_S2_EEvbT2_NS_24const_host_device_scalarIT6_EEPKT1_S9_PKS3_PKT3_PKT4_S6_PT5_21rocsparse_index_base_b.uses_flat_scratch, 1
	.set _ZN9rocsparseL21csrmvn_general_kernelILj256ELj2Elif21rocsparse_complex_numIfES2_S2_EEvbT2_NS_24const_host_device_scalarIT6_EEPKT1_S9_PKS3_PKT3_PKT4_S6_PT5_21rocsparse_index_base_b.has_dyn_sized_stack, 0
	.set _ZN9rocsparseL21csrmvn_general_kernelILj256ELj2Elif21rocsparse_complex_numIfES2_S2_EEvbT2_NS_24const_host_device_scalarIT6_EEPKT1_S9_PKS3_PKT3_PKT4_S6_PT5_21rocsparse_index_base_b.has_recursion, 0
	.set _ZN9rocsparseL21csrmvn_general_kernelILj256ELj2Elif21rocsparse_complex_numIfES2_S2_EEvbT2_NS_24const_host_device_scalarIT6_EEPKT1_S9_PKS3_PKT3_PKT4_S6_PT5_21rocsparse_index_base_b.has_indirect_call, 0
	.section	.AMDGPU.csdata,"",@progbits
; Kernel info:
; codeLenInByte = 812
; TotalNumSgprs: 23
; NumVgprs: 28
; ScratchSize: 0
; MemoryBound: 0
; FloatMode: 240
; IeeeMode: 1
; LDSByteSize: 0 bytes/workgroup (compile time only)
; SGPRBlocks: 0
; VGPRBlocks: 1
; NumSGPRsForWavesPerEU: 23
; NumVGPRsForWavesPerEU: 28
; NamedBarCnt: 0
; Occupancy: 16
; WaveLimiterHint : 1
; COMPUTE_PGM_RSRC2:SCRATCH_EN: 0
; COMPUTE_PGM_RSRC2:USER_SGPR: 2
; COMPUTE_PGM_RSRC2:TRAP_HANDLER: 0
; COMPUTE_PGM_RSRC2:TGID_X_EN: 1
; COMPUTE_PGM_RSRC2:TGID_Y_EN: 0
; COMPUTE_PGM_RSRC2:TGID_Z_EN: 0
; COMPUTE_PGM_RSRC2:TIDIG_COMP_CNT: 0
	.section	.text._ZN9rocsparseL21csrmvn_general_kernelILj256ELj4Elif21rocsparse_complex_numIfES2_S2_EEvbT2_NS_24const_host_device_scalarIT6_EEPKT1_S9_PKS3_PKT3_PKT4_S6_PT5_21rocsparse_index_base_b,"axG",@progbits,_ZN9rocsparseL21csrmvn_general_kernelILj256ELj4Elif21rocsparse_complex_numIfES2_S2_EEvbT2_NS_24const_host_device_scalarIT6_EEPKT1_S9_PKS3_PKT3_PKT4_S6_PT5_21rocsparse_index_base_b,comdat
	.globl	_ZN9rocsparseL21csrmvn_general_kernelILj256ELj4Elif21rocsparse_complex_numIfES2_S2_EEvbT2_NS_24const_host_device_scalarIT6_EEPKT1_S9_PKS3_PKT3_PKT4_S6_PT5_21rocsparse_index_base_b ; -- Begin function _ZN9rocsparseL21csrmvn_general_kernelILj256ELj4Elif21rocsparse_complex_numIfES2_S2_EEvbT2_NS_24const_host_device_scalarIT6_EEPKT1_S9_PKS3_PKT3_PKT4_S6_PT5_21rocsparse_index_base_b
	.p2align	8
	.type	_ZN9rocsparseL21csrmvn_general_kernelILj256ELj4Elif21rocsparse_complex_numIfES2_S2_EEvbT2_NS_24const_host_device_scalarIT6_EEPKT1_S9_PKS3_PKT3_PKT4_S6_PT5_21rocsparse_index_base_b,@function
_ZN9rocsparseL21csrmvn_general_kernelILj256ELj4Elif21rocsparse_complex_numIfES2_S2_EEvbT2_NS_24const_host_device_scalarIT6_EEPKT1_S9_PKS3_PKT3_PKT4_S6_PT5_21rocsparse_index_base_b: ; @_ZN9rocsparseL21csrmvn_general_kernelILj256ELj4Elif21rocsparse_complex_numIfES2_S2_EEvbT2_NS_24const_host_device_scalarIT6_EEPKT1_S9_PKS3_PKT3_PKT4_S6_PT5_21rocsparse_index_base_b
; %bb.0:
	s_clause 0x2
	s_load_b64 s[16:17], s[0:1], 0x48
	s_load_b128 s[12:15], s[0:1], 0x8
	s_load_b64 s[2:3], s[0:1], 0x38
	v_mov_b32_e32 v1, 0
	s_add_nc_u64 s[4:5], s[0:1], 8
	s_add_nc_u64 s[6:7], s[0:1], 56
	s_wait_kmcnt 0x0
	s_bitcmp1_b32 s17, 0
	s_cselect_b32 s5, s5, s13
	s_cselect_b32 s4, s4, s12
	;; [unrolled: 1-line block ×4, first 2 shown]
	s_clause 0x1
	flat_load_b64 v[2:3], v1, s[4:5]
	flat_load_b64 v[4:5], v1, s[2:3]
	s_wait_loadcnt_dscnt 0x101
	v_cmp_neq_f32_e32 vcc_lo, 0, v2
	s_wait_xcnt 0x0
	v_cmp_neq_f32_e64 s2, 0, v3
	s_wait_loadcnt_dscnt 0x0
	v_cmp_neq_f32_e64 s3, 1.0, v4
	v_cmp_neq_f32_e64 s4, 0, v5
	s_or_b32 s2, vcc_lo, s2
	s_or_b32 s3, s3, s4
	s_delay_alu instid0(SALU_CYCLE_1) | instskip(NEXT) | instid1(SALU_CYCLE_1)
	s_or_b32 s2, s2, s3
	s_and_saveexec_b32 s3, s2
	s_cbranch_execz .LBB276_12
; %bb.1:
	s_bfe_u32 s2, ttmp6, 0x4000c
	s_load_b32 s12, s[0:1], 0x4
	s_add_co_i32 s2, s2, 1
	s_and_b32 s3, ttmp6, 15
	s_mul_i32 s2, ttmp9, s2
	s_getreg_b32 s4, hwreg(HW_REG_IB_STS2, 6, 4)
	s_add_co_i32 s3, s3, s2
	s_cmp_eq_u32 s4, 0
	s_cselect_b32 s2, ttmp9, s3
	s_delay_alu instid0(SALU_CYCLE_1) | instskip(NEXT) | instid1(VALU_DEP_1)
	v_lshl_or_b32 v1, s2, 8, v0
	v_lshrrev_b32_e32 v6, 2, v1
	s_wait_kmcnt 0x0
	s_delay_alu instid0(VALU_DEP_1)
	v_cmp_gt_i32_e32 vcc_lo, s12, v6
	s_and_b32 exec_lo, exec_lo, vcc_lo
	s_cbranch_execz .LBB276_12
; %bb.2:
	v_mov_b64_e32 v[8:9], 0x8000000000000000
	v_mbcnt_lo_u32_b32 v7, -1, 0
	s_clause 0x2
	s_load_b32 s13, s[0:1], 0x50
	s_load_b64 s[2:3], s[0:1], 0x40
	s_load_b256 s[4:11], s[0:1], 0x18
	v_dual_mov_b32 v11, 0 :: v_dual_bitop2_b32 v10, 3, v0 bitop3:0x40
	s_mov_b32 s17, 0
	s_wait_xcnt 0x0
	s_ashr_i32 s1, s16, 31
	v_pk_mul_f32 v[12:13], v[2:3], v[8:9]
	v_xor_b32_e32 v14, 2, v7
	v_sub_nc_u64_e64 v[0:1], v[10:11], s[16:17]
	s_mov_b32 s0, s16
	s_delay_alu instid0(SALU_CYCLE_1)
	s_lshl_b64 s[18:19], s[0:1], 3
	v_mov_b32_e32 v8, v13
	v_cmp_gt_i32_e32 vcc_lo, 32, v14
	v_xor_b32_e32 v15, 1, v7
	v_cmp_neq_f32_e64 s0, 0, v4
	v_cmp_neq_f32_e64 s1, 0, v5
	v_dual_mov_b32 v9, v12 :: v_dual_cndmask_b32 v11, v7, v14, vcc_lo
	s_delay_alu instid0(VALU_DEP_4)
	v_cmp_gt_i32_e32 vcc_lo, 32, v15
	s_wait_kmcnt 0x0
	s_lshl_b32 s13, s13, 6
	s_sub_nc_u64 s[10:11], s[10:11], s[18:19]
	s_or_b32 s1, s0, s1
	v_dual_mov_b32 v11, v4 :: v_dual_lshlrev_b32 v22, 2, v11
	v_cndmask_b32_e32 v7, v7, v15, vcc_lo
	v_cmp_eq_u32_e32 vcc_lo, 3, v10
	v_xor_b32_e32 v10, 0x80000000, v5
	s_mov_b32 s18, s17
	s_delay_alu instid0(VALU_DEP_3)
	v_lshlrev_b32_e32 v23, 2, v7
	s_branch .LBB276_5
.LBB276_3:                              ;   in Loop: Header=BB276_5 Depth=1
	s_wait_xcnt 0x0
	s_or_b32 exec_lo, exec_lo, s19
	global_store_b64 v[12:13], v[14:15], off
.LBB276_4:                              ;   in Loop: Header=BB276_5 Depth=1
	s_wait_xcnt 0x0
	s_or_b32 exec_lo, exec_lo, s0
	v_add_nc_u32_e32 v6, s13, v6
	s_delay_alu instid0(VALU_DEP_1) | instskip(SKIP_1) | instid1(SALU_CYCLE_1)
	v_cmp_le_i32_e64 s0, s12, v6
	s_or_b32 s18, s0, s18
	s_and_not1_b32 exec_lo, exec_lo, s18
	s_cbranch_execz .LBB276_12
.LBB276_5:                              ; =>This Loop Header: Depth=1
                                        ;     Child Loop BB276_7 Depth 2
	s_clause 0x1
	global_load_b64 v[12:13], v6, s[4:5] scale_offset
	global_load_b64 v[16:17], v6, s[14:15] scale_offset
	s_mov_b32 s19, exec_lo
	s_wait_loadcnt_dscnt 0x100
	v_sub_nc_u64_e64 v[14:15], v[12:13], s[16:17]
	s_wait_loadcnt 0x0
	v_add_nc_u64_e32 v[16:17], v[16:17], v[0:1]
	v_dual_mov_b32 v13, 0 :: v_dual_mov_b32 v12, 0
	s_wait_xcnt 0x0
	s_delay_alu instid0(VALU_DEP_2)
	v_cmpx_lt_i64_e64 v[16:17], v[14:15]
	s_cbranch_execz .LBB276_9
; %bb.6:                                ;   in Loop: Header=BB276_5 Depth=1
	v_lshlrev_b64_e32 v[20:21], 2, v[16:17]
	v_mov_b32_e32 v12, 0
	s_mov_b32 s20, 0
	s_delay_alu instid0(VALU_DEP_1) | instskip(NEXT) | instid1(VALU_DEP_3)
	v_mov_b32_e32 v13, v12
	v_add_nc_u64_e32 v[18:19], s[8:9], v[20:21]
	v_add_nc_u64_e32 v[20:21], s[6:7], v[20:21]
.LBB276_7:                              ;   Parent Loop BB276_5 Depth=1
                                        ; =>  This Inner Loop Header: Depth=2
	global_load_b32 v7, v[20:21], off
	global_load_b32 v24, v[18:19], off
	v_add_nc_u64_e32 v[16:17], 4, v[16:17]
	s_wait_xcnt 0x0
	v_add_nc_u64_e32 v[18:19], 16, v[18:19]
	v_add_nc_u64_e32 v[20:21], 16, v[20:21]
	s_delay_alu instid0(VALU_DEP_3)
	v_cmp_ge_i64_e64 s0, v[16:17], v[14:15]
	s_or_b32 s20, s0, s20
	s_wait_loadcnt 0x1
	global_load_b64 v[26:27], v7, s[10:11] scale_offset
	s_wait_loadcnt 0x1
	v_pk_fma_f32 v[24:25], v[2:3], v[24:25], v[8:9] op_sel_hi:[1,0,1]
	s_wait_loadcnt 0x0
	s_delay_alu instid0(VALU_DEP_1) | instskip(NEXT) | instid1(VALU_DEP_1)
	v_pk_fma_f32 v[12:13], v[24:25], v[26:27], v[12:13] op_sel_hi:[1,0,1]
	v_pk_fma_f32 v[12:13], v[24:25], v[26:27], v[12:13] op_sel:[1,1,0] op_sel_hi:[0,1,1] neg_lo:[1,0,0]
	s_wait_xcnt 0x0
	s_and_not1_b32 exec_lo, exec_lo, s20
	s_cbranch_execnz .LBB276_7
; %bb.8:                                ;   in Loop: Header=BB276_5 Depth=1
	s_or_b32 exec_lo, exec_lo, s20
.LBB276_9:                              ;   in Loop: Header=BB276_5 Depth=1
	s_delay_alu instid0(SALU_CYCLE_1)
	s_or_b32 exec_lo, exec_lo, s19
	ds_bpermute_b32 v14, v22, v12
	ds_bpermute_b32 v15, v22, v13
	v_ashrrev_i32_e32 v7, 31, v6
	s_wait_dscnt 0x0
	v_pk_add_f32 v[12:13], v[12:13], v[14:15]
	ds_bpermute_b32 v14, v23, v12
	ds_bpermute_b32 v15, v23, v13
	s_and_saveexec_b32 s0, vcc_lo
	s_cbranch_execz .LBB276_4
; %bb.10:                               ;   in Loop: Header=BB276_5 Depth=1
	s_wait_dscnt 0x0
	v_pk_add_f32 v[14:15], v[12:13], v[14:15]
	v_lshl_add_u64 v[12:13], v[6:7], 3, s[2:3]
	s_and_saveexec_b32 s19, s1
	s_cbranch_execz .LBB276_3
; %bb.11:                               ;   in Loop: Header=BB276_5 Depth=1
	global_load_b64 v[16:17], v[12:13], off
	s_wait_loadcnt 0x0
	v_pk_fma_f32 v[14:15], v[4:5], v[16:17], v[14:15] op_sel_hi:[1,0,1]
	s_delay_alu instid0(VALU_DEP_1)
	v_pk_fma_f32 v[14:15], v[10:11], v[16:17], v[14:15] op_sel:[0,1,0]
	s_branch .LBB276_3
.LBB276_12:
	s_endpgm
	.section	.rodata,"a",@progbits
	.p2align	6, 0x0
	.amdhsa_kernel _ZN9rocsparseL21csrmvn_general_kernelILj256ELj4Elif21rocsparse_complex_numIfES2_S2_EEvbT2_NS_24const_host_device_scalarIT6_EEPKT1_S9_PKS3_PKT3_PKT4_S6_PT5_21rocsparse_index_base_b
		.amdhsa_group_segment_fixed_size 0
		.amdhsa_private_segment_fixed_size 0
		.amdhsa_kernarg_size 336
		.amdhsa_user_sgpr_count 2
		.amdhsa_user_sgpr_dispatch_ptr 0
		.amdhsa_user_sgpr_queue_ptr 0
		.amdhsa_user_sgpr_kernarg_segment_ptr 1
		.amdhsa_user_sgpr_dispatch_id 0
		.amdhsa_user_sgpr_kernarg_preload_length 0
		.amdhsa_user_sgpr_kernarg_preload_offset 0
		.amdhsa_user_sgpr_private_segment_size 0
		.amdhsa_wavefront_size32 1
		.amdhsa_uses_dynamic_stack 0
		.amdhsa_enable_private_segment 0
		.amdhsa_system_sgpr_workgroup_id_x 1
		.amdhsa_system_sgpr_workgroup_id_y 0
		.amdhsa_system_sgpr_workgroup_id_z 0
		.amdhsa_system_sgpr_workgroup_info 0
		.amdhsa_system_vgpr_workitem_id 0
		.amdhsa_next_free_vgpr 28
		.amdhsa_next_free_sgpr 21
		.amdhsa_named_barrier_count 0
		.amdhsa_reserve_vcc 1
		.amdhsa_float_round_mode_32 0
		.amdhsa_float_round_mode_16_64 0
		.amdhsa_float_denorm_mode_32 3
		.amdhsa_float_denorm_mode_16_64 3
		.amdhsa_fp16_overflow 0
		.amdhsa_memory_ordered 1
		.amdhsa_forward_progress 1
		.amdhsa_inst_pref_size 7
		.amdhsa_round_robin_scheduling 0
		.amdhsa_exception_fp_ieee_invalid_op 0
		.amdhsa_exception_fp_denorm_src 0
		.amdhsa_exception_fp_ieee_div_zero 0
		.amdhsa_exception_fp_ieee_overflow 0
		.amdhsa_exception_fp_ieee_underflow 0
		.amdhsa_exception_fp_ieee_inexact 0
		.amdhsa_exception_int_div_zero 0
	.end_amdhsa_kernel
	.section	.text._ZN9rocsparseL21csrmvn_general_kernelILj256ELj4Elif21rocsparse_complex_numIfES2_S2_EEvbT2_NS_24const_host_device_scalarIT6_EEPKT1_S9_PKS3_PKT3_PKT4_S6_PT5_21rocsparse_index_base_b,"axG",@progbits,_ZN9rocsparseL21csrmvn_general_kernelILj256ELj4Elif21rocsparse_complex_numIfES2_S2_EEvbT2_NS_24const_host_device_scalarIT6_EEPKT1_S9_PKS3_PKT3_PKT4_S6_PT5_21rocsparse_index_base_b,comdat
.Lfunc_end276:
	.size	_ZN9rocsparseL21csrmvn_general_kernelILj256ELj4Elif21rocsparse_complex_numIfES2_S2_EEvbT2_NS_24const_host_device_scalarIT6_EEPKT1_S9_PKS3_PKT3_PKT4_S6_PT5_21rocsparse_index_base_b, .Lfunc_end276-_ZN9rocsparseL21csrmvn_general_kernelILj256ELj4Elif21rocsparse_complex_numIfES2_S2_EEvbT2_NS_24const_host_device_scalarIT6_EEPKT1_S9_PKS3_PKT3_PKT4_S6_PT5_21rocsparse_index_base_b
                                        ; -- End function
	.set _ZN9rocsparseL21csrmvn_general_kernelILj256ELj4Elif21rocsparse_complex_numIfES2_S2_EEvbT2_NS_24const_host_device_scalarIT6_EEPKT1_S9_PKS3_PKT3_PKT4_S6_PT5_21rocsparse_index_base_b.num_vgpr, 28
	.set _ZN9rocsparseL21csrmvn_general_kernelILj256ELj4Elif21rocsparse_complex_numIfES2_S2_EEvbT2_NS_24const_host_device_scalarIT6_EEPKT1_S9_PKS3_PKT3_PKT4_S6_PT5_21rocsparse_index_base_b.num_agpr, 0
	.set _ZN9rocsparseL21csrmvn_general_kernelILj256ELj4Elif21rocsparse_complex_numIfES2_S2_EEvbT2_NS_24const_host_device_scalarIT6_EEPKT1_S9_PKS3_PKT3_PKT4_S6_PT5_21rocsparse_index_base_b.numbered_sgpr, 21
	.set _ZN9rocsparseL21csrmvn_general_kernelILj256ELj4Elif21rocsparse_complex_numIfES2_S2_EEvbT2_NS_24const_host_device_scalarIT6_EEPKT1_S9_PKS3_PKT3_PKT4_S6_PT5_21rocsparse_index_base_b.num_named_barrier, 0
	.set _ZN9rocsparseL21csrmvn_general_kernelILj256ELj4Elif21rocsparse_complex_numIfES2_S2_EEvbT2_NS_24const_host_device_scalarIT6_EEPKT1_S9_PKS3_PKT3_PKT4_S6_PT5_21rocsparse_index_base_b.private_seg_size, 0
	.set _ZN9rocsparseL21csrmvn_general_kernelILj256ELj4Elif21rocsparse_complex_numIfES2_S2_EEvbT2_NS_24const_host_device_scalarIT6_EEPKT1_S9_PKS3_PKT3_PKT4_S6_PT5_21rocsparse_index_base_b.uses_vcc, 1
	.set _ZN9rocsparseL21csrmvn_general_kernelILj256ELj4Elif21rocsparse_complex_numIfES2_S2_EEvbT2_NS_24const_host_device_scalarIT6_EEPKT1_S9_PKS3_PKT3_PKT4_S6_PT5_21rocsparse_index_base_b.uses_flat_scratch, 1
	.set _ZN9rocsparseL21csrmvn_general_kernelILj256ELj4Elif21rocsparse_complex_numIfES2_S2_EEvbT2_NS_24const_host_device_scalarIT6_EEPKT1_S9_PKS3_PKT3_PKT4_S6_PT5_21rocsparse_index_base_b.has_dyn_sized_stack, 0
	.set _ZN9rocsparseL21csrmvn_general_kernelILj256ELj4Elif21rocsparse_complex_numIfES2_S2_EEvbT2_NS_24const_host_device_scalarIT6_EEPKT1_S9_PKS3_PKT3_PKT4_S6_PT5_21rocsparse_index_base_b.has_recursion, 0
	.set _ZN9rocsparseL21csrmvn_general_kernelILj256ELj4Elif21rocsparse_complex_numIfES2_S2_EEvbT2_NS_24const_host_device_scalarIT6_EEPKT1_S9_PKS3_PKT3_PKT4_S6_PT5_21rocsparse_index_base_b.has_indirect_call, 0
	.section	.AMDGPU.csdata,"",@progbits
; Kernel info:
; codeLenInByte = 868
; TotalNumSgprs: 23
; NumVgprs: 28
; ScratchSize: 0
; MemoryBound: 0
; FloatMode: 240
; IeeeMode: 1
; LDSByteSize: 0 bytes/workgroup (compile time only)
; SGPRBlocks: 0
; VGPRBlocks: 1
; NumSGPRsForWavesPerEU: 23
; NumVGPRsForWavesPerEU: 28
; NamedBarCnt: 0
; Occupancy: 16
; WaveLimiterHint : 1
; COMPUTE_PGM_RSRC2:SCRATCH_EN: 0
; COMPUTE_PGM_RSRC2:USER_SGPR: 2
; COMPUTE_PGM_RSRC2:TRAP_HANDLER: 0
; COMPUTE_PGM_RSRC2:TGID_X_EN: 1
; COMPUTE_PGM_RSRC2:TGID_Y_EN: 0
; COMPUTE_PGM_RSRC2:TGID_Z_EN: 0
; COMPUTE_PGM_RSRC2:TIDIG_COMP_CNT: 0
	.section	.text._ZN9rocsparseL21csrmvn_general_kernelILj256ELj8Elif21rocsparse_complex_numIfES2_S2_EEvbT2_NS_24const_host_device_scalarIT6_EEPKT1_S9_PKS3_PKT3_PKT4_S6_PT5_21rocsparse_index_base_b,"axG",@progbits,_ZN9rocsparseL21csrmvn_general_kernelILj256ELj8Elif21rocsparse_complex_numIfES2_S2_EEvbT2_NS_24const_host_device_scalarIT6_EEPKT1_S9_PKS3_PKT3_PKT4_S6_PT5_21rocsparse_index_base_b,comdat
	.globl	_ZN9rocsparseL21csrmvn_general_kernelILj256ELj8Elif21rocsparse_complex_numIfES2_S2_EEvbT2_NS_24const_host_device_scalarIT6_EEPKT1_S9_PKS3_PKT3_PKT4_S6_PT5_21rocsparse_index_base_b ; -- Begin function _ZN9rocsparseL21csrmvn_general_kernelILj256ELj8Elif21rocsparse_complex_numIfES2_S2_EEvbT2_NS_24const_host_device_scalarIT6_EEPKT1_S9_PKS3_PKT3_PKT4_S6_PT5_21rocsparse_index_base_b
	.p2align	8
	.type	_ZN9rocsparseL21csrmvn_general_kernelILj256ELj8Elif21rocsparse_complex_numIfES2_S2_EEvbT2_NS_24const_host_device_scalarIT6_EEPKT1_S9_PKS3_PKT3_PKT4_S6_PT5_21rocsparse_index_base_b,@function
_ZN9rocsparseL21csrmvn_general_kernelILj256ELj8Elif21rocsparse_complex_numIfES2_S2_EEvbT2_NS_24const_host_device_scalarIT6_EEPKT1_S9_PKS3_PKT3_PKT4_S6_PT5_21rocsparse_index_base_b: ; @_ZN9rocsparseL21csrmvn_general_kernelILj256ELj8Elif21rocsparse_complex_numIfES2_S2_EEvbT2_NS_24const_host_device_scalarIT6_EEPKT1_S9_PKS3_PKT3_PKT4_S6_PT5_21rocsparse_index_base_b
; %bb.0:
	s_clause 0x2
	s_load_b64 s[16:17], s[0:1], 0x48
	s_load_b128 s[12:15], s[0:1], 0x8
	s_load_b64 s[2:3], s[0:1], 0x38
	v_mov_b32_e32 v1, 0
	s_add_nc_u64 s[4:5], s[0:1], 8
	s_add_nc_u64 s[6:7], s[0:1], 56
	s_wait_kmcnt 0x0
	s_bitcmp1_b32 s17, 0
	s_cselect_b32 s5, s5, s13
	s_cselect_b32 s4, s4, s12
	;; [unrolled: 1-line block ×4, first 2 shown]
	s_clause 0x1
	flat_load_b64 v[2:3], v1, s[4:5]
	flat_load_b64 v[4:5], v1, s[2:3]
	s_wait_loadcnt_dscnt 0x101
	v_cmp_neq_f32_e32 vcc_lo, 0, v2
	s_wait_xcnt 0x0
	v_cmp_neq_f32_e64 s2, 0, v3
	s_wait_loadcnt_dscnt 0x0
	v_cmp_neq_f32_e64 s3, 1.0, v4
	v_cmp_neq_f32_e64 s4, 0, v5
	s_or_b32 s2, vcc_lo, s2
	s_or_b32 s3, s3, s4
	s_delay_alu instid0(SALU_CYCLE_1) | instskip(NEXT) | instid1(SALU_CYCLE_1)
	s_or_b32 s2, s2, s3
	s_and_saveexec_b32 s3, s2
	s_cbranch_execz .LBB277_12
; %bb.1:
	s_bfe_u32 s2, ttmp6, 0x4000c
	s_load_b32 s12, s[0:1], 0x4
	s_add_co_i32 s2, s2, 1
	s_and_b32 s3, ttmp6, 15
	s_mul_i32 s2, ttmp9, s2
	s_getreg_b32 s4, hwreg(HW_REG_IB_STS2, 6, 4)
	s_add_co_i32 s3, s3, s2
	s_cmp_eq_u32 s4, 0
	s_cselect_b32 s2, ttmp9, s3
	s_delay_alu instid0(SALU_CYCLE_1) | instskip(NEXT) | instid1(VALU_DEP_1)
	v_lshl_or_b32 v1, s2, 8, v0
	v_lshrrev_b32_e32 v6, 3, v1
	s_wait_kmcnt 0x0
	s_delay_alu instid0(VALU_DEP_1)
	v_cmp_gt_i32_e32 vcc_lo, s12, v6
	s_and_b32 exec_lo, exec_lo, vcc_lo
	s_cbranch_execz .LBB277_12
; %bb.2:
	v_mov_b64_e32 v[8:9], 0x8000000000000000
	v_mbcnt_lo_u32_b32 v7, -1, 0
	v_dual_mov_b32 v11, 0 :: v_dual_bitop2_b32 v10, 7, v0 bitop3:0x40
	s_mov_b32 s17, 0
	s_clause 0x2
	s_load_b32 s13, s[0:1], 0x50
	s_load_b64 s[2:3], s[0:1], 0x40
	s_load_b256 s[4:11], s[0:1], 0x18
	s_wait_xcnt 0x0
	s_ashr_i32 s1, s16, 31
	v_pk_mul_f32 v[12:13], v[2:3], v[8:9]
	v_xor_b32_e32 v14, 4, v7
	v_sub_nc_u64_e64 v[0:1], v[10:11], s[16:17]
	v_xor_b32_e32 v15, 1, v7
	s_mov_b32 s0, s16
	v_mov_b32_e32 v8, v13
	v_cmp_gt_i32_e32 vcc_lo, 32, v14
	v_dual_mov_b32 v9, v12 :: v_dual_bitop2_b32 v11, 2, v7 bitop3:0x14
	s_lshl_b64 s[18:19], s[0:1], 3
	v_cmp_neq_f32_e64 s0, 0, v4
	v_cndmask_b32_e32 v14, v7, v14, vcc_lo
	s_delay_alu instid0(VALU_DEP_3)
	v_cmp_gt_i32_e32 vcc_lo, 32, v11
	v_cmp_neq_f32_e64 s1, 0, v5
	s_wait_kmcnt 0x0
	s_lshl_b32 s13, s13, 5
	v_dual_cndmask_b32 v11, v7, v11 :: v_dual_lshlrev_b32 v22, 2, v14
	v_cmp_gt_i32_e32 vcc_lo, 32, v15
	s_sub_nc_u64 s[10:11], s[10:11], s[18:19]
	s_or_b32 s1, s0, s1
	s_delay_alu instid0(VALU_DEP_2) | instskip(SKIP_4) | instid1(VALU_DEP_3)
	v_dual_lshlrev_b32 v23, 2, v11 :: v_dual_mov_b32 v11, v4
	v_cndmask_b32_e32 v7, v7, v15, vcc_lo
	v_cmp_eq_u32_e32 vcc_lo, 7, v10
	v_xor_b32_e32 v10, 0x80000000, v5
	s_mov_b32 s18, s17
	v_lshlrev_b32_e32 v24, 2, v7
	s_branch .LBB277_5
.LBB277_3:                              ;   in Loop: Header=BB277_5 Depth=1
	s_wait_xcnt 0x0
	s_or_b32 exec_lo, exec_lo, s19
	global_store_b64 v[12:13], v[14:15], off
.LBB277_4:                              ;   in Loop: Header=BB277_5 Depth=1
	s_wait_xcnt 0x0
	s_or_b32 exec_lo, exec_lo, s0
	v_add_nc_u32_e32 v6, s13, v6
	s_delay_alu instid0(VALU_DEP_1) | instskip(SKIP_1) | instid1(SALU_CYCLE_1)
	v_cmp_le_i32_e64 s0, s12, v6
	s_or_b32 s18, s0, s18
	s_and_not1_b32 exec_lo, exec_lo, s18
	s_cbranch_execz .LBB277_12
.LBB277_5:                              ; =>This Loop Header: Depth=1
                                        ;     Child Loop BB277_7 Depth 2
	s_clause 0x1
	global_load_b64 v[12:13], v6, s[4:5] scale_offset
	global_load_b64 v[16:17], v6, s[14:15] scale_offset
	s_mov_b32 s19, exec_lo
	s_wait_loadcnt_dscnt 0x100
	v_sub_nc_u64_e64 v[14:15], v[12:13], s[16:17]
	s_wait_loadcnt 0x0
	v_add_nc_u64_e32 v[16:17], v[16:17], v[0:1]
	v_dual_mov_b32 v13, 0 :: v_dual_mov_b32 v12, 0
	s_wait_xcnt 0x0
	s_delay_alu instid0(VALU_DEP_2)
	v_cmpx_lt_i64_e64 v[16:17], v[14:15]
	s_cbranch_execz .LBB277_9
; %bb.6:                                ;   in Loop: Header=BB277_5 Depth=1
	v_lshlrev_b64_e32 v[20:21], 2, v[16:17]
	v_mov_b32_e32 v12, 0
	s_mov_b32 s20, 0
	s_delay_alu instid0(VALU_DEP_1) | instskip(NEXT) | instid1(VALU_DEP_3)
	v_mov_b32_e32 v13, v12
	v_add_nc_u64_e32 v[18:19], s[8:9], v[20:21]
	v_add_nc_u64_e32 v[20:21], s[6:7], v[20:21]
.LBB277_7:                              ;   Parent Loop BB277_5 Depth=1
                                        ; =>  This Inner Loop Header: Depth=2
	global_load_b32 v7, v[20:21], off
	global_load_b32 v26, v[18:19], off
	v_add_nc_u64_e32 v[16:17], 8, v[16:17]
	s_wait_xcnt 0x0
	v_add_nc_u64_e32 v[18:19], 32, v[18:19]
	v_add_nc_u64_e32 v[20:21], 32, v[20:21]
	s_delay_alu instid0(VALU_DEP_3)
	v_cmp_ge_i64_e64 s0, v[16:17], v[14:15]
	s_or_b32 s20, s0, s20
	s_wait_loadcnt 0x1
	global_load_b64 v[28:29], v7, s[10:11] scale_offset
	s_wait_loadcnt 0x1
	v_pk_fma_f32 v[26:27], v[2:3], v[26:27], v[8:9] op_sel_hi:[1,0,1]
	s_wait_loadcnt 0x0
	s_delay_alu instid0(VALU_DEP_1) | instskip(NEXT) | instid1(VALU_DEP_1)
	v_pk_fma_f32 v[12:13], v[26:27], v[28:29], v[12:13] op_sel_hi:[1,0,1]
	v_pk_fma_f32 v[12:13], v[26:27], v[28:29], v[12:13] op_sel:[1,1,0] op_sel_hi:[0,1,1] neg_lo:[1,0,0]
	s_wait_xcnt 0x0
	s_and_not1_b32 exec_lo, exec_lo, s20
	s_cbranch_execnz .LBB277_7
; %bb.8:                                ;   in Loop: Header=BB277_5 Depth=1
	s_or_b32 exec_lo, exec_lo, s20
.LBB277_9:                              ;   in Loop: Header=BB277_5 Depth=1
	s_delay_alu instid0(SALU_CYCLE_1)
	s_or_b32 exec_lo, exec_lo, s19
	ds_bpermute_b32 v14, v22, v12
	ds_bpermute_b32 v15, v22, v13
	v_ashrrev_i32_e32 v7, 31, v6
	s_wait_dscnt 0x0
	v_pk_add_f32 v[12:13], v[12:13], v[14:15]
	ds_bpermute_b32 v14, v23, v12
	ds_bpermute_b32 v15, v23, v13
	s_wait_dscnt 0x0
	v_pk_add_f32 v[12:13], v[12:13], v[14:15]
	ds_bpermute_b32 v14, v24, v12
	ds_bpermute_b32 v15, v24, v13
	s_and_saveexec_b32 s0, vcc_lo
	s_cbranch_execz .LBB277_4
; %bb.10:                               ;   in Loop: Header=BB277_5 Depth=1
	s_wait_dscnt 0x0
	v_pk_add_f32 v[14:15], v[12:13], v[14:15]
	v_lshl_add_u64 v[12:13], v[6:7], 3, s[2:3]
	s_and_saveexec_b32 s19, s1
	s_cbranch_execz .LBB277_3
; %bb.11:                               ;   in Loop: Header=BB277_5 Depth=1
	global_load_b64 v[16:17], v[12:13], off
	s_wait_loadcnt 0x0
	v_pk_fma_f32 v[14:15], v[4:5], v[16:17], v[14:15] op_sel_hi:[1,0,1]
	s_delay_alu instid0(VALU_DEP_1)
	v_pk_fma_f32 v[14:15], v[10:11], v[16:17], v[14:15] op_sel:[0,1,0]
	s_branch .LBB277_3
.LBB277_12:
	s_endpgm
	.section	.rodata,"a",@progbits
	.p2align	6, 0x0
	.amdhsa_kernel _ZN9rocsparseL21csrmvn_general_kernelILj256ELj8Elif21rocsparse_complex_numIfES2_S2_EEvbT2_NS_24const_host_device_scalarIT6_EEPKT1_S9_PKS3_PKT3_PKT4_S6_PT5_21rocsparse_index_base_b
		.amdhsa_group_segment_fixed_size 0
		.amdhsa_private_segment_fixed_size 0
		.amdhsa_kernarg_size 336
		.amdhsa_user_sgpr_count 2
		.amdhsa_user_sgpr_dispatch_ptr 0
		.amdhsa_user_sgpr_queue_ptr 0
		.amdhsa_user_sgpr_kernarg_segment_ptr 1
		.amdhsa_user_sgpr_dispatch_id 0
		.amdhsa_user_sgpr_kernarg_preload_length 0
		.amdhsa_user_sgpr_kernarg_preload_offset 0
		.amdhsa_user_sgpr_private_segment_size 0
		.amdhsa_wavefront_size32 1
		.amdhsa_uses_dynamic_stack 0
		.amdhsa_enable_private_segment 0
		.amdhsa_system_sgpr_workgroup_id_x 1
		.amdhsa_system_sgpr_workgroup_id_y 0
		.amdhsa_system_sgpr_workgroup_id_z 0
		.amdhsa_system_sgpr_workgroup_info 0
		.amdhsa_system_vgpr_workitem_id 0
		.amdhsa_next_free_vgpr 30
		.amdhsa_next_free_sgpr 21
		.amdhsa_named_barrier_count 0
		.amdhsa_reserve_vcc 1
		.amdhsa_float_round_mode_32 0
		.amdhsa_float_round_mode_16_64 0
		.amdhsa_float_denorm_mode_32 3
		.amdhsa_float_denorm_mode_16_64 3
		.amdhsa_fp16_overflow 0
		.amdhsa_memory_ordered 1
		.amdhsa_forward_progress 1
		.amdhsa_inst_pref_size 8
		.amdhsa_round_robin_scheduling 0
		.amdhsa_exception_fp_ieee_invalid_op 0
		.amdhsa_exception_fp_denorm_src 0
		.amdhsa_exception_fp_ieee_div_zero 0
		.amdhsa_exception_fp_ieee_overflow 0
		.amdhsa_exception_fp_ieee_underflow 0
		.amdhsa_exception_fp_ieee_inexact 0
		.amdhsa_exception_int_div_zero 0
	.end_amdhsa_kernel
	.section	.text._ZN9rocsparseL21csrmvn_general_kernelILj256ELj8Elif21rocsparse_complex_numIfES2_S2_EEvbT2_NS_24const_host_device_scalarIT6_EEPKT1_S9_PKS3_PKT3_PKT4_S6_PT5_21rocsparse_index_base_b,"axG",@progbits,_ZN9rocsparseL21csrmvn_general_kernelILj256ELj8Elif21rocsparse_complex_numIfES2_S2_EEvbT2_NS_24const_host_device_scalarIT6_EEPKT1_S9_PKS3_PKT3_PKT4_S6_PT5_21rocsparse_index_base_b,comdat
.Lfunc_end277:
	.size	_ZN9rocsparseL21csrmvn_general_kernelILj256ELj8Elif21rocsparse_complex_numIfES2_S2_EEvbT2_NS_24const_host_device_scalarIT6_EEPKT1_S9_PKS3_PKT3_PKT4_S6_PT5_21rocsparse_index_base_b, .Lfunc_end277-_ZN9rocsparseL21csrmvn_general_kernelILj256ELj8Elif21rocsparse_complex_numIfES2_S2_EEvbT2_NS_24const_host_device_scalarIT6_EEPKT1_S9_PKS3_PKT3_PKT4_S6_PT5_21rocsparse_index_base_b
                                        ; -- End function
	.set _ZN9rocsparseL21csrmvn_general_kernelILj256ELj8Elif21rocsparse_complex_numIfES2_S2_EEvbT2_NS_24const_host_device_scalarIT6_EEPKT1_S9_PKS3_PKT3_PKT4_S6_PT5_21rocsparse_index_base_b.num_vgpr, 30
	.set _ZN9rocsparseL21csrmvn_general_kernelILj256ELj8Elif21rocsparse_complex_numIfES2_S2_EEvbT2_NS_24const_host_device_scalarIT6_EEPKT1_S9_PKS3_PKT3_PKT4_S6_PT5_21rocsparse_index_base_b.num_agpr, 0
	.set _ZN9rocsparseL21csrmvn_general_kernelILj256ELj8Elif21rocsparse_complex_numIfES2_S2_EEvbT2_NS_24const_host_device_scalarIT6_EEPKT1_S9_PKS3_PKT3_PKT4_S6_PT5_21rocsparse_index_base_b.numbered_sgpr, 21
	.set _ZN9rocsparseL21csrmvn_general_kernelILj256ELj8Elif21rocsparse_complex_numIfES2_S2_EEvbT2_NS_24const_host_device_scalarIT6_EEPKT1_S9_PKS3_PKT3_PKT4_S6_PT5_21rocsparse_index_base_b.num_named_barrier, 0
	.set _ZN9rocsparseL21csrmvn_general_kernelILj256ELj8Elif21rocsparse_complex_numIfES2_S2_EEvbT2_NS_24const_host_device_scalarIT6_EEPKT1_S9_PKS3_PKT3_PKT4_S6_PT5_21rocsparse_index_base_b.private_seg_size, 0
	.set _ZN9rocsparseL21csrmvn_general_kernelILj256ELj8Elif21rocsparse_complex_numIfES2_S2_EEvbT2_NS_24const_host_device_scalarIT6_EEPKT1_S9_PKS3_PKT3_PKT4_S6_PT5_21rocsparse_index_base_b.uses_vcc, 1
	.set _ZN9rocsparseL21csrmvn_general_kernelILj256ELj8Elif21rocsparse_complex_numIfES2_S2_EEvbT2_NS_24const_host_device_scalarIT6_EEPKT1_S9_PKS3_PKT3_PKT4_S6_PT5_21rocsparse_index_base_b.uses_flat_scratch, 1
	.set _ZN9rocsparseL21csrmvn_general_kernelILj256ELj8Elif21rocsparse_complex_numIfES2_S2_EEvbT2_NS_24const_host_device_scalarIT6_EEPKT1_S9_PKS3_PKT3_PKT4_S6_PT5_21rocsparse_index_base_b.has_dyn_sized_stack, 0
	.set _ZN9rocsparseL21csrmvn_general_kernelILj256ELj8Elif21rocsparse_complex_numIfES2_S2_EEvbT2_NS_24const_host_device_scalarIT6_EEPKT1_S9_PKS3_PKT3_PKT4_S6_PT5_21rocsparse_index_base_b.has_recursion, 0
	.set _ZN9rocsparseL21csrmvn_general_kernelILj256ELj8Elif21rocsparse_complex_numIfES2_S2_EEvbT2_NS_24const_host_device_scalarIT6_EEPKT1_S9_PKS3_PKT3_PKT4_S6_PT5_21rocsparse_index_base_b.has_indirect_call, 0
	.section	.AMDGPU.csdata,"",@progbits
; Kernel info:
; codeLenInByte = 912
; TotalNumSgprs: 23
; NumVgprs: 30
; ScratchSize: 0
; MemoryBound: 0
; FloatMode: 240
; IeeeMode: 1
; LDSByteSize: 0 bytes/workgroup (compile time only)
; SGPRBlocks: 0
; VGPRBlocks: 1
; NumSGPRsForWavesPerEU: 23
; NumVGPRsForWavesPerEU: 30
; NamedBarCnt: 0
; Occupancy: 16
; WaveLimiterHint : 1
; COMPUTE_PGM_RSRC2:SCRATCH_EN: 0
; COMPUTE_PGM_RSRC2:USER_SGPR: 2
; COMPUTE_PGM_RSRC2:TRAP_HANDLER: 0
; COMPUTE_PGM_RSRC2:TGID_X_EN: 1
; COMPUTE_PGM_RSRC2:TGID_Y_EN: 0
; COMPUTE_PGM_RSRC2:TGID_Z_EN: 0
; COMPUTE_PGM_RSRC2:TIDIG_COMP_CNT: 0
	.section	.text._ZN9rocsparseL21csrmvn_general_kernelILj256ELj16Elif21rocsparse_complex_numIfES2_S2_EEvbT2_NS_24const_host_device_scalarIT6_EEPKT1_S9_PKS3_PKT3_PKT4_S6_PT5_21rocsparse_index_base_b,"axG",@progbits,_ZN9rocsparseL21csrmvn_general_kernelILj256ELj16Elif21rocsparse_complex_numIfES2_S2_EEvbT2_NS_24const_host_device_scalarIT6_EEPKT1_S9_PKS3_PKT3_PKT4_S6_PT5_21rocsparse_index_base_b,comdat
	.globl	_ZN9rocsparseL21csrmvn_general_kernelILj256ELj16Elif21rocsparse_complex_numIfES2_S2_EEvbT2_NS_24const_host_device_scalarIT6_EEPKT1_S9_PKS3_PKT3_PKT4_S6_PT5_21rocsparse_index_base_b ; -- Begin function _ZN9rocsparseL21csrmvn_general_kernelILj256ELj16Elif21rocsparse_complex_numIfES2_S2_EEvbT2_NS_24const_host_device_scalarIT6_EEPKT1_S9_PKS3_PKT3_PKT4_S6_PT5_21rocsparse_index_base_b
	.p2align	8
	.type	_ZN9rocsparseL21csrmvn_general_kernelILj256ELj16Elif21rocsparse_complex_numIfES2_S2_EEvbT2_NS_24const_host_device_scalarIT6_EEPKT1_S9_PKS3_PKT3_PKT4_S6_PT5_21rocsparse_index_base_b,@function
_ZN9rocsparseL21csrmvn_general_kernelILj256ELj16Elif21rocsparse_complex_numIfES2_S2_EEvbT2_NS_24const_host_device_scalarIT6_EEPKT1_S9_PKS3_PKT3_PKT4_S6_PT5_21rocsparse_index_base_b: ; @_ZN9rocsparseL21csrmvn_general_kernelILj256ELj16Elif21rocsparse_complex_numIfES2_S2_EEvbT2_NS_24const_host_device_scalarIT6_EEPKT1_S9_PKS3_PKT3_PKT4_S6_PT5_21rocsparse_index_base_b
; %bb.0:
	s_clause 0x2
	s_load_b64 s[16:17], s[0:1], 0x48
	s_load_b128 s[12:15], s[0:1], 0x8
	s_load_b64 s[2:3], s[0:1], 0x38
	v_mov_b32_e32 v1, 0
	s_add_nc_u64 s[4:5], s[0:1], 8
	s_add_nc_u64 s[6:7], s[0:1], 56
	s_wait_kmcnt 0x0
	s_bitcmp1_b32 s17, 0
	s_cselect_b32 s5, s5, s13
	s_cselect_b32 s4, s4, s12
	;; [unrolled: 1-line block ×4, first 2 shown]
	s_clause 0x1
	flat_load_b64 v[2:3], v1, s[4:5]
	flat_load_b64 v[4:5], v1, s[2:3]
	s_wait_loadcnt_dscnt 0x101
	v_cmp_neq_f32_e32 vcc_lo, 0, v2
	s_wait_xcnt 0x0
	v_cmp_neq_f32_e64 s2, 0, v3
	s_wait_loadcnt_dscnt 0x0
	v_cmp_neq_f32_e64 s3, 1.0, v4
	v_cmp_neq_f32_e64 s4, 0, v5
	s_or_b32 s2, vcc_lo, s2
	s_or_b32 s3, s3, s4
	s_delay_alu instid0(SALU_CYCLE_1) | instskip(NEXT) | instid1(SALU_CYCLE_1)
	s_or_b32 s2, s2, s3
	s_and_saveexec_b32 s3, s2
	s_cbranch_execz .LBB278_12
; %bb.1:
	s_bfe_u32 s2, ttmp6, 0x4000c
	s_load_b32 s12, s[0:1], 0x4
	s_add_co_i32 s2, s2, 1
	s_and_b32 s3, ttmp6, 15
	s_mul_i32 s2, ttmp9, s2
	s_getreg_b32 s4, hwreg(HW_REG_IB_STS2, 6, 4)
	s_add_co_i32 s3, s3, s2
	s_cmp_eq_u32 s4, 0
	s_cselect_b32 s2, ttmp9, s3
	s_delay_alu instid0(SALU_CYCLE_1) | instskip(NEXT) | instid1(VALU_DEP_1)
	v_lshl_or_b32 v1, s2, 8, v0
	v_lshrrev_b32_e32 v6, 4, v1
	s_wait_kmcnt 0x0
	s_delay_alu instid0(VALU_DEP_1)
	v_cmp_gt_i32_e32 vcc_lo, s12, v6
	s_and_b32 exec_lo, exec_lo, vcc_lo
	s_cbranch_execz .LBB278_12
; %bb.2:
	v_dual_mov_b32 v9, 0 :: v_dual_bitop2_b32 v8, 15, v0 bitop3:0x40
	v_mbcnt_lo_u32_b32 v7, -1, 0
	s_mov_b32 s17, 0
	v_mov_b64_e32 v[10:11], 0x8000000000000000
	s_clause 0x2
	s_load_b32 s13, s[0:1], 0x50
	s_load_b64 s[2:3], s[0:1], 0x40
	s_load_b256 s[4:11], s[0:1], 0x18
	v_sub_nc_u64_e64 v[0:1], v[8:9], s[16:17]
	v_xor_b32_e32 v14, 4, v7
	v_xor_b32_e32 v9, 8, v7
	s_wait_xcnt 0x0
	s_ashr_i32 s1, s16, 31
	s_mov_b32 s0, s16
	v_pk_mul_f32 v[12:13], v[2:3], v[10:11]
	s_lshl_b64 s[18:19], s[0:1], 3
	v_cmp_gt_i32_e32 vcc_lo, 32, v9
	v_cmp_neq_f32_e64 s0, 0, v4
	v_cmp_neq_f32_e64 s1, 0, v5
	v_dual_cndmask_b32 v9, v7, v9, vcc_lo :: v_dual_bitop2_b32 v16, 1, v7 bitop3:0x14
	v_cmp_gt_i32_e32 vcc_lo, 32, v14
	s_or_b32 s1, s0, s1
	s_delay_alu instid0(VALU_DEP_2)
	v_dual_lshlrev_b32 v22, 2, v9 :: v_dual_bitop2_b32 v15, 2, v7 bitop3:0x14
	v_cndmask_b32_e32 v10, v7, v14, vcc_lo
	s_wait_kmcnt 0x0
	s_lshl_b32 s13, s13, 4
	s_sub_nc_u64 s[10:11], s[10:11], s[18:19]
	s_mov_b32 s18, s17
	v_cmp_gt_i32_e32 vcc_lo, 32, v15
	v_dual_lshlrev_b32 v23, 2, v10 :: v_dual_mov_b32 v9, v4
	v_dual_mov_b32 v10, v13 :: v_dual_cndmask_b32 v11, v7, v15
	v_cmp_gt_i32_e32 vcc_lo, 32, v16
	s_delay_alu instid0(VALU_DEP_2) | instskip(SKIP_2) | instid1(VALU_DEP_3)
	v_dual_cndmask_b32 v7, v7, v16 :: v_dual_lshlrev_b32 v24, 2, v11
	v_cmp_eq_u32_e32 vcc_lo, 15, v8
	v_xor_b32_e32 v8, 0x80000000, v5
	v_dual_mov_b32 v11, v12 :: v_dual_lshlrev_b32 v25, 2, v7
	s_branch .LBB278_5
.LBB278_3:                              ;   in Loop: Header=BB278_5 Depth=1
	s_wait_xcnt 0x0
	s_or_b32 exec_lo, exec_lo, s19
	global_store_b64 v[12:13], v[14:15], off
.LBB278_4:                              ;   in Loop: Header=BB278_5 Depth=1
	s_wait_xcnt 0x0
	s_or_b32 exec_lo, exec_lo, s0
	v_add_nc_u32_e32 v6, s13, v6
	s_delay_alu instid0(VALU_DEP_1) | instskip(SKIP_1) | instid1(SALU_CYCLE_1)
	v_cmp_le_i32_e64 s0, s12, v6
	s_or_b32 s18, s0, s18
	s_and_not1_b32 exec_lo, exec_lo, s18
	s_cbranch_execz .LBB278_12
.LBB278_5:                              ; =>This Loop Header: Depth=1
                                        ;     Child Loop BB278_7 Depth 2
	s_clause 0x1
	global_load_b64 v[12:13], v6, s[4:5] scale_offset
	global_load_b64 v[16:17], v6, s[14:15] scale_offset
	s_mov_b32 s19, exec_lo
	s_wait_loadcnt_dscnt 0x100
	v_sub_nc_u64_e64 v[14:15], v[12:13], s[16:17]
	s_wait_loadcnt 0x0
	v_add_nc_u64_e32 v[16:17], v[16:17], v[0:1]
	v_dual_mov_b32 v13, 0 :: v_dual_mov_b32 v12, 0
	s_wait_xcnt 0x0
	s_delay_alu instid0(VALU_DEP_2)
	v_cmpx_lt_i64_e64 v[16:17], v[14:15]
	s_cbranch_execz .LBB278_9
; %bb.6:                                ;   in Loop: Header=BB278_5 Depth=1
	v_lshlrev_b64_e32 v[20:21], 2, v[16:17]
	v_mov_b32_e32 v12, 0
	s_mov_b32 s20, 0
	s_delay_alu instid0(VALU_DEP_1) | instskip(NEXT) | instid1(VALU_DEP_3)
	v_mov_b32_e32 v13, v12
	v_add_nc_u64_e32 v[18:19], s[8:9], v[20:21]
	v_add_nc_u64_e32 v[20:21], s[6:7], v[20:21]
.LBB278_7:                              ;   Parent Loop BB278_5 Depth=1
                                        ; =>  This Inner Loop Header: Depth=2
	global_load_b32 v7, v[20:21], off
	global_load_b32 v26, v[18:19], off
	v_add_nc_u64_e32 v[16:17], 16, v[16:17]
	s_wait_xcnt 0x0
	v_add_nc_u64_e32 v[18:19], 64, v[18:19]
	v_add_nc_u64_e32 v[20:21], 64, v[20:21]
	s_delay_alu instid0(VALU_DEP_3)
	v_cmp_ge_i64_e64 s0, v[16:17], v[14:15]
	s_or_b32 s20, s0, s20
	s_wait_loadcnt 0x1
	global_load_b64 v[28:29], v7, s[10:11] scale_offset
	s_wait_loadcnt 0x1
	v_pk_fma_f32 v[26:27], v[2:3], v[26:27], v[10:11] op_sel_hi:[1,0,1]
	s_wait_loadcnt 0x0
	s_delay_alu instid0(VALU_DEP_1) | instskip(NEXT) | instid1(VALU_DEP_1)
	v_pk_fma_f32 v[12:13], v[26:27], v[28:29], v[12:13] op_sel_hi:[1,0,1]
	v_pk_fma_f32 v[12:13], v[26:27], v[28:29], v[12:13] op_sel:[1,1,0] op_sel_hi:[0,1,1] neg_lo:[1,0,0]
	s_wait_xcnt 0x0
	s_and_not1_b32 exec_lo, exec_lo, s20
	s_cbranch_execnz .LBB278_7
; %bb.8:                                ;   in Loop: Header=BB278_5 Depth=1
	s_or_b32 exec_lo, exec_lo, s20
.LBB278_9:                              ;   in Loop: Header=BB278_5 Depth=1
	s_delay_alu instid0(SALU_CYCLE_1)
	s_or_b32 exec_lo, exec_lo, s19
	ds_bpermute_b32 v14, v22, v12
	ds_bpermute_b32 v15, v22, v13
	v_ashrrev_i32_e32 v7, 31, v6
	s_wait_dscnt 0x0
	v_pk_add_f32 v[12:13], v[12:13], v[14:15]
	ds_bpermute_b32 v14, v23, v12
	ds_bpermute_b32 v15, v23, v13
	s_wait_dscnt 0x0
	v_pk_add_f32 v[12:13], v[12:13], v[14:15]
	ds_bpermute_b32 v14, v24, v12
	ds_bpermute_b32 v15, v24, v13
	;; [unrolled: 4-line block ×3, first 2 shown]
	s_and_saveexec_b32 s0, vcc_lo
	s_cbranch_execz .LBB278_4
; %bb.10:                               ;   in Loop: Header=BB278_5 Depth=1
	s_wait_dscnt 0x0
	v_pk_add_f32 v[14:15], v[12:13], v[14:15]
	v_lshl_add_u64 v[12:13], v[6:7], 3, s[2:3]
	s_and_saveexec_b32 s19, s1
	s_cbranch_execz .LBB278_3
; %bb.11:                               ;   in Loop: Header=BB278_5 Depth=1
	global_load_b64 v[16:17], v[12:13], off
	s_wait_loadcnt 0x0
	v_pk_fma_f32 v[14:15], v[4:5], v[16:17], v[14:15] op_sel_hi:[1,0,1]
	s_delay_alu instid0(VALU_DEP_1)
	v_pk_fma_f32 v[14:15], v[8:9], v[16:17], v[14:15] op_sel:[0,1,0]
	s_branch .LBB278_3
.LBB278_12:
	s_endpgm
	.section	.rodata,"a",@progbits
	.p2align	6, 0x0
	.amdhsa_kernel _ZN9rocsparseL21csrmvn_general_kernelILj256ELj16Elif21rocsparse_complex_numIfES2_S2_EEvbT2_NS_24const_host_device_scalarIT6_EEPKT1_S9_PKS3_PKT3_PKT4_S6_PT5_21rocsparse_index_base_b
		.amdhsa_group_segment_fixed_size 0
		.amdhsa_private_segment_fixed_size 0
		.amdhsa_kernarg_size 336
		.amdhsa_user_sgpr_count 2
		.amdhsa_user_sgpr_dispatch_ptr 0
		.amdhsa_user_sgpr_queue_ptr 0
		.amdhsa_user_sgpr_kernarg_segment_ptr 1
		.amdhsa_user_sgpr_dispatch_id 0
		.amdhsa_user_sgpr_kernarg_preload_length 0
		.amdhsa_user_sgpr_kernarg_preload_offset 0
		.amdhsa_user_sgpr_private_segment_size 0
		.amdhsa_wavefront_size32 1
		.amdhsa_uses_dynamic_stack 0
		.amdhsa_enable_private_segment 0
		.amdhsa_system_sgpr_workgroup_id_x 1
		.amdhsa_system_sgpr_workgroup_id_y 0
		.amdhsa_system_sgpr_workgroup_id_z 0
		.amdhsa_system_sgpr_workgroup_info 0
		.amdhsa_system_vgpr_workitem_id 0
		.amdhsa_next_free_vgpr 30
		.amdhsa_next_free_sgpr 21
		.amdhsa_named_barrier_count 0
		.amdhsa_reserve_vcc 1
		.amdhsa_float_round_mode_32 0
		.amdhsa_float_round_mode_16_64 0
		.amdhsa_float_denorm_mode_32 3
		.amdhsa_float_denorm_mode_16_64 3
		.amdhsa_fp16_overflow 0
		.amdhsa_memory_ordered 1
		.amdhsa_forward_progress 1
		.amdhsa_inst_pref_size 8
		.amdhsa_round_robin_scheduling 0
		.amdhsa_exception_fp_ieee_invalid_op 0
		.amdhsa_exception_fp_denorm_src 0
		.amdhsa_exception_fp_ieee_div_zero 0
		.amdhsa_exception_fp_ieee_overflow 0
		.amdhsa_exception_fp_ieee_underflow 0
		.amdhsa_exception_fp_ieee_inexact 0
		.amdhsa_exception_int_div_zero 0
	.end_amdhsa_kernel
	.section	.text._ZN9rocsparseL21csrmvn_general_kernelILj256ELj16Elif21rocsparse_complex_numIfES2_S2_EEvbT2_NS_24const_host_device_scalarIT6_EEPKT1_S9_PKS3_PKT3_PKT4_S6_PT5_21rocsparse_index_base_b,"axG",@progbits,_ZN9rocsparseL21csrmvn_general_kernelILj256ELj16Elif21rocsparse_complex_numIfES2_S2_EEvbT2_NS_24const_host_device_scalarIT6_EEPKT1_S9_PKS3_PKT3_PKT4_S6_PT5_21rocsparse_index_base_b,comdat
.Lfunc_end278:
	.size	_ZN9rocsparseL21csrmvn_general_kernelILj256ELj16Elif21rocsparse_complex_numIfES2_S2_EEvbT2_NS_24const_host_device_scalarIT6_EEPKT1_S9_PKS3_PKT3_PKT4_S6_PT5_21rocsparse_index_base_b, .Lfunc_end278-_ZN9rocsparseL21csrmvn_general_kernelILj256ELj16Elif21rocsparse_complex_numIfES2_S2_EEvbT2_NS_24const_host_device_scalarIT6_EEPKT1_S9_PKS3_PKT3_PKT4_S6_PT5_21rocsparse_index_base_b
                                        ; -- End function
	.set _ZN9rocsparseL21csrmvn_general_kernelILj256ELj16Elif21rocsparse_complex_numIfES2_S2_EEvbT2_NS_24const_host_device_scalarIT6_EEPKT1_S9_PKS3_PKT3_PKT4_S6_PT5_21rocsparse_index_base_b.num_vgpr, 30
	.set _ZN9rocsparseL21csrmvn_general_kernelILj256ELj16Elif21rocsparse_complex_numIfES2_S2_EEvbT2_NS_24const_host_device_scalarIT6_EEPKT1_S9_PKS3_PKT3_PKT4_S6_PT5_21rocsparse_index_base_b.num_agpr, 0
	.set _ZN9rocsparseL21csrmvn_general_kernelILj256ELj16Elif21rocsparse_complex_numIfES2_S2_EEvbT2_NS_24const_host_device_scalarIT6_EEPKT1_S9_PKS3_PKT3_PKT4_S6_PT5_21rocsparse_index_base_b.numbered_sgpr, 21
	.set _ZN9rocsparseL21csrmvn_general_kernelILj256ELj16Elif21rocsparse_complex_numIfES2_S2_EEvbT2_NS_24const_host_device_scalarIT6_EEPKT1_S9_PKS3_PKT3_PKT4_S6_PT5_21rocsparse_index_base_b.num_named_barrier, 0
	.set _ZN9rocsparseL21csrmvn_general_kernelILj256ELj16Elif21rocsparse_complex_numIfES2_S2_EEvbT2_NS_24const_host_device_scalarIT6_EEPKT1_S9_PKS3_PKT3_PKT4_S6_PT5_21rocsparse_index_base_b.private_seg_size, 0
	.set _ZN9rocsparseL21csrmvn_general_kernelILj256ELj16Elif21rocsparse_complex_numIfES2_S2_EEvbT2_NS_24const_host_device_scalarIT6_EEPKT1_S9_PKS3_PKT3_PKT4_S6_PT5_21rocsparse_index_base_b.uses_vcc, 1
	.set _ZN9rocsparseL21csrmvn_general_kernelILj256ELj16Elif21rocsparse_complex_numIfES2_S2_EEvbT2_NS_24const_host_device_scalarIT6_EEPKT1_S9_PKS3_PKT3_PKT4_S6_PT5_21rocsparse_index_base_b.uses_flat_scratch, 1
	.set _ZN9rocsparseL21csrmvn_general_kernelILj256ELj16Elif21rocsparse_complex_numIfES2_S2_EEvbT2_NS_24const_host_device_scalarIT6_EEPKT1_S9_PKS3_PKT3_PKT4_S6_PT5_21rocsparse_index_base_b.has_dyn_sized_stack, 0
	.set _ZN9rocsparseL21csrmvn_general_kernelILj256ELj16Elif21rocsparse_complex_numIfES2_S2_EEvbT2_NS_24const_host_device_scalarIT6_EEPKT1_S9_PKS3_PKT3_PKT4_S6_PT5_21rocsparse_index_base_b.has_recursion, 0
	.set _ZN9rocsparseL21csrmvn_general_kernelILj256ELj16Elif21rocsparse_complex_numIfES2_S2_EEvbT2_NS_24const_host_device_scalarIT6_EEPKT1_S9_PKS3_PKT3_PKT4_S6_PT5_21rocsparse_index_base_b.has_indirect_call, 0
	.section	.AMDGPU.csdata,"",@progbits
; Kernel info:
; codeLenInByte = 964
; TotalNumSgprs: 23
; NumVgprs: 30
; ScratchSize: 0
; MemoryBound: 0
; FloatMode: 240
; IeeeMode: 1
; LDSByteSize: 0 bytes/workgroup (compile time only)
; SGPRBlocks: 0
; VGPRBlocks: 1
; NumSGPRsForWavesPerEU: 23
; NumVGPRsForWavesPerEU: 30
; NamedBarCnt: 0
; Occupancy: 16
; WaveLimiterHint : 1
; COMPUTE_PGM_RSRC2:SCRATCH_EN: 0
; COMPUTE_PGM_RSRC2:USER_SGPR: 2
; COMPUTE_PGM_RSRC2:TRAP_HANDLER: 0
; COMPUTE_PGM_RSRC2:TGID_X_EN: 1
; COMPUTE_PGM_RSRC2:TGID_Y_EN: 0
; COMPUTE_PGM_RSRC2:TGID_Z_EN: 0
; COMPUTE_PGM_RSRC2:TIDIG_COMP_CNT: 0
	.section	.text._ZN9rocsparseL21csrmvn_general_kernelILj256ELj32Elif21rocsparse_complex_numIfES2_S2_EEvbT2_NS_24const_host_device_scalarIT6_EEPKT1_S9_PKS3_PKT3_PKT4_S6_PT5_21rocsparse_index_base_b,"axG",@progbits,_ZN9rocsparseL21csrmvn_general_kernelILj256ELj32Elif21rocsparse_complex_numIfES2_S2_EEvbT2_NS_24const_host_device_scalarIT6_EEPKT1_S9_PKS3_PKT3_PKT4_S6_PT5_21rocsparse_index_base_b,comdat
	.globl	_ZN9rocsparseL21csrmvn_general_kernelILj256ELj32Elif21rocsparse_complex_numIfES2_S2_EEvbT2_NS_24const_host_device_scalarIT6_EEPKT1_S9_PKS3_PKT3_PKT4_S6_PT5_21rocsparse_index_base_b ; -- Begin function _ZN9rocsparseL21csrmvn_general_kernelILj256ELj32Elif21rocsparse_complex_numIfES2_S2_EEvbT2_NS_24const_host_device_scalarIT6_EEPKT1_S9_PKS3_PKT3_PKT4_S6_PT5_21rocsparse_index_base_b
	.p2align	8
	.type	_ZN9rocsparseL21csrmvn_general_kernelILj256ELj32Elif21rocsparse_complex_numIfES2_S2_EEvbT2_NS_24const_host_device_scalarIT6_EEPKT1_S9_PKS3_PKT3_PKT4_S6_PT5_21rocsparse_index_base_b,@function
_ZN9rocsparseL21csrmvn_general_kernelILj256ELj32Elif21rocsparse_complex_numIfES2_S2_EEvbT2_NS_24const_host_device_scalarIT6_EEPKT1_S9_PKS3_PKT3_PKT4_S6_PT5_21rocsparse_index_base_b: ; @_ZN9rocsparseL21csrmvn_general_kernelILj256ELj32Elif21rocsparse_complex_numIfES2_S2_EEvbT2_NS_24const_host_device_scalarIT6_EEPKT1_S9_PKS3_PKT3_PKT4_S6_PT5_21rocsparse_index_base_b
; %bb.0:
	s_clause 0x2
	s_load_b64 s[16:17], s[0:1], 0x48
	s_load_b128 s[12:15], s[0:1], 0x8
	s_load_b64 s[2:3], s[0:1], 0x38
	v_mov_b32_e32 v1, 0
	s_add_nc_u64 s[4:5], s[0:1], 8
	s_add_nc_u64 s[6:7], s[0:1], 56
	s_wait_kmcnt 0x0
	s_bitcmp1_b32 s17, 0
	s_cselect_b32 s5, s5, s13
	s_cselect_b32 s4, s4, s12
	;; [unrolled: 1-line block ×4, first 2 shown]
	s_clause 0x1
	flat_load_b64 v[2:3], v1, s[4:5]
	flat_load_b64 v[4:5], v1, s[2:3]
	s_wait_loadcnt_dscnt 0x101
	v_cmp_neq_f32_e32 vcc_lo, 0, v2
	s_wait_xcnt 0x0
	v_cmp_neq_f32_e64 s2, 0, v3
	s_wait_loadcnt_dscnt 0x0
	v_cmp_neq_f32_e64 s3, 1.0, v4
	v_cmp_neq_f32_e64 s4, 0, v5
	s_or_b32 s2, vcc_lo, s2
	s_or_b32 s3, s3, s4
	s_delay_alu instid0(SALU_CYCLE_1) | instskip(NEXT) | instid1(SALU_CYCLE_1)
	s_or_b32 s2, s2, s3
	s_and_saveexec_b32 s3, s2
	s_cbranch_execz .LBB279_12
; %bb.1:
	s_bfe_u32 s2, ttmp6, 0x4000c
	s_load_b32 s12, s[0:1], 0x4
	s_add_co_i32 s2, s2, 1
	s_and_b32 s3, ttmp6, 15
	s_mul_i32 s2, ttmp9, s2
	s_getreg_b32 s4, hwreg(HW_REG_IB_STS2, 6, 4)
	s_add_co_i32 s3, s3, s2
	s_cmp_eq_u32 s4, 0
	s_cselect_b32 s2, ttmp9, s3
	s_delay_alu instid0(SALU_CYCLE_1) | instskip(NEXT) | instid1(VALU_DEP_1)
	v_lshl_or_b32 v1, s2, 8, v0
	v_lshrrev_b32_e32 v6, 5, v1
	s_wait_kmcnt 0x0
	s_delay_alu instid0(VALU_DEP_1)
	v_cmp_gt_i32_e32 vcc_lo, s12, v6
	s_and_b32 exec_lo, exec_lo, vcc_lo
	s_cbranch_execz .LBB279_12
; %bb.2:
	v_mov_b64_e32 v[8:9], 0x8000000000000000
	v_mbcnt_lo_u32_b32 v7, -1, 0
	v_dual_mov_b32 v11, 0 :: v_dual_bitop2_b32 v10, 31, v0 bitop3:0x40
	s_mov_b32 s17, 0
	s_clause 0x2
	s_load_b32 s13, s[0:1], 0x50
	s_load_b64 s[2:3], s[0:1], 0x40
	s_load_b256 s[4:11], s[0:1], 0x18
	s_wait_xcnt 0x0
	s_ashr_i32 s1, s16, 31
	v_pk_mul_f32 v[12:13], v[2:3], v[8:9]
	v_xor_b32_e32 v14, 16, v7
	v_sub_nc_u64_e64 v[0:1], v[10:11], s[16:17]
	v_xor_b32_e32 v15, 4, v7
	s_mov_b32 s0, s16
	v_mov_b32_e32 v8, v13
	v_cmp_gt_i32_e32 vcc_lo, 32, v14
	v_dual_mov_b32 v9, v12 :: v_dual_bitop2_b32 v11, 8, v7 bitop3:0x14
	s_lshl_b64 s[18:19], s[0:1], 3
	v_cmp_neq_f32_e64 s0, 0, v4
	v_cndmask_b32_e32 v14, v7, v14, vcc_lo
	s_delay_alu instid0(VALU_DEP_3) | instskip(SKIP_2) | instid1(VALU_DEP_4)
	v_cmp_gt_i32_e32 vcc_lo, 32, v11
	v_xor_b32_e32 v13, 1, v7
	v_cmp_neq_f32_e64 s1, 0, v5
	v_dual_lshlrev_b32 v22, 2, v14 :: v_dual_bitop2_b32 v12, 2, v7 bitop3:0x14
	v_cndmask_b32_e32 v11, v7, v11, vcc_lo
	v_cmp_gt_i32_e32 vcc_lo, 32, v15
	s_wait_kmcnt 0x0
	s_lshl_b32 s13, s13, 3
	s_sub_nc_u64 s[10:11], s[10:11], s[18:19]
	s_or_b32 s1, s0, s1
	s_mov_b32 s18, s17
	v_cndmask_b32_e32 v15, v7, v15, vcc_lo
	v_cmp_gt_i32_e32 vcc_lo, 32, v12
	v_cndmask_b32_e32 v12, v7, v12, vcc_lo
	v_cmp_gt_i32_e32 vcc_lo, 32, v13
	v_dual_lshlrev_b32 v23, 2, v11 :: v_dual_mov_b32 v11, v4
	s_delay_alu instid0(VALU_DEP_3) | instskip(SKIP_3) | instid1(VALU_DEP_4)
	v_dual_lshlrev_b32 v25, 2, v12 :: v_dual_cndmask_b32 v7, v7, v13, vcc_lo
	v_lshlrev_b32_e32 v24, 2, v15
	v_cmp_eq_u32_e32 vcc_lo, 31, v10
	v_xor_b32_e32 v10, 0x80000000, v5
	v_lshlrev_b32_e32 v26, 2, v7
	s_branch .LBB279_5
.LBB279_3:                              ;   in Loop: Header=BB279_5 Depth=1
	s_wait_xcnt 0x0
	s_or_b32 exec_lo, exec_lo, s19
	global_store_b64 v[12:13], v[14:15], off
.LBB279_4:                              ;   in Loop: Header=BB279_5 Depth=1
	s_wait_xcnt 0x0
	s_or_b32 exec_lo, exec_lo, s0
	v_add_nc_u32_e32 v6, s13, v6
	s_delay_alu instid0(VALU_DEP_1) | instskip(SKIP_1) | instid1(SALU_CYCLE_1)
	v_cmp_le_i32_e64 s0, s12, v6
	s_or_b32 s18, s0, s18
	s_and_not1_b32 exec_lo, exec_lo, s18
	s_cbranch_execz .LBB279_12
.LBB279_5:                              ; =>This Loop Header: Depth=1
                                        ;     Child Loop BB279_7 Depth 2
	s_clause 0x1
	global_load_b64 v[12:13], v6, s[4:5] scale_offset
	global_load_b64 v[16:17], v6, s[14:15] scale_offset
	s_mov_b32 s19, exec_lo
	s_wait_loadcnt_dscnt 0x100
	v_sub_nc_u64_e64 v[14:15], v[12:13], s[16:17]
	s_wait_loadcnt 0x0
	v_add_nc_u64_e32 v[16:17], v[16:17], v[0:1]
	v_dual_mov_b32 v13, 0 :: v_dual_mov_b32 v12, 0
	s_wait_xcnt 0x0
	s_delay_alu instid0(VALU_DEP_2)
	v_cmpx_lt_i64_e64 v[16:17], v[14:15]
	s_cbranch_execz .LBB279_9
; %bb.6:                                ;   in Loop: Header=BB279_5 Depth=1
	v_lshlrev_b64_e32 v[20:21], 2, v[16:17]
	v_mov_b32_e32 v13, 0
	s_mov_b32 s20, 0
	s_delay_alu instid0(VALU_DEP_1) | instskip(NEXT) | instid1(VALU_DEP_3)
	v_mov_b32_e32 v12, v13
	v_add_nc_u64_e32 v[18:19], s[8:9], v[20:21]
	v_add_nc_u64_e32 v[20:21], s[6:7], v[20:21]
.LBB279_7:                              ;   Parent Loop BB279_5 Depth=1
                                        ; =>  This Inner Loop Header: Depth=2
	global_load_b32 v7, v[20:21], off
	global_load_b32 v28, v[18:19], off
	v_add_nc_u64_e32 v[16:17], 32, v[16:17]
	s_wait_xcnt 0x0
	v_add_nc_u64_e32 v[18:19], 0x80, v[18:19]
	v_add_nc_u64_e32 v[20:21], 0x80, v[20:21]
	s_delay_alu instid0(VALU_DEP_3)
	v_cmp_ge_i64_e64 s0, v[16:17], v[14:15]
	s_or_b32 s20, s0, s20
	s_wait_loadcnt 0x1
	global_load_b64 v[30:31], v7, s[10:11] scale_offset
	s_wait_loadcnt 0x1
	v_pk_fma_f32 v[28:29], v[2:3], v[28:29], v[8:9] op_sel_hi:[1,0,1]
	s_wait_loadcnt 0x0
	s_delay_alu instid0(VALU_DEP_1) | instskip(NEXT) | instid1(VALU_DEP_1)
	v_pk_fma_f32 v[12:13], v[28:29], v[30:31], v[12:13] op_sel_hi:[1,0,1]
	v_pk_fma_f32 v[12:13], v[28:29], v[30:31], v[12:13] op_sel:[1,1,0] op_sel_hi:[0,1,1] neg_lo:[1,0,0]
	s_wait_xcnt 0x0
	s_and_not1_b32 exec_lo, exec_lo, s20
	s_cbranch_execnz .LBB279_7
; %bb.8:                                ;   in Loop: Header=BB279_5 Depth=1
	s_or_b32 exec_lo, exec_lo, s20
.LBB279_9:                              ;   in Loop: Header=BB279_5 Depth=1
	s_delay_alu instid0(SALU_CYCLE_1)
	s_or_b32 exec_lo, exec_lo, s19
	ds_bpermute_b32 v14, v22, v12
	ds_bpermute_b32 v15, v22, v13
	v_ashrrev_i32_e32 v7, 31, v6
	s_wait_dscnt 0x0
	v_pk_add_f32 v[12:13], v[12:13], v[14:15]
	ds_bpermute_b32 v14, v23, v12
	ds_bpermute_b32 v15, v23, v13
	s_wait_dscnt 0x0
	v_pk_add_f32 v[12:13], v[12:13], v[14:15]
	ds_bpermute_b32 v14, v24, v12
	ds_bpermute_b32 v15, v24, v13
	;; [unrolled: 4-line block ×4, first 2 shown]
	s_and_saveexec_b32 s0, vcc_lo
	s_cbranch_execz .LBB279_4
; %bb.10:                               ;   in Loop: Header=BB279_5 Depth=1
	s_wait_dscnt 0x0
	v_pk_add_f32 v[14:15], v[12:13], v[14:15]
	v_lshl_add_u64 v[12:13], v[6:7], 3, s[2:3]
	s_and_saveexec_b32 s19, s1
	s_cbranch_execz .LBB279_3
; %bb.11:                               ;   in Loop: Header=BB279_5 Depth=1
	global_load_b64 v[16:17], v[12:13], off
	s_wait_loadcnt 0x0
	v_pk_fma_f32 v[14:15], v[4:5], v[16:17], v[14:15] op_sel_hi:[1,0,1]
	s_delay_alu instid0(VALU_DEP_1)
	v_pk_fma_f32 v[14:15], v[10:11], v[16:17], v[14:15] op_sel:[0,1,0]
	s_branch .LBB279_3
.LBB279_12:
	s_endpgm
	.section	.rodata,"a",@progbits
	.p2align	6, 0x0
	.amdhsa_kernel _ZN9rocsparseL21csrmvn_general_kernelILj256ELj32Elif21rocsparse_complex_numIfES2_S2_EEvbT2_NS_24const_host_device_scalarIT6_EEPKT1_S9_PKS3_PKT3_PKT4_S6_PT5_21rocsparse_index_base_b
		.amdhsa_group_segment_fixed_size 0
		.amdhsa_private_segment_fixed_size 0
		.amdhsa_kernarg_size 336
		.amdhsa_user_sgpr_count 2
		.amdhsa_user_sgpr_dispatch_ptr 0
		.amdhsa_user_sgpr_queue_ptr 0
		.amdhsa_user_sgpr_kernarg_segment_ptr 1
		.amdhsa_user_sgpr_dispatch_id 0
		.amdhsa_user_sgpr_kernarg_preload_length 0
		.amdhsa_user_sgpr_kernarg_preload_offset 0
		.amdhsa_user_sgpr_private_segment_size 0
		.amdhsa_wavefront_size32 1
		.amdhsa_uses_dynamic_stack 0
		.amdhsa_enable_private_segment 0
		.amdhsa_system_sgpr_workgroup_id_x 1
		.amdhsa_system_sgpr_workgroup_id_y 0
		.amdhsa_system_sgpr_workgroup_id_z 0
		.amdhsa_system_sgpr_workgroup_info 0
		.amdhsa_system_vgpr_workitem_id 0
		.amdhsa_next_free_vgpr 32
		.amdhsa_next_free_sgpr 21
		.amdhsa_named_barrier_count 0
		.amdhsa_reserve_vcc 1
		.amdhsa_float_round_mode_32 0
		.amdhsa_float_round_mode_16_64 0
		.amdhsa_float_denorm_mode_32 3
		.amdhsa_float_denorm_mode_16_64 3
		.amdhsa_fp16_overflow 0
		.amdhsa_memory_ordered 1
		.amdhsa_forward_progress 1
		.amdhsa_inst_pref_size 8
		.amdhsa_round_robin_scheduling 0
		.amdhsa_exception_fp_ieee_invalid_op 0
		.amdhsa_exception_fp_denorm_src 0
		.amdhsa_exception_fp_ieee_div_zero 0
		.amdhsa_exception_fp_ieee_overflow 0
		.amdhsa_exception_fp_ieee_underflow 0
		.amdhsa_exception_fp_ieee_inexact 0
		.amdhsa_exception_int_div_zero 0
	.end_amdhsa_kernel
	.section	.text._ZN9rocsparseL21csrmvn_general_kernelILj256ELj32Elif21rocsparse_complex_numIfES2_S2_EEvbT2_NS_24const_host_device_scalarIT6_EEPKT1_S9_PKS3_PKT3_PKT4_S6_PT5_21rocsparse_index_base_b,"axG",@progbits,_ZN9rocsparseL21csrmvn_general_kernelILj256ELj32Elif21rocsparse_complex_numIfES2_S2_EEvbT2_NS_24const_host_device_scalarIT6_EEPKT1_S9_PKS3_PKT3_PKT4_S6_PT5_21rocsparse_index_base_b,comdat
.Lfunc_end279:
	.size	_ZN9rocsparseL21csrmvn_general_kernelILj256ELj32Elif21rocsparse_complex_numIfES2_S2_EEvbT2_NS_24const_host_device_scalarIT6_EEPKT1_S9_PKS3_PKT3_PKT4_S6_PT5_21rocsparse_index_base_b, .Lfunc_end279-_ZN9rocsparseL21csrmvn_general_kernelILj256ELj32Elif21rocsparse_complex_numIfES2_S2_EEvbT2_NS_24const_host_device_scalarIT6_EEPKT1_S9_PKS3_PKT3_PKT4_S6_PT5_21rocsparse_index_base_b
                                        ; -- End function
	.set _ZN9rocsparseL21csrmvn_general_kernelILj256ELj32Elif21rocsparse_complex_numIfES2_S2_EEvbT2_NS_24const_host_device_scalarIT6_EEPKT1_S9_PKS3_PKT3_PKT4_S6_PT5_21rocsparse_index_base_b.num_vgpr, 32
	.set _ZN9rocsparseL21csrmvn_general_kernelILj256ELj32Elif21rocsparse_complex_numIfES2_S2_EEvbT2_NS_24const_host_device_scalarIT6_EEPKT1_S9_PKS3_PKT3_PKT4_S6_PT5_21rocsparse_index_base_b.num_agpr, 0
	.set _ZN9rocsparseL21csrmvn_general_kernelILj256ELj32Elif21rocsparse_complex_numIfES2_S2_EEvbT2_NS_24const_host_device_scalarIT6_EEPKT1_S9_PKS3_PKT3_PKT4_S6_PT5_21rocsparse_index_base_b.numbered_sgpr, 21
	.set _ZN9rocsparseL21csrmvn_general_kernelILj256ELj32Elif21rocsparse_complex_numIfES2_S2_EEvbT2_NS_24const_host_device_scalarIT6_EEPKT1_S9_PKS3_PKT3_PKT4_S6_PT5_21rocsparse_index_base_b.num_named_barrier, 0
	.set _ZN9rocsparseL21csrmvn_general_kernelILj256ELj32Elif21rocsparse_complex_numIfES2_S2_EEvbT2_NS_24const_host_device_scalarIT6_EEPKT1_S9_PKS3_PKT3_PKT4_S6_PT5_21rocsparse_index_base_b.private_seg_size, 0
	.set _ZN9rocsparseL21csrmvn_general_kernelILj256ELj32Elif21rocsparse_complex_numIfES2_S2_EEvbT2_NS_24const_host_device_scalarIT6_EEPKT1_S9_PKS3_PKT3_PKT4_S6_PT5_21rocsparse_index_base_b.uses_vcc, 1
	.set _ZN9rocsparseL21csrmvn_general_kernelILj256ELj32Elif21rocsparse_complex_numIfES2_S2_EEvbT2_NS_24const_host_device_scalarIT6_EEPKT1_S9_PKS3_PKT3_PKT4_S6_PT5_21rocsparse_index_base_b.uses_flat_scratch, 1
	.set _ZN9rocsparseL21csrmvn_general_kernelILj256ELj32Elif21rocsparse_complex_numIfES2_S2_EEvbT2_NS_24const_host_device_scalarIT6_EEPKT1_S9_PKS3_PKT3_PKT4_S6_PT5_21rocsparse_index_base_b.has_dyn_sized_stack, 0
	.set _ZN9rocsparseL21csrmvn_general_kernelILj256ELj32Elif21rocsparse_complex_numIfES2_S2_EEvbT2_NS_24const_host_device_scalarIT6_EEPKT1_S9_PKS3_PKT3_PKT4_S6_PT5_21rocsparse_index_base_b.has_recursion, 0
	.set _ZN9rocsparseL21csrmvn_general_kernelILj256ELj32Elif21rocsparse_complex_numIfES2_S2_EEvbT2_NS_24const_host_device_scalarIT6_EEPKT1_S9_PKS3_PKT3_PKT4_S6_PT5_21rocsparse_index_base_b.has_indirect_call, 0
	.section	.AMDGPU.csdata,"",@progbits
; Kernel info:
; codeLenInByte = 1016
; TotalNumSgprs: 23
; NumVgprs: 32
; ScratchSize: 0
; MemoryBound: 0
; FloatMode: 240
; IeeeMode: 1
; LDSByteSize: 0 bytes/workgroup (compile time only)
; SGPRBlocks: 0
; VGPRBlocks: 1
; NumSGPRsForWavesPerEU: 23
; NumVGPRsForWavesPerEU: 32
; NamedBarCnt: 0
; Occupancy: 16
; WaveLimiterHint : 1
; COMPUTE_PGM_RSRC2:SCRATCH_EN: 0
; COMPUTE_PGM_RSRC2:USER_SGPR: 2
; COMPUTE_PGM_RSRC2:TRAP_HANDLER: 0
; COMPUTE_PGM_RSRC2:TGID_X_EN: 1
; COMPUTE_PGM_RSRC2:TGID_Y_EN: 0
; COMPUTE_PGM_RSRC2:TGID_Z_EN: 0
; COMPUTE_PGM_RSRC2:TIDIG_COMP_CNT: 0
	.section	.text._ZN9rocsparseL21csrmvn_general_kernelILj256ELj64Elif21rocsparse_complex_numIfES2_S2_EEvbT2_NS_24const_host_device_scalarIT6_EEPKT1_S9_PKS3_PKT3_PKT4_S6_PT5_21rocsparse_index_base_b,"axG",@progbits,_ZN9rocsparseL21csrmvn_general_kernelILj256ELj64Elif21rocsparse_complex_numIfES2_S2_EEvbT2_NS_24const_host_device_scalarIT6_EEPKT1_S9_PKS3_PKT3_PKT4_S6_PT5_21rocsparse_index_base_b,comdat
	.globl	_ZN9rocsparseL21csrmvn_general_kernelILj256ELj64Elif21rocsparse_complex_numIfES2_S2_EEvbT2_NS_24const_host_device_scalarIT6_EEPKT1_S9_PKS3_PKT3_PKT4_S6_PT5_21rocsparse_index_base_b ; -- Begin function _ZN9rocsparseL21csrmvn_general_kernelILj256ELj64Elif21rocsparse_complex_numIfES2_S2_EEvbT2_NS_24const_host_device_scalarIT6_EEPKT1_S9_PKS3_PKT3_PKT4_S6_PT5_21rocsparse_index_base_b
	.p2align	8
	.type	_ZN9rocsparseL21csrmvn_general_kernelILj256ELj64Elif21rocsparse_complex_numIfES2_S2_EEvbT2_NS_24const_host_device_scalarIT6_EEPKT1_S9_PKS3_PKT3_PKT4_S6_PT5_21rocsparse_index_base_b,@function
_ZN9rocsparseL21csrmvn_general_kernelILj256ELj64Elif21rocsparse_complex_numIfES2_S2_EEvbT2_NS_24const_host_device_scalarIT6_EEPKT1_S9_PKS3_PKT3_PKT4_S6_PT5_21rocsparse_index_base_b: ; @_ZN9rocsparseL21csrmvn_general_kernelILj256ELj64Elif21rocsparse_complex_numIfES2_S2_EEvbT2_NS_24const_host_device_scalarIT6_EEPKT1_S9_PKS3_PKT3_PKT4_S6_PT5_21rocsparse_index_base_b
; %bb.0:
	s_clause 0x2
	s_load_b64 s[16:17], s[0:1], 0x48
	s_load_b128 s[12:15], s[0:1], 0x8
	s_load_b64 s[2:3], s[0:1], 0x38
	v_mov_b32_e32 v1, 0
	s_add_nc_u64 s[4:5], s[0:1], 8
	s_add_nc_u64 s[6:7], s[0:1], 56
	s_wait_kmcnt 0x0
	s_bitcmp1_b32 s17, 0
	s_cselect_b32 s5, s5, s13
	s_cselect_b32 s4, s4, s12
	;; [unrolled: 1-line block ×4, first 2 shown]
	s_clause 0x1
	flat_load_b64 v[2:3], v1, s[4:5]
	flat_load_b64 v[4:5], v1, s[2:3]
	s_wait_loadcnt_dscnt 0x101
	v_cmp_neq_f32_e32 vcc_lo, 0, v2
	s_wait_xcnt 0x0
	v_cmp_neq_f32_e64 s2, 0, v3
	s_wait_loadcnt_dscnt 0x0
	v_cmp_neq_f32_e64 s3, 1.0, v4
	v_cmp_neq_f32_e64 s4, 0, v5
	s_or_b32 s2, vcc_lo, s2
	s_or_b32 s3, s3, s4
	s_delay_alu instid0(SALU_CYCLE_1) | instskip(NEXT) | instid1(SALU_CYCLE_1)
	s_or_b32 s2, s2, s3
	s_and_saveexec_b32 s3, s2
	s_cbranch_execz .LBB280_12
; %bb.1:
	s_bfe_u32 s2, ttmp6, 0x4000c
	s_load_b32 s12, s[0:1], 0x4
	s_add_co_i32 s2, s2, 1
	s_and_b32 s3, ttmp6, 15
	s_mul_i32 s2, ttmp9, s2
	s_getreg_b32 s4, hwreg(HW_REG_IB_STS2, 6, 4)
	s_add_co_i32 s3, s3, s2
	s_cmp_eq_u32 s4, 0
	s_cselect_b32 s2, ttmp9, s3
	s_delay_alu instid0(SALU_CYCLE_1) | instskip(NEXT) | instid1(VALU_DEP_1)
	v_lshl_or_b32 v1, s2, 8, v0
	v_lshrrev_b32_e32 v6, 6, v1
	s_wait_kmcnt 0x0
	s_delay_alu instid0(VALU_DEP_1)
	v_cmp_gt_i32_e32 vcc_lo, s12, v6
	s_and_b32 exec_lo, exec_lo, vcc_lo
	s_cbranch_execz .LBB280_12
; %bb.2:
	v_dual_mov_b32 v11, 0 :: v_dual_bitop2_b32 v10, 63, v0 bitop3:0x40
	v_mov_b64_e32 v[0:1], 0x8000000000000000
	v_mbcnt_lo_u32_b32 v7, -1, 0
	s_mov_b32 s17, 0
	s_clause 0x2
	s_load_b32 s13, s[0:1], 0x50
	s_load_b64 s[2:3], s[0:1], 0x40
	s_load_b256 s[4:11], s[0:1], 0x18
	s_wait_xcnt 0x0
	s_ashr_i32 s1, s16, 31
	s_mov_b32 s0, s16
	v_pk_mul_f32 v[12:13], v[2:3], v[0:1]
	v_or_b32_e32 v8, 32, v7
	v_sub_nc_u64_e64 v[0:1], v[10:11], s[16:17]
	s_lshl_b64 s[18:19], s[0:1], 3
	v_cmp_neq_f32_e64 s0, 0, v4
	v_mov_b32_e32 v9, v12
	v_cmp_gt_i32_e32 vcc_lo, 32, v8
	v_cmp_neq_f32_e64 s1, 0, v5
	v_dual_cndmask_b32 v14, v7, v8, vcc_lo :: v_dual_bitop2_b32 v11, 16, v7 bitop3:0x14
	v_mov_b32_e32 v8, v13
	s_delay_alu instid0(VALU_DEP_2)
	v_cmp_gt_i32_e32 vcc_lo, 32, v11
	s_wait_kmcnt 0x0
	s_lshl_b32 s13, s13, 2
	s_or_b32 s1, s0, s1
	v_dual_lshlrev_b32 v22, 2, v14 :: v_dual_bitop2_b32 v14, 2, v7 bitop3:0x14
	v_xor_b32_e32 v13, 4, v7
	v_xor_b32_e32 v12, 8, v7
	v_cndmask_b32_e32 v11, v7, v11, vcc_lo
	s_sub_nc_u64 s[10:11], s[10:11], s[18:19]
	s_mov_b32 s18, s17
	s_delay_alu instid0(VALU_DEP_2) | instskip(SKIP_3) | instid1(VALU_DEP_3)
	v_cmp_gt_i32_e32 vcc_lo, 32, v12
	v_cndmask_b32_e32 v12, v7, v12, vcc_lo
	v_cmp_gt_i32_e32 vcc_lo, 32, v13
	v_dual_lshlrev_b32 v23, 2, v11 :: v_dual_mov_b32 v11, v4
	v_dual_cndmask_b32 v13, v7, v13 :: v_dual_lshlrev_b32 v24, 2, v12
	v_xor_b32_e32 v15, 1, v7
	v_cmp_gt_i32_e32 vcc_lo, 32, v14
	s_delay_alu instid0(VALU_DEP_3) | instskip(NEXT) | instid1(VALU_DEP_3)
	v_dual_cndmask_b32 v14, v7, v14 :: v_dual_lshlrev_b32 v25, 2, v13
	v_cmp_gt_i32_e32 vcc_lo, 32, v15
	s_delay_alu instid0(VALU_DEP_2) | instskip(SKIP_2) | instid1(VALU_DEP_3)
	v_dual_cndmask_b32 v7, v7, v15 :: v_dual_lshlrev_b32 v26, 2, v14
	v_cmp_eq_u32_e32 vcc_lo, 63, v10
	v_xor_b32_e32 v10, 0x80000000, v5
	v_lshlrev_b32_e32 v27, 2, v7
	s_branch .LBB280_5
.LBB280_3:                              ;   in Loop: Header=BB280_5 Depth=1
	s_wait_xcnt 0x0
	s_or_b32 exec_lo, exec_lo, s19
	global_store_b64 v[12:13], v[14:15], off
.LBB280_4:                              ;   in Loop: Header=BB280_5 Depth=1
	s_wait_xcnt 0x0
	s_or_b32 exec_lo, exec_lo, s0
	v_add_nc_u32_e32 v6, s13, v6
	s_delay_alu instid0(VALU_DEP_1) | instskip(SKIP_1) | instid1(SALU_CYCLE_1)
	v_cmp_le_i32_e64 s0, s12, v6
	s_or_b32 s18, s0, s18
	s_and_not1_b32 exec_lo, exec_lo, s18
	s_cbranch_execz .LBB280_12
.LBB280_5:                              ; =>This Loop Header: Depth=1
                                        ;     Child Loop BB280_7 Depth 2
	s_clause 0x1
	global_load_b64 v[12:13], v6, s[4:5] scale_offset
	global_load_b64 v[16:17], v6, s[14:15] scale_offset
	s_mov_b32 s19, exec_lo
	s_wait_loadcnt_dscnt 0x100
	v_sub_nc_u64_e64 v[14:15], v[12:13], s[16:17]
	s_wait_loadcnt 0x0
	v_add_nc_u64_e32 v[16:17], v[16:17], v[0:1]
	v_dual_mov_b32 v13, 0 :: v_dual_mov_b32 v12, 0
	s_wait_xcnt 0x0
	s_delay_alu instid0(VALU_DEP_2)
	v_cmpx_lt_i64_e64 v[16:17], v[14:15]
	s_cbranch_execz .LBB280_9
; %bb.6:                                ;   in Loop: Header=BB280_5 Depth=1
	v_lshlrev_b64_e32 v[20:21], 2, v[16:17]
	v_mov_b32_e32 v12, 0
	s_mov_b32 s20, 0
	s_delay_alu instid0(VALU_DEP_1) | instskip(NEXT) | instid1(VALU_DEP_3)
	v_mov_b32_e32 v13, v12
	v_add_nc_u64_e32 v[18:19], s[8:9], v[20:21]
	v_add_nc_u64_e32 v[20:21], s[6:7], v[20:21]
.LBB280_7:                              ;   Parent Loop BB280_5 Depth=1
                                        ; =>  This Inner Loop Header: Depth=2
	global_load_b32 v7, v[20:21], off
	global_load_b32 v28, v[18:19], off
	v_add_nc_u64_e32 v[16:17], 64, v[16:17]
	s_wait_xcnt 0x0
	v_add_nc_u64_e32 v[18:19], 0x100, v[18:19]
	v_add_nc_u64_e32 v[20:21], 0x100, v[20:21]
	s_delay_alu instid0(VALU_DEP_3)
	v_cmp_ge_i64_e64 s0, v[16:17], v[14:15]
	s_or_b32 s20, s0, s20
	s_wait_loadcnt 0x1
	global_load_b64 v[30:31], v7, s[10:11] scale_offset
	s_wait_loadcnt 0x1
	v_pk_fma_f32 v[28:29], v[2:3], v[28:29], v[8:9] op_sel_hi:[1,0,1]
	s_wait_loadcnt 0x0
	s_delay_alu instid0(VALU_DEP_1) | instskip(NEXT) | instid1(VALU_DEP_1)
	v_pk_fma_f32 v[12:13], v[28:29], v[30:31], v[12:13] op_sel_hi:[1,0,1]
	v_pk_fma_f32 v[12:13], v[28:29], v[30:31], v[12:13] op_sel:[1,1,0] op_sel_hi:[0,1,1] neg_lo:[1,0,0]
	s_wait_xcnt 0x0
	s_and_not1_b32 exec_lo, exec_lo, s20
	s_cbranch_execnz .LBB280_7
; %bb.8:                                ;   in Loop: Header=BB280_5 Depth=1
	s_or_b32 exec_lo, exec_lo, s20
.LBB280_9:                              ;   in Loop: Header=BB280_5 Depth=1
	s_delay_alu instid0(SALU_CYCLE_1)
	s_or_b32 exec_lo, exec_lo, s19
	ds_bpermute_b32 v14, v22, v12
	ds_bpermute_b32 v15, v22, v13
	v_ashrrev_i32_e32 v7, 31, v6
	s_wait_dscnt 0x0
	v_pk_add_f32 v[12:13], v[12:13], v[14:15]
	ds_bpermute_b32 v14, v23, v12
	ds_bpermute_b32 v15, v23, v13
	s_wait_dscnt 0x0
	v_pk_add_f32 v[12:13], v[12:13], v[14:15]
	ds_bpermute_b32 v14, v24, v12
	ds_bpermute_b32 v15, v24, v13
	;; [unrolled: 4-line block ×5, first 2 shown]
	s_and_saveexec_b32 s0, vcc_lo
	s_cbranch_execz .LBB280_4
; %bb.10:                               ;   in Loop: Header=BB280_5 Depth=1
	s_wait_dscnt 0x0
	v_pk_add_f32 v[14:15], v[12:13], v[14:15]
	v_lshl_add_u64 v[12:13], v[6:7], 3, s[2:3]
	s_and_saveexec_b32 s19, s1
	s_cbranch_execz .LBB280_3
; %bb.11:                               ;   in Loop: Header=BB280_5 Depth=1
	global_load_b64 v[16:17], v[12:13], off
	s_wait_loadcnt 0x0
	v_pk_fma_f32 v[14:15], v[4:5], v[16:17], v[14:15] op_sel_hi:[1,0,1]
	s_delay_alu instid0(VALU_DEP_1)
	v_pk_fma_f32 v[14:15], v[10:11], v[16:17], v[14:15] op_sel:[0,1,0]
	s_branch .LBB280_3
.LBB280_12:
	s_endpgm
	.section	.rodata,"a",@progbits
	.p2align	6, 0x0
	.amdhsa_kernel _ZN9rocsparseL21csrmvn_general_kernelILj256ELj64Elif21rocsparse_complex_numIfES2_S2_EEvbT2_NS_24const_host_device_scalarIT6_EEPKT1_S9_PKS3_PKT3_PKT4_S6_PT5_21rocsparse_index_base_b
		.amdhsa_group_segment_fixed_size 0
		.amdhsa_private_segment_fixed_size 0
		.amdhsa_kernarg_size 336
		.amdhsa_user_sgpr_count 2
		.amdhsa_user_sgpr_dispatch_ptr 0
		.amdhsa_user_sgpr_queue_ptr 0
		.amdhsa_user_sgpr_kernarg_segment_ptr 1
		.amdhsa_user_sgpr_dispatch_id 0
		.amdhsa_user_sgpr_kernarg_preload_length 0
		.amdhsa_user_sgpr_kernarg_preload_offset 0
		.amdhsa_user_sgpr_private_segment_size 0
		.amdhsa_wavefront_size32 1
		.amdhsa_uses_dynamic_stack 0
		.amdhsa_enable_private_segment 0
		.amdhsa_system_sgpr_workgroup_id_x 1
		.amdhsa_system_sgpr_workgroup_id_y 0
		.amdhsa_system_sgpr_workgroup_id_z 0
		.amdhsa_system_sgpr_workgroup_info 0
		.amdhsa_system_vgpr_workitem_id 0
		.amdhsa_next_free_vgpr 32
		.amdhsa_next_free_sgpr 21
		.amdhsa_named_barrier_count 0
		.amdhsa_reserve_vcc 1
		.amdhsa_float_round_mode_32 0
		.amdhsa_float_round_mode_16_64 0
		.amdhsa_float_denorm_mode_32 3
		.amdhsa_float_denorm_mode_16_64 3
		.amdhsa_fp16_overflow 0
		.amdhsa_memory_ordered 1
		.amdhsa_forward_progress 1
		.amdhsa_inst_pref_size 9
		.amdhsa_round_robin_scheduling 0
		.amdhsa_exception_fp_ieee_invalid_op 0
		.amdhsa_exception_fp_denorm_src 0
		.amdhsa_exception_fp_ieee_div_zero 0
		.amdhsa_exception_fp_ieee_overflow 0
		.amdhsa_exception_fp_ieee_underflow 0
		.amdhsa_exception_fp_ieee_inexact 0
		.amdhsa_exception_int_div_zero 0
	.end_amdhsa_kernel
	.section	.text._ZN9rocsparseL21csrmvn_general_kernelILj256ELj64Elif21rocsparse_complex_numIfES2_S2_EEvbT2_NS_24const_host_device_scalarIT6_EEPKT1_S9_PKS3_PKT3_PKT4_S6_PT5_21rocsparse_index_base_b,"axG",@progbits,_ZN9rocsparseL21csrmvn_general_kernelILj256ELj64Elif21rocsparse_complex_numIfES2_S2_EEvbT2_NS_24const_host_device_scalarIT6_EEPKT1_S9_PKS3_PKT3_PKT4_S6_PT5_21rocsparse_index_base_b,comdat
.Lfunc_end280:
	.size	_ZN9rocsparseL21csrmvn_general_kernelILj256ELj64Elif21rocsparse_complex_numIfES2_S2_EEvbT2_NS_24const_host_device_scalarIT6_EEPKT1_S9_PKS3_PKT3_PKT4_S6_PT5_21rocsparse_index_base_b, .Lfunc_end280-_ZN9rocsparseL21csrmvn_general_kernelILj256ELj64Elif21rocsparse_complex_numIfES2_S2_EEvbT2_NS_24const_host_device_scalarIT6_EEPKT1_S9_PKS3_PKT3_PKT4_S6_PT5_21rocsparse_index_base_b
                                        ; -- End function
	.set _ZN9rocsparseL21csrmvn_general_kernelILj256ELj64Elif21rocsparse_complex_numIfES2_S2_EEvbT2_NS_24const_host_device_scalarIT6_EEPKT1_S9_PKS3_PKT3_PKT4_S6_PT5_21rocsparse_index_base_b.num_vgpr, 32
	.set _ZN9rocsparseL21csrmvn_general_kernelILj256ELj64Elif21rocsparse_complex_numIfES2_S2_EEvbT2_NS_24const_host_device_scalarIT6_EEPKT1_S9_PKS3_PKT3_PKT4_S6_PT5_21rocsparse_index_base_b.num_agpr, 0
	.set _ZN9rocsparseL21csrmvn_general_kernelILj256ELj64Elif21rocsparse_complex_numIfES2_S2_EEvbT2_NS_24const_host_device_scalarIT6_EEPKT1_S9_PKS3_PKT3_PKT4_S6_PT5_21rocsparse_index_base_b.numbered_sgpr, 21
	.set _ZN9rocsparseL21csrmvn_general_kernelILj256ELj64Elif21rocsparse_complex_numIfES2_S2_EEvbT2_NS_24const_host_device_scalarIT6_EEPKT1_S9_PKS3_PKT3_PKT4_S6_PT5_21rocsparse_index_base_b.num_named_barrier, 0
	.set _ZN9rocsparseL21csrmvn_general_kernelILj256ELj64Elif21rocsparse_complex_numIfES2_S2_EEvbT2_NS_24const_host_device_scalarIT6_EEPKT1_S9_PKS3_PKT3_PKT4_S6_PT5_21rocsparse_index_base_b.private_seg_size, 0
	.set _ZN9rocsparseL21csrmvn_general_kernelILj256ELj64Elif21rocsparse_complex_numIfES2_S2_EEvbT2_NS_24const_host_device_scalarIT6_EEPKT1_S9_PKS3_PKT3_PKT4_S6_PT5_21rocsparse_index_base_b.uses_vcc, 1
	.set _ZN9rocsparseL21csrmvn_general_kernelILj256ELj64Elif21rocsparse_complex_numIfES2_S2_EEvbT2_NS_24const_host_device_scalarIT6_EEPKT1_S9_PKS3_PKT3_PKT4_S6_PT5_21rocsparse_index_base_b.uses_flat_scratch, 1
	.set _ZN9rocsparseL21csrmvn_general_kernelILj256ELj64Elif21rocsparse_complex_numIfES2_S2_EEvbT2_NS_24const_host_device_scalarIT6_EEPKT1_S9_PKS3_PKT3_PKT4_S6_PT5_21rocsparse_index_base_b.has_dyn_sized_stack, 0
	.set _ZN9rocsparseL21csrmvn_general_kernelILj256ELj64Elif21rocsparse_complex_numIfES2_S2_EEvbT2_NS_24const_host_device_scalarIT6_EEPKT1_S9_PKS3_PKT3_PKT4_S6_PT5_21rocsparse_index_base_b.has_recursion, 0
	.set _ZN9rocsparseL21csrmvn_general_kernelILj256ELj64Elif21rocsparse_complex_numIfES2_S2_EEvbT2_NS_24const_host_device_scalarIT6_EEPKT1_S9_PKS3_PKT3_PKT4_S6_PT5_21rocsparse_index_base_b.has_indirect_call, 0
	.section	.AMDGPU.csdata,"",@progbits
; Kernel info:
; codeLenInByte = 1064
; TotalNumSgprs: 23
; NumVgprs: 32
; ScratchSize: 0
; MemoryBound: 0
; FloatMode: 240
; IeeeMode: 1
; LDSByteSize: 0 bytes/workgroup (compile time only)
; SGPRBlocks: 0
; VGPRBlocks: 1
; NumSGPRsForWavesPerEU: 23
; NumVGPRsForWavesPerEU: 32
; NamedBarCnt: 0
; Occupancy: 16
; WaveLimiterHint : 1
; COMPUTE_PGM_RSRC2:SCRATCH_EN: 0
; COMPUTE_PGM_RSRC2:USER_SGPR: 2
; COMPUTE_PGM_RSRC2:TRAP_HANDLER: 0
; COMPUTE_PGM_RSRC2:TGID_X_EN: 1
; COMPUTE_PGM_RSRC2:TGID_Y_EN: 0
; COMPUTE_PGM_RSRC2:TGID_Z_EN: 0
; COMPUTE_PGM_RSRC2:TIDIG_COMP_CNT: 0
	.section	.text._ZN9rocsparseL21csrmvt_general_kernelILj256ELj4Elif21rocsparse_complex_numIfES2_S2_EEvbbT2_NS_24const_host_device_scalarIT6_EEPKT1_S9_PKS3_PKT3_PKT4_PT5_21rocsparse_index_base_b,"axG",@progbits,_ZN9rocsparseL21csrmvt_general_kernelILj256ELj4Elif21rocsparse_complex_numIfES2_S2_EEvbbT2_NS_24const_host_device_scalarIT6_EEPKT1_S9_PKS3_PKT3_PKT4_PT5_21rocsparse_index_base_b,comdat
	.globl	_ZN9rocsparseL21csrmvt_general_kernelILj256ELj4Elif21rocsparse_complex_numIfES2_S2_EEvbbT2_NS_24const_host_device_scalarIT6_EEPKT1_S9_PKS3_PKT3_PKT4_PT5_21rocsparse_index_base_b ; -- Begin function _ZN9rocsparseL21csrmvt_general_kernelILj256ELj4Elif21rocsparse_complex_numIfES2_S2_EEvbbT2_NS_24const_host_device_scalarIT6_EEPKT1_S9_PKS3_PKT3_PKT4_PT5_21rocsparse_index_base_b
	.p2align	8
	.type	_ZN9rocsparseL21csrmvt_general_kernelILj256ELj4Elif21rocsparse_complex_numIfES2_S2_EEvbbT2_NS_24const_host_device_scalarIT6_EEPKT1_S9_PKS3_PKT3_PKT4_PT5_21rocsparse_index_base_b,@function
_ZN9rocsparseL21csrmvt_general_kernelILj256ELj4Elif21rocsparse_complex_numIfES2_S2_EEvbbT2_NS_24const_host_device_scalarIT6_EEPKT1_S9_PKS3_PKT3_PKT4_PT5_21rocsparse_index_base_b: ; @_ZN9rocsparseL21csrmvt_general_kernelILj256ELj4Elif21rocsparse_complex_numIfES2_S2_EEvbbT2_NS_24const_host_device_scalarIT6_EEPKT1_S9_PKS3_PKT3_PKT4_PT5_21rocsparse_index_base_b
; %bb.0:
	s_clause 0x1
	s_load_b64 s[16:17], s[0:1], 0x40
	s_load_b128 s[12:15], s[0:1], 0x8
	v_mov_b32_e32 v1, 0
	s_add_nc_u64 s[2:3], s[0:1], 8
	s_wait_kmcnt 0x0
	s_bitcmp1_b32 s17, 0
	s_cselect_b32 s3, s3, s13
	s_cselect_b32 s2, s2, s12
	flat_load_b64 v[2:3], v1, s[2:3]
	s_wait_loadcnt_dscnt 0x0
	v_cmp_neq_f32_e32 vcc_lo, 0, v2
	v_cmp_neq_f32_e64 s2, 0, v3
	s_or_b32 s2, vcc_lo, s2
	s_delay_alu instid0(SALU_CYCLE_1)
	s_and_saveexec_b32 s3, s2
	s_cbranch_execz .LBB281_18
; %bb.1:
	s_clause 0x3
	s_load_b64 s[2:3], s[0:1], 0x0
	s_load_b32 s17, s[0:1], 0x48
	s_load_b64 s[12:13], s[0:1], 0x38
	s_load_b256 s[4:11], s[0:1], 0x18
	s_wait_xcnt 0x0
	s_bfe_u32 s0, ttmp6, 0x4000c
	s_and_b32 s18, ttmp6, 15
	s_add_co_i32 s0, s0, 1
	s_getreg_b32 s19, hwreg(HW_REG_IB_STS2, 6, 4)
	s_mul_i32 s0, ttmp9, s0
	s_delay_alu instid0(SALU_CYCLE_1)
	s_add_co_i32 s18, s18, s0
	s_wait_kmcnt 0x0
	s_and_b32 s2, s2, 1
	s_lshl_b32 s1, s17, 6
	s_cmp_eq_u32 s19, 0
	s_cselect_b32 s0, ttmp9, s18
	s_cmp_eq_u32 s2, 0
	v_lshl_or_b32 v1, s0, 8, v0
	s_mov_b32 s2, -1
	s_delay_alu instid0(VALU_DEP_1) | instskip(NEXT) | instid1(VALU_DEP_1)
	v_dual_lshrrev_b32 v4, 2, v1 :: v_dual_bitop2_b32 v0, 3, v0 bitop3:0x40
	v_cmp_gt_i32_e64 s0, s3, v4
	s_cbranch_scc0 .LBB281_9
; %bb.2:
	s_and_saveexec_b32 s2, s0
	s_cbranch_execz .LBB281_8
; %bb.3:
	v_dual_mov_b32 v1, 0 :: v_dual_mov_b32 v8, v4
	s_mov_b32 s17, 0
	s_delay_alu instid0(SALU_CYCLE_1) | instskip(NEXT) | instid1(VALU_DEP_1)
	s_mov_b32 s18, s17
	v_sub_nc_u64_e64 v[6:7], v[0:1], s[16:17]
	s_branch .LBB281_5
.LBB281_4:                              ;   in Loop: Header=BB281_5 Depth=1
	s_or_b32 exec_lo, exec_lo, s19
	v_add_nc_u32_e32 v8, s1, v8
	s_delay_alu instid0(VALU_DEP_1) | instskip(SKIP_1) | instid1(SALU_CYCLE_1)
	v_cmp_le_i32_e32 vcc_lo, s3, v8
	s_or_b32 s18, vcc_lo, s18
	s_and_not1_b32 exec_lo, exec_lo, s18
	s_cbranch_execz .LBB281_8
.LBB281_5:                              ; =>This Loop Header: Depth=1
                                        ;     Child Loop BB281_7 Depth 2
	s_clause 0x1
	global_load_b64 v[10:11], v8, s[4:5] scale_offset
	global_load_b64 v[12:13], v8, s[14:15] scale_offset
	s_mov_b32 s19, exec_lo
	s_wait_loadcnt 0x1
	v_sub_nc_u64_e64 v[10:11], v[10:11], s[16:17]
	s_wait_loadcnt 0x0
	v_add_nc_u64_e32 v[12:13], v[12:13], v[6:7]
	s_wait_xcnt 0x0
	s_delay_alu instid0(VALU_DEP_1)
	v_cmpx_lt_i64_e64 v[12:13], v[10:11]
	s_cbranch_execz .LBB281_4
; %bb.6:                                ;   in Loop: Header=BB281_5 Depth=1
	v_ashrrev_i32_e32 v9, 31, v8
	v_lshlrev_b64_e32 v[16:17], 2, v[12:13]
	s_mov_b32 s20, 0
	s_delay_alu instid0(VALU_DEP_2) | instskip(SKIP_3) | instid1(VALU_DEP_1)
	v_lshl_add_u64 v[14:15], v[8:9], 3, s[10:11]
	global_load_b64 v[14:15], v[14:15], off
	s_wait_loadcnt 0x0
	v_mul_f32_e64 v1, v15, -v3
	v_dual_mul_f32 v5, v2, v15 :: v_dual_fmac_f32 v1, v2, v14
	s_delay_alu instid0(VALU_DEP_1)
	v_fmac_f32_e32 v5, v3, v14
	s_wait_xcnt 0x0
	v_add_nc_u64_e32 v[14:15], s[6:7], v[16:17]
	v_add_nc_u64_e32 v[16:17], s[8:9], v[16:17]
	v_mul_f32_e32 v18, 0, v1
	v_mul_f32_e32 v9, 0x80000000, v5
.LBB281_7:                              ;   Parent Loop BB281_5 Depth=1
                                        ; =>  This Inner Loop Header: Depth=2
	global_load_b32 v19, v[14:15], off
	global_load_b32 v22, v[16:17], off
	v_add_nc_u64_e32 v[12:13], 4, v[12:13]
	s_wait_xcnt 0x1
	v_add_nc_u64_e32 v[14:15], 16, v[14:15]
	s_wait_xcnt 0x0
	v_add_nc_u64_e32 v[16:17], 16, v[16:17]
	s_delay_alu instid0(VALU_DEP_3)
	v_cmp_ge_i64_e32 vcc_lo, v[12:13], v[10:11]
	s_or_b32 s20, vcc_lo, s20
	s_wait_loadcnt 0x1
	v_subrev_nc_u32_e32 v20, s16, v19
	s_wait_loadcnt 0x0
	v_fma_f32 v19, v1, v22, v9
	s_delay_alu instid0(VALU_DEP_2) | instskip(NEXT) | instid1(VALU_DEP_1)
	v_dual_fma_f32 v22, v5, v22, v18 :: v_dual_ashrrev_i32 v21, 31, v20
	v_lshl_add_u64 v[20:21], v[20:21], 3, s[12:13]
	global_atomic_add_f32 v[20:21], v19, off scope:SCOPE_DEV
	s_wait_xcnt 0x0
	global_atomic_add_f32 v[20:21], v22, off offset:4 scope:SCOPE_DEV
	s_wait_xcnt 0x0
	s_and_not1_b32 exec_lo, exec_lo, s20
	s_cbranch_execnz .LBB281_7
	s_branch .LBB281_4
.LBB281_8:
	s_or_b32 exec_lo, exec_lo, s2
	s_mov_b32 s2, 0
.LBB281_9:
	s_delay_alu instid0(SALU_CYCLE_1)
	s_and_not1_b32 vcc_lo, exec_lo, s2
	s_cbranch_vccnz .LBB281_18
; %bb.10:
	s_and_b32 exec_lo, exec_lo, s0
	s_cbranch_execz .LBB281_18
; %bb.11:
	v_mov_b32_e32 v1, 0
	s_mov_b32 s17, 0
	s_delay_alu instid0(SALU_CYCLE_1) | instskip(NEXT) | instid1(VALU_DEP_1)
	s_mov_b32 s0, s17
	v_sub_nc_u64_e64 v[0:1], v[0:1], s[16:17]
	s_branch .LBB281_13
.LBB281_12:                             ;   in Loop: Header=BB281_13 Depth=1
	s_or_b32 exec_lo, exec_lo, s2
	v_add_nc_u32_e32 v4, s1, v4
	s_delay_alu instid0(VALU_DEP_1) | instskip(SKIP_1) | instid1(SALU_CYCLE_1)
	v_cmp_le_i32_e32 vcc_lo, s3, v4
	s_or_b32 s0, vcc_lo, s0
	s_and_not1_b32 exec_lo, exec_lo, s0
	s_cbranch_execz .LBB281_18
.LBB281_13:                             ; =>This Loop Header: Depth=1
                                        ;     Child Loop BB281_16 Depth 2
	s_clause 0x1
	global_load_b64 v[6:7], v4, s[4:5] scale_offset
	global_load_b64 v[8:9], v4, s[14:15] scale_offset
	s_mov_b32 s2, exec_lo
	s_wait_loadcnt 0x1
	v_sub_nc_u64_e64 v[6:7], v[6:7], s[16:17]
	s_wait_loadcnt 0x0
	v_add_nc_u64_e32 v[8:9], v[8:9], v[0:1]
	s_wait_xcnt 0x0
	s_delay_alu instid0(VALU_DEP_1)
	v_cmpx_lt_i64_e64 v[8:9], v[6:7]
	s_cbranch_execz .LBB281_12
; %bb.14:                               ;   in Loop: Header=BB281_13 Depth=1
	v_ashrrev_i32_e32 v5, 31, v4
	v_lshlrev_b64_e32 v[12:13], 2, v[8:9]
	s_mov_b32 s18, 0
	s_delay_alu instid0(VALU_DEP_2) | instskip(SKIP_3) | instid1(VALU_DEP_1)
	v_lshl_add_u64 v[10:11], v[4:5], 3, s[10:11]
	global_load_b64 v[10:11], v[10:11], off
	s_wait_loadcnt 0x0
	v_mul_f32_e64 v5, v11, -v3
	v_dual_mul_f32 v16, v2, v11 :: v_dual_fmac_f32 v5, v2, v10
	s_delay_alu instid0(VALU_DEP_1) | instskip(SKIP_3) | instid1(VALU_DEP_3)
	v_fmac_f32_e32 v16, v3, v10
	s_wait_xcnt 0x0
	v_add_nc_u64_e32 v[10:11], s[6:7], v[12:13]
	v_add_nc_u64_e32 v[12:13], s[8:9], v[12:13]
	v_dual_mul_f32 v18, 0, v5 :: v_dual_mul_f32 v17, 0x80000000, v16
	s_branch .LBB281_16
.LBB281_15:                             ;   in Loop: Header=BB281_16 Depth=2
	s_wait_xcnt 0x0
	s_or_b32 exec_lo, exec_lo, s19
	v_add_nc_u64_e32 v[8:9], 4, v[8:9]
	v_add_nc_u64_e32 v[10:11], 16, v[10:11]
	;; [unrolled: 1-line block ×3, first 2 shown]
	s_delay_alu instid0(VALU_DEP_3) | instskip(SKIP_1) | instid1(SALU_CYCLE_1)
	v_cmp_ge_i64_e32 vcc_lo, v[8:9], v[6:7]
	s_or_b32 s18, vcc_lo, s18
	s_and_not1_b32 exec_lo, exec_lo, s18
	s_cbranch_execz .LBB281_12
.LBB281_16:                             ;   Parent Loop BB281_13 Depth=1
                                        ; =>  This Inner Loop Header: Depth=2
	global_load_b32 v14, v[10:11], off
	s_mov_b32 s19, exec_lo
	s_wait_loadcnt 0x0
	v_subrev_nc_u32_e32 v14, s16, v14
	s_wait_xcnt 0x0
	s_delay_alu instid0(VALU_DEP_1)
	v_cmpx_ne_u32_e64 v14, v4
	s_cbranch_execz .LBB281_15
; %bb.17:                               ;   in Loop: Header=BB281_16 Depth=2
	global_load_b32 v19, v[12:13], off
	s_wait_loadcnt 0x0
	v_dual_ashrrev_i32 v15, 31, v14 :: v_dual_fma_f32 v20, v5, v19, v17
	s_delay_alu instid0(VALU_DEP_1)
	v_lshl_add_u64 v[14:15], v[14:15], 3, s[12:13]
	v_fma_f32 v19, v16, v19, v18
	s_wait_xcnt 0x0
	global_atomic_add_f32 v[14:15], v20, off scope:SCOPE_DEV
	s_wait_xcnt 0x0
	global_atomic_add_f32 v[14:15], v19, off offset:4 scope:SCOPE_DEV
	s_branch .LBB281_15
.LBB281_18:
	s_endpgm
	.section	.rodata,"a",@progbits
	.p2align	6, 0x0
	.amdhsa_kernel _ZN9rocsparseL21csrmvt_general_kernelILj256ELj4Elif21rocsparse_complex_numIfES2_S2_EEvbbT2_NS_24const_host_device_scalarIT6_EEPKT1_S9_PKS3_PKT3_PKT4_PT5_21rocsparse_index_base_b
		.amdhsa_group_segment_fixed_size 0
		.amdhsa_private_segment_fixed_size 0
		.amdhsa_kernarg_size 328
		.amdhsa_user_sgpr_count 2
		.amdhsa_user_sgpr_dispatch_ptr 0
		.amdhsa_user_sgpr_queue_ptr 0
		.amdhsa_user_sgpr_kernarg_segment_ptr 1
		.amdhsa_user_sgpr_dispatch_id 0
		.amdhsa_user_sgpr_kernarg_preload_length 0
		.amdhsa_user_sgpr_kernarg_preload_offset 0
		.amdhsa_user_sgpr_private_segment_size 0
		.amdhsa_wavefront_size32 1
		.amdhsa_uses_dynamic_stack 0
		.amdhsa_enable_private_segment 0
		.amdhsa_system_sgpr_workgroup_id_x 1
		.amdhsa_system_sgpr_workgroup_id_y 0
		.amdhsa_system_sgpr_workgroup_id_z 0
		.amdhsa_system_sgpr_workgroup_info 0
		.amdhsa_system_vgpr_workitem_id 0
		.amdhsa_next_free_vgpr 23
		.amdhsa_next_free_sgpr 21
		.amdhsa_named_barrier_count 0
		.amdhsa_reserve_vcc 1
		.amdhsa_float_round_mode_32 0
		.amdhsa_float_round_mode_16_64 0
		.amdhsa_float_denorm_mode_32 3
		.amdhsa_float_denorm_mode_16_64 3
		.amdhsa_fp16_overflow 0
		.amdhsa_memory_ordered 1
		.amdhsa_forward_progress 1
		.amdhsa_inst_pref_size 8
		.amdhsa_round_robin_scheduling 0
		.amdhsa_exception_fp_ieee_invalid_op 0
		.amdhsa_exception_fp_denorm_src 0
		.amdhsa_exception_fp_ieee_div_zero 0
		.amdhsa_exception_fp_ieee_overflow 0
		.amdhsa_exception_fp_ieee_underflow 0
		.amdhsa_exception_fp_ieee_inexact 0
		.amdhsa_exception_int_div_zero 0
	.end_amdhsa_kernel
	.section	.text._ZN9rocsparseL21csrmvt_general_kernelILj256ELj4Elif21rocsparse_complex_numIfES2_S2_EEvbbT2_NS_24const_host_device_scalarIT6_EEPKT1_S9_PKS3_PKT3_PKT4_PT5_21rocsparse_index_base_b,"axG",@progbits,_ZN9rocsparseL21csrmvt_general_kernelILj256ELj4Elif21rocsparse_complex_numIfES2_S2_EEvbbT2_NS_24const_host_device_scalarIT6_EEPKT1_S9_PKS3_PKT3_PKT4_PT5_21rocsparse_index_base_b,comdat
.Lfunc_end281:
	.size	_ZN9rocsparseL21csrmvt_general_kernelILj256ELj4Elif21rocsparse_complex_numIfES2_S2_EEvbbT2_NS_24const_host_device_scalarIT6_EEPKT1_S9_PKS3_PKT3_PKT4_PT5_21rocsparse_index_base_b, .Lfunc_end281-_ZN9rocsparseL21csrmvt_general_kernelILj256ELj4Elif21rocsparse_complex_numIfES2_S2_EEvbbT2_NS_24const_host_device_scalarIT6_EEPKT1_S9_PKS3_PKT3_PKT4_PT5_21rocsparse_index_base_b
                                        ; -- End function
	.set _ZN9rocsparseL21csrmvt_general_kernelILj256ELj4Elif21rocsparse_complex_numIfES2_S2_EEvbbT2_NS_24const_host_device_scalarIT6_EEPKT1_S9_PKS3_PKT3_PKT4_PT5_21rocsparse_index_base_b.num_vgpr, 23
	.set _ZN9rocsparseL21csrmvt_general_kernelILj256ELj4Elif21rocsparse_complex_numIfES2_S2_EEvbbT2_NS_24const_host_device_scalarIT6_EEPKT1_S9_PKS3_PKT3_PKT4_PT5_21rocsparse_index_base_b.num_agpr, 0
	.set _ZN9rocsparseL21csrmvt_general_kernelILj256ELj4Elif21rocsparse_complex_numIfES2_S2_EEvbbT2_NS_24const_host_device_scalarIT6_EEPKT1_S9_PKS3_PKT3_PKT4_PT5_21rocsparse_index_base_b.numbered_sgpr, 21
	.set _ZN9rocsparseL21csrmvt_general_kernelILj256ELj4Elif21rocsparse_complex_numIfES2_S2_EEvbbT2_NS_24const_host_device_scalarIT6_EEPKT1_S9_PKS3_PKT3_PKT4_PT5_21rocsparse_index_base_b.num_named_barrier, 0
	.set _ZN9rocsparseL21csrmvt_general_kernelILj256ELj4Elif21rocsparse_complex_numIfES2_S2_EEvbbT2_NS_24const_host_device_scalarIT6_EEPKT1_S9_PKS3_PKT3_PKT4_PT5_21rocsparse_index_base_b.private_seg_size, 0
	.set _ZN9rocsparseL21csrmvt_general_kernelILj256ELj4Elif21rocsparse_complex_numIfES2_S2_EEvbbT2_NS_24const_host_device_scalarIT6_EEPKT1_S9_PKS3_PKT3_PKT4_PT5_21rocsparse_index_base_b.uses_vcc, 1
	.set _ZN9rocsparseL21csrmvt_general_kernelILj256ELj4Elif21rocsparse_complex_numIfES2_S2_EEvbbT2_NS_24const_host_device_scalarIT6_EEPKT1_S9_PKS3_PKT3_PKT4_PT5_21rocsparse_index_base_b.uses_flat_scratch, 0
	.set _ZN9rocsparseL21csrmvt_general_kernelILj256ELj4Elif21rocsparse_complex_numIfES2_S2_EEvbbT2_NS_24const_host_device_scalarIT6_EEPKT1_S9_PKS3_PKT3_PKT4_PT5_21rocsparse_index_base_b.has_dyn_sized_stack, 0
	.set _ZN9rocsparseL21csrmvt_general_kernelILj256ELj4Elif21rocsparse_complex_numIfES2_S2_EEvbbT2_NS_24const_host_device_scalarIT6_EEPKT1_S9_PKS3_PKT3_PKT4_PT5_21rocsparse_index_base_b.has_recursion, 0
	.set _ZN9rocsparseL21csrmvt_general_kernelILj256ELj4Elif21rocsparse_complex_numIfES2_S2_EEvbbT2_NS_24const_host_device_scalarIT6_EEPKT1_S9_PKS3_PKT3_PKT4_PT5_21rocsparse_index_base_b.has_indirect_call, 0
	.section	.AMDGPU.csdata,"",@progbits
; Kernel info:
; codeLenInByte = 1020
; TotalNumSgprs: 23
; NumVgprs: 23
; ScratchSize: 0
; MemoryBound: 0
; FloatMode: 240
; IeeeMode: 1
; LDSByteSize: 0 bytes/workgroup (compile time only)
; SGPRBlocks: 0
; VGPRBlocks: 1
; NumSGPRsForWavesPerEU: 23
; NumVGPRsForWavesPerEU: 23
; NamedBarCnt: 0
; Occupancy: 16
; WaveLimiterHint : 1
; COMPUTE_PGM_RSRC2:SCRATCH_EN: 0
; COMPUTE_PGM_RSRC2:USER_SGPR: 2
; COMPUTE_PGM_RSRC2:TRAP_HANDLER: 0
; COMPUTE_PGM_RSRC2:TGID_X_EN: 1
; COMPUTE_PGM_RSRC2:TGID_Y_EN: 0
; COMPUTE_PGM_RSRC2:TGID_Z_EN: 0
; COMPUTE_PGM_RSRC2:TIDIG_COMP_CNT: 0
	.section	.text._ZN9rocsparseL21csrmvt_general_kernelILj256ELj8Elif21rocsparse_complex_numIfES2_S2_EEvbbT2_NS_24const_host_device_scalarIT6_EEPKT1_S9_PKS3_PKT3_PKT4_PT5_21rocsparse_index_base_b,"axG",@progbits,_ZN9rocsparseL21csrmvt_general_kernelILj256ELj8Elif21rocsparse_complex_numIfES2_S2_EEvbbT2_NS_24const_host_device_scalarIT6_EEPKT1_S9_PKS3_PKT3_PKT4_PT5_21rocsparse_index_base_b,comdat
	.globl	_ZN9rocsparseL21csrmvt_general_kernelILj256ELj8Elif21rocsparse_complex_numIfES2_S2_EEvbbT2_NS_24const_host_device_scalarIT6_EEPKT1_S9_PKS3_PKT3_PKT4_PT5_21rocsparse_index_base_b ; -- Begin function _ZN9rocsparseL21csrmvt_general_kernelILj256ELj8Elif21rocsparse_complex_numIfES2_S2_EEvbbT2_NS_24const_host_device_scalarIT6_EEPKT1_S9_PKS3_PKT3_PKT4_PT5_21rocsparse_index_base_b
	.p2align	8
	.type	_ZN9rocsparseL21csrmvt_general_kernelILj256ELj8Elif21rocsparse_complex_numIfES2_S2_EEvbbT2_NS_24const_host_device_scalarIT6_EEPKT1_S9_PKS3_PKT3_PKT4_PT5_21rocsparse_index_base_b,@function
_ZN9rocsparseL21csrmvt_general_kernelILj256ELj8Elif21rocsparse_complex_numIfES2_S2_EEvbbT2_NS_24const_host_device_scalarIT6_EEPKT1_S9_PKS3_PKT3_PKT4_PT5_21rocsparse_index_base_b: ; @_ZN9rocsparseL21csrmvt_general_kernelILj256ELj8Elif21rocsparse_complex_numIfES2_S2_EEvbbT2_NS_24const_host_device_scalarIT6_EEPKT1_S9_PKS3_PKT3_PKT4_PT5_21rocsparse_index_base_b
; %bb.0:
	s_clause 0x1
	s_load_b64 s[16:17], s[0:1], 0x40
	s_load_b128 s[12:15], s[0:1], 0x8
	v_mov_b32_e32 v1, 0
	s_add_nc_u64 s[2:3], s[0:1], 8
	s_wait_kmcnt 0x0
	s_bitcmp1_b32 s17, 0
	s_cselect_b32 s3, s3, s13
	s_cselect_b32 s2, s2, s12
	flat_load_b64 v[2:3], v1, s[2:3]
	s_wait_loadcnt_dscnt 0x0
	v_cmp_neq_f32_e32 vcc_lo, 0, v2
	v_cmp_neq_f32_e64 s2, 0, v3
	s_or_b32 s2, vcc_lo, s2
	s_delay_alu instid0(SALU_CYCLE_1)
	s_and_saveexec_b32 s3, s2
	s_cbranch_execz .LBB282_18
; %bb.1:
	s_clause 0x3
	s_load_b64 s[2:3], s[0:1], 0x0
	s_load_b32 s17, s[0:1], 0x48
	s_load_b64 s[12:13], s[0:1], 0x38
	s_load_b256 s[4:11], s[0:1], 0x18
	s_wait_xcnt 0x0
	s_bfe_u32 s0, ttmp6, 0x4000c
	s_and_b32 s18, ttmp6, 15
	s_add_co_i32 s0, s0, 1
	s_getreg_b32 s19, hwreg(HW_REG_IB_STS2, 6, 4)
	s_mul_i32 s0, ttmp9, s0
	s_delay_alu instid0(SALU_CYCLE_1)
	s_add_co_i32 s18, s18, s0
	s_wait_kmcnt 0x0
	s_and_b32 s2, s2, 1
	s_lshl_b32 s1, s17, 5
	s_cmp_eq_u32 s19, 0
	s_cselect_b32 s0, ttmp9, s18
	s_cmp_eq_u32 s2, 0
	v_lshl_or_b32 v1, s0, 8, v0
	s_mov_b32 s2, -1
	s_delay_alu instid0(VALU_DEP_1) | instskip(NEXT) | instid1(VALU_DEP_1)
	v_dual_lshrrev_b32 v4, 3, v1 :: v_dual_bitop2_b32 v0, 7, v0 bitop3:0x40
	v_cmp_gt_i32_e64 s0, s3, v4
	s_cbranch_scc0 .LBB282_9
; %bb.2:
	s_and_saveexec_b32 s2, s0
	s_cbranch_execz .LBB282_8
; %bb.3:
	v_dual_mov_b32 v1, 0 :: v_dual_mov_b32 v8, v4
	s_mov_b32 s17, 0
	s_delay_alu instid0(SALU_CYCLE_1) | instskip(NEXT) | instid1(VALU_DEP_1)
	s_mov_b32 s18, s17
	v_sub_nc_u64_e64 v[6:7], v[0:1], s[16:17]
	s_branch .LBB282_5
.LBB282_4:                              ;   in Loop: Header=BB282_5 Depth=1
	s_or_b32 exec_lo, exec_lo, s19
	v_add_nc_u32_e32 v8, s1, v8
	s_delay_alu instid0(VALU_DEP_1) | instskip(SKIP_1) | instid1(SALU_CYCLE_1)
	v_cmp_le_i32_e32 vcc_lo, s3, v8
	s_or_b32 s18, vcc_lo, s18
	s_and_not1_b32 exec_lo, exec_lo, s18
	s_cbranch_execz .LBB282_8
.LBB282_5:                              ; =>This Loop Header: Depth=1
                                        ;     Child Loop BB282_7 Depth 2
	s_clause 0x1
	global_load_b64 v[10:11], v8, s[4:5] scale_offset
	global_load_b64 v[12:13], v8, s[14:15] scale_offset
	s_mov_b32 s19, exec_lo
	s_wait_loadcnt 0x1
	v_sub_nc_u64_e64 v[10:11], v[10:11], s[16:17]
	s_wait_loadcnt 0x0
	v_add_nc_u64_e32 v[12:13], v[12:13], v[6:7]
	s_wait_xcnt 0x0
	s_delay_alu instid0(VALU_DEP_1)
	v_cmpx_lt_i64_e64 v[12:13], v[10:11]
	s_cbranch_execz .LBB282_4
; %bb.6:                                ;   in Loop: Header=BB282_5 Depth=1
	v_ashrrev_i32_e32 v9, 31, v8
	v_lshlrev_b64_e32 v[16:17], 2, v[12:13]
	s_mov_b32 s20, 0
	s_delay_alu instid0(VALU_DEP_2) | instskip(SKIP_3) | instid1(VALU_DEP_1)
	v_lshl_add_u64 v[14:15], v[8:9], 3, s[10:11]
	global_load_b64 v[14:15], v[14:15], off
	s_wait_loadcnt 0x0
	v_mul_f32_e64 v1, v15, -v3
	v_dual_mul_f32 v5, v2, v15 :: v_dual_fmac_f32 v1, v2, v14
	s_delay_alu instid0(VALU_DEP_1)
	v_fmac_f32_e32 v5, v3, v14
	s_wait_xcnt 0x0
	v_add_nc_u64_e32 v[14:15], s[6:7], v[16:17]
	v_add_nc_u64_e32 v[16:17], s[8:9], v[16:17]
	v_mul_f32_e32 v18, 0, v1
	v_mul_f32_e32 v9, 0x80000000, v5
.LBB282_7:                              ;   Parent Loop BB282_5 Depth=1
                                        ; =>  This Inner Loop Header: Depth=2
	global_load_b32 v19, v[14:15], off
	global_load_b32 v22, v[16:17], off
	v_add_nc_u64_e32 v[12:13], 8, v[12:13]
	s_wait_xcnt 0x1
	v_add_nc_u64_e32 v[14:15], 32, v[14:15]
	s_wait_xcnt 0x0
	v_add_nc_u64_e32 v[16:17], 32, v[16:17]
	s_delay_alu instid0(VALU_DEP_3)
	v_cmp_ge_i64_e32 vcc_lo, v[12:13], v[10:11]
	s_or_b32 s20, vcc_lo, s20
	s_wait_loadcnt 0x1
	v_subrev_nc_u32_e32 v20, s16, v19
	s_wait_loadcnt 0x0
	v_fma_f32 v19, v1, v22, v9
	s_delay_alu instid0(VALU_DEP_2) | instskip(NEXT) | instid1(VALU_DEP_1)
	v_dual_fma_f32 v22, v5, v22, v18 :: v_dual_ashrrev_i32 v21, 31, v20
	v_lshl_add_u64 v[20:21], v[20:21], 3, s[12:13]
	global_atomic_add_f32 v[20:21], v19, off scope:SCOPE_DEV
	s_wait_xcnt 0x0
	global_atomic_add_f32 v[20:21], v22, off offset:4 scope:SCOPE_DEV
	s_wait_xcnt 0x0
	s_and_not1_b32 exec_lo, exec_lo, s20
	s_cbranch_execnz .LBB282_7
	s_branch .LBB282_4
.LBB282_8:
	s_or_b32 exec_lo, exec_lo, s2
	s_mov_b32 s2, 0
.LBB282_9:
	s_delay_alu instid0(SALU_CYCLE_1)
	s_and_not1_b32 vcc_lo, exec_lo, s2
	s_cbranch_vccnz .LBB282_18
; %bb.10:
	s_and_b32 exec_lo, exec_lo, s0
	s_cbranch_execz .LBB282_18
; %bb.11:
	v_mov_b32_e32 v1, 0
	s_mov_b32 s17, 0
	s_delay_alu instid0(SALU_CYCLE_1) | instskip(NEXT) | instid1(VALU_DEP_1)
	s_mov_b32 s0, s17
	v_sub_nc_u64_e64 v[0:1], v[0:1], s[16:17]
	s_branch .LBB282_13
.LBB282_12:                             ;   in Loop: Header=BB282_13 Depth=1
	s_or_b32 exec_lo, exec_lo, s2
	v_add_nc_u32_e32 v4, s1, v4
	s_delay_alu instid0(VALU_DEP_1) | instskip(SKIP_1) | instid1(SALU_CYCLE_1)
	v_cmp_le_i32_e32 vcc_lo, s3, v4
	s_or_b32 s0, vcc_lo, s0
	s_and_not1_b32 exec_lo, exec_lo, s0
	s_cbranch_execz .LBB282_18
.LBB282_13:                             ; =>This Loop Header: Depth=1
                                        ;     Child Loop BB282_16 Depth 2
	s_clause 0x1
	global_load_b64 v[6:7], v4, s[4:5] scale_offset
	global_load_b64 v[8:9], v4, s[14:15] scale_offset
	s_mov_b32 s2, exec_lo
	s_wait_loadcnt 0x1
	v_sub_nc_u64_e64 v[6:7], v[6:7], s[16:17]
	s_wait_loadcnt 0x0
	v_add_nc_u64_e32 v[8:9], v[8:9], v[0:1]
	s_wait_xcnt 0x0
	s_delay_alu instid0(VALU_DEP_1)
	v_cmpx_lt_i64_e64 v[8:9], v[6:7]
	s_cbranch_execz .LBB282_12
; %bb.14:                               ;   in Loop: Header=BB282_13 Depth=1
	v_ashrrev_i32_e32 v5, 31, v4
	v_lshlrev_b64_e32 v[12:13], 2, v[8:9]
	s_mov_b32 s18, 0
	s_delay_alu instid0(VALU_DEP_2) | instskip(SKIP_3) | instid1(VALU_DEP_1)
	v_lshl_add_u64 v[10:11], v[4:5], 3, s[10:11]
	global_load_b64 v[10:11], v[10:11], off
	s_wait_loadcnt 0x0
	v_mul_f32_e64 v5, v11, -v3
	v_dual_mul_f32 v16, v2, v11 :: v_dual_fmac_f32 v5, v2, v10
	s_delay_alu instid0(VALU_DEP_1) | instskip(SKIP_3) | instid1(VALU_DEP_3)
	v_fmac_f32_e32 v16, v3, v10
	s_wait_xcnt 0x0
	v_add_nc_u64_e32 v[10:11], s[6:7], v[12:13]
	v_add_nc_u64_e32 v[12:13], s[8:9], v[12:13]
	v_dual_mul_f32 v18, 0, v5 :: v_dual_mul_f32 v17, 0x80000000, v16
	s_branch .LBB282_16
.LBB282_15:                             ;   in Loop: Header=BB282_16 Depth=2
	s_wait_xcnt 0x0
	s_or_b32 exec_lo, exec_lo, s19
	v_add_nc_u64_e32 v[8:9], 8, v[8:9]
	v_add_nc_u64_e32 v[10:11], 32, v[10:11]
	;; [unrolled: 1-line block ×3, first 2 shown]
	s_delay_alu instid0(VALU_DEP_3) | instskip(SKIP_1) | instid1(SALU_CYCLE_1)
	v_cmp_ge_i64_e32 vcc_lo, v[8:9], v[6:7]
	s_or_b32 s18, vcc_lo, s18
	s_and_not1_b32 exec_lo, exec_lo, s18
	s_cbranch_execz .LBB282_12
.LBB282_16:                             ;   Parent Loop BB282_13 Depth=1
                                        ; =>  This Inner Loop Header: Depth=2
	global_load_b32 v14, v[10:11], off
	s_mov_b32 s19, exec_lo
	s_wait_loadcnt 0x0
	v_subrev_nc_u32_e32 v14, s16, v14
	s_wait_xcnt 0x0
	s_delay_alu instid0(VALU_DEP_1)
	v_cmpx_ne_u32_e64 v14, v4
	s_cbranch_execz .LBB282_15
; %bb.17:                               ;   in Loop: Header=BB282_16 Depth=2
	global_load_b32 v19, v[12:13], off
	s_wait_loadcnt 0x0
	v_dual_ashrrev_i32 v15, 31, v14 :: v_dual_fma_f32 v20, v5, v19, v17
	s_delay_alu instid0(VALU_DEP_1)
	v_lshl_add_u64 v[14:15], v[14:15], 3, s[12:13]
	v_fma_f32 v19, v16, v19, v18
	s_wait_xcnt 0x0
	global_atomic_add_f32 v[14:15], v20, off scope:SCOPE_DEV
	s_wait_xcnt 0x0
	global_atomic_add_f32 v[14:15], v19, off offset:4 scope:SCOPE_DEV
	s_branch .LBB282_15
.LBB282_18:
	s_endpgm
	.section	.rodata,"a",@progbits
	.p2align	6, 0x0
	.amdhsa_kernel _ZN9rocsparseL21csrmvt_general_kernelILj256ELj8Elif21rocsparse_complex_numIfES2_S2_EEvbbT2_NS_24const_host_device_scalarIT6_EEPKT1_S9_PKS3_PKT3_PKT4_PT5_21rocsparse_index_base_b
		.amdhsa_group_segment_fixed_size 0
		.amdhsa_private_segment_fixed_size 0
		.amdhsa_kernarg_size 328
		.amdhsa_user_sgpr_count 2
		.amdhsa_user_sgpr_dispatch_ptr 0
		.amdhsa_user_sgpr_queue_ptr 0
		.amdhsa_user_sgpr_kernarg_segment_ptr 1
		.amdhsa_user_sgpr_dispatch_id 0
		.amdhsa_user_sgpr_kernarg_preload_length 0
		.amdhsa_user_sgpr_kernarg_preload_offset 0
		.amdhsa_user_sgpr_private_segment_size 0
		.amdhsa_wavefront_size32 1
		.amdhsa_uses_dynamic_stack 0
		.amdhsa_enable_private_segment 0
		.amdhsa_system_sgpr_workgroup_id_x 1
		.amdhsa_system_sgpr_workgroup_id_y 0
		.amdhsa_system_sgpr_workgroup_id_z 0
		.amdhsa_system_sgpr_workgroup_info 0
		.amdhsa_system_vgpr_workitem_id 0
		.amdhsa_next_free_vgpr 23
		.amdhsa_next_free_sgpr 21
		.amdhsa_named_barrier_count 0
		.amdhsa_reserve_vcc 1
		.amdhsa_float_round_mode_32 0
		.amdhsa_float_round_mode_16_64 0
		.amdhsa_float_denorm_mode_32 3
		.amdhsa_float_denorm_mode_16_64 3
		.amdhsa_fp16_overflow 0
		.amdhsa_memory_ordered 1
		.amdhsa_forward_progress 1
		.amdhsa_inst_pref_size 8
		.amdhsa_round_robin_scheduling 0
		.amdhsa_exception_fp_ieee_invalid_op 0
		.amdhsa_exception_fp_denorm_src 0
		.amdhsa_exception_fp_ieee_div_zero 0
		.amdhsa_exception_fp_ieee_overflow 0
		.amdhsa_exception_fp_ieee_underflow 0
		.amdhsa_exception_fp_ieee_inexact 0
		.amdhsa_exception_int_div_zero 0
	.end_amdhsa_kernel
	.section	.text._ZN9rocsparseL21csrmvt_general_kernelILj256ELj8Elif21rocsparse_complex_numIfES2_S2_EEvbbT2_NS_24const_host_device_scalarIT6_EEPKT1_S9_PKS3_PKT3_PKT4_PT5_21rocsparse_index_base_b,"axG",@progbits,_ZN9rocsparseL21csrmvt_general_kernelILj256ELj8Elif21rocsparse_complex_numIfES2_S2_EEvbbT2_NS_24const_host_device_scalarIT6_EEPKT1_S9_PKS3_PKT3_PKT4_PT5_21rocsparse_index_base_b,comdat
.Lfunc_end282:
	.size	_ZN9rocsparseL21csrmvt_general_kernelILj256ELj8Elif21rocsparse_complex_numIfES2_S2_EEvbbT2_NS_24const_host_device_scalarIT6_EEPKT1_S9_PKS3_PKT3_PKT4_PT5_21rocsparse_index_base_b, .Lfunc_end282-_ZN9rocsparseL21csrmvt_general_kernelILj256ELj8Elif21rocsparse_complex_numIfES2_S2_EEvbbT2_NS_24const_host_device_scalarIT6_EEPKT1_S9_PKS3_PKT3_PKT4_PT5_21rocsparse_index_base_b
                                        ; -- End function
	.set _ZN9rocsparseL21csrmvt_general_kernelILj256ELj8Elif21rocsparse_complex_numIfES2_S2_EEvbbT2_NS_24const_host_device_scalarIT6_EEPKT1_S9_PKS3_PKT3_PKT4_PT5_21rocsparse_index_base_b.num_vgpr, 23
	.set _ZN9rocsparseL21csrmvt_general_kernelILj256ELj8Elif21rocsparse_complex_numIfES2_S2_EEvbbT2_NS_24const_host_device_scalarIT6_EEPKT1_S9_PKS3_PKT3_PKT4_PT5_21rocsparse_index_base_b.num_agpr, 0
	.set _ZN9rocsparseL21csrmvt_general_kernelILj256ELj8Elif21rocsparse_complex_numIfES2_S2_EEvbbT2_NS_24const_host_device_scalarIT6_EEPKT1_S9_PKS3_PKT3_PKT4_PT5_21rocsparse_index_base_b.numbered_sgpr, 21
	.set _ZN9rocsparseL21csrmvt_general_kernelILj256ELj8Elif21rocsparse_complex_numIfES2_S2_EEvbbT2_NS_24const_host_device_scalarIT6_EEPKT1_S9_PKS3_PKT3_PKT4_PT5_21rocsparse_index_base_b.num_named_barrier, 0
	.set _ZN9rocsparseL21csrmvt_general_kernelILj256ELj8Elif21rocsparse_complex_numIfES2_S2_EEvbbT2_NS_24const_host_device_scalarIT6_EEPKT1_S9_PKS3_PKT3_PKT4_PT5_21rocsparse_index_base_b.private_seg_size, 0
	.set _ZN9rocsparseL21csrmvt_general_kernelILj256ELj8Elif21rocsparse_complex_numIfES2_S2_EEvbbT2_NS_24const_host_device_scalarIT6_EEPKT1_S9_PKS3_PKT3_PKT4_PT5_21rocsparse_index_base_b.uses_vcc, 1
	.set _ZN9rocsparseL21csrmvt_general_kernelILj256ELj8Elif21rocsparse_complex_numIfES2_S2_EEvbbT2_NS_24const_host_device_scalarIT6_EEPKT1_S9_PKS3_PKT3_PKT4_PT5_21rocsparse_index_base_b.uses_flat_scratch, 0
	.set _ZN9rocsparseL21csrmvt_general_kernelILj256ELj8Elif21rocsparse_complex_numIfES2_S2_EEvbbT2_NS_24const_host_device_scalarIT6_EEPKT1_S9_PKS3_PKT3_PKT4_PT5_21rocsparse_index_base_b.has_dyn_sized_stack, 0
	.set _ZN9rocsparseL21csrmvt_general_kernelILj256ELj8Elif21rocsparse_complex_numIfES2_S2_EEvbbT2_NS_24const_host_device_scalarIT6_EEPKT1_S9_PKS3_PKT3_PKT4_PT5_21rocsparse_index_base_b.has_recursion, 0
	.set _ZN9rocsparseL21csrmvt_general_kernelILj256ELj8Elif21rocsparse_complex_numIfES2_S2_EEvbbT2_NS_24const_host_device_scalarIT6_EEPKT1_S9_PKS3_PKT3_PKT4_PT5_21rocsparse_index_base_b.has_indirect_call, 0
	.section	.AMDGPU.csdata,"",@progbits
; Kernel info:
; codeLenInByte = 1020
; TotalNumSgprs: 23
; NumVgprs: 23
; ScratchSize: 0
; MemoryBound: 0
; FloatMode: 240
; IeeeMode: 1
; LDSByteSize: 0 bytes/workgroup (compile time only)
; SGPRBlocks: 0
; VGPRBlocks: 1
; NumSGPRsForWavesPerEU: 23
; NumVGPRsForWavesPerEU: 23
; NamedBarCnt: 0
; Occupancy: 16
; WaveLimiterHint : 1
; COMPUTE_PGM_RSRC2:SCRATCH_EN: 0
; COMPUTE_PGM_RSRC2:USER_SGPR: 2
; COMPUTE_PGM_RSRC2:TRAP_HANDLER: 0
; COMPUTE_PGM_RSRC2:TGID_X_EN: 1
; COMPUTE_PGM_RSRC2:TGID_Y_EN: 0
; COMPUTE_PGM_RSRC2:TGID_Z_EN: 0
; COMPUTE_PGM_RSRC2:TIDIG_COMP_CNT: 0
	.section	.text._ZN9rocsparseL21csrmvt_general_kernelILj256ELj16Elif21rocsparse_complex_numIfES2_S2_EEvbbT2_NS_24const_host_device_scalarIT6_EEPKT1_S9_PKS3_PKT3_PKT4_PT5_21rocsparse_index_base_b,"axG",@progbits,_ZN9rocsparseL21csrmvt_general_kernelILj256ELj16Elif21rocsparse_complex_numIfES2_S2_EEvbbT2_NS_24const_host_device_scalarIT6_EEPKT1_S9_PKS3_PKT3_PKT4_PT5_21rocsparse_index_base_b,comdat
	.globl	_ZN9rocsparseL21csrmvt_general_kernelILj256ELj16Elif21rocsparse_complex_numIfES2_S2_EEvbbT2_NS_24const_host_device_scalarIT6_EEPKT1_S9_PKS3_PKT3_PKT4_PT5_21rocsparse_index_base_b ; -- Begin function _ZN9rocsparseL21csrmvt_general_kernelILj256ELj16Elif21rocsparse_complex_numIfES2_S2_EEvbbT2_NS_24const_host_device_scalarIT6_EEPKT1_S9_PKS3_PKT3_PKT4_PT5_21rocsparse_index_base_b
	.p2align	8
	.type	_ZN9rocsparseL21csrmvt_general_kernelILj256ELj16Elif21rocsparse_complex_numIfES2_S2_EEvbbT2_NS_24const_host_device_scalarIT6_EEPKT1_S9_PKS3_PKT3_PKT4_PT5_21rocsparse_index_base_b,@function
_ZN9rocsparseL21csrmvt_general_kernelILj256ELj16Elif21rocsparse_complex_numIfES2_S2_EEvbbT2_NS_24const_host_device_scalarIT6_EEPKT1_S9_PKS3_PKT3_PKT4_PT5_21rocsparse_index_base_b: ; @_ZN9rocsparseL21csrmvt_general_kernelILj256ELj16Elif21rocsparse_complex_numIfES2_S2_EEvbbT2_NS_24const_host_device_scalarIT6_EEPKT1_S9_PKS3_PKT3_PKT4_PT5_21rocsparse_index_base_b
; %bb.0:
	s_clause 0x1
	s_load_b64 s[16:17], s[0:1], 0x40
	s_load_b128 s[12:15], s[0:1], 0x8
	v_mov_b32_e32 v1, 0
	s_add_nc_u64 s[2:3], s[0:1], 8
	s_wait_kmcnt 0x0
	s_bitcmp1_b32 s17, 0
	s_cselect_b32 s3, s3, s13
	s_cselect_b32 s2, s2, s12
	flat_load_b64 v[2:3], v1, s[2:3]
	s_wait_loadcnt_dscnt 0x0
	v_cmp_neq_f32_e32 vcc_lo, 0, v2
	v_cmp_neq_f32_e64 s2, 0, v3
	s_or_b32 s2, vcc_lo, s2
	s_delay_alu instid0(SALU_CYCLE_1)
	s_and_saveexec_b32 s3, s2
	s_cbranch_execz .LBB283_18
; %bb.1:
	s_clause 0x3
	s_load_b64 s[2:3], s[0:1], 0x0
	s_load_b32 s17, s[0:1], 0x48
	s_load_b64 s[12:13], s[0:1], 0x38
	s_load_b256 s[4:11], s[0:1], 0x18
	s_wait_xcnt 0x0
	s_bfe_u32 s0, ttmp6, 0x4000c
	s_and_b32 s18, ttmp6, 15
	s_add_co_i32 s0, s0, 1
	s_getreg_b32 s19, hwreg(HW_REG_IB_STS2, 6, 4)
	s_mul_i32 s0, ttmp9, s0
	s_delay_alu instid0(SALU_CYCLE_1)
	s_add_co_i32 s18, s18, s0
	s_wait_kmcnt 0x0
	s_and_b32 s2, s2, 1
	s_lshl_b32 s1, s17, 4
	s_cmp_eq_u32 s19, 0
	s_cselect_b32 s0, ttmp9, s18
	s_cmp_eq_u32 s2, 0
	v_lshl_or_b32 v1, s0, 8, v0
	s_mov_b32 s2, -1
	s_delay_alu instid0(VALU_DEP_1) | instskip(NEXT) | instid1(VALU_DEP_1)
	v_dual_lshrrev_b32 v4, 4, v1 :: v_dual_bitop2_b32 v0, 15, v0 bitop3:0x40
	v_cmp_gt_i32_e64 s0, s3, v4
	s_cbranch_scc0 .LBB283_9
; %bb.2:
	s_and_saveexec_b32 s2, s0
	s_cbranch_execz .LBB283_8
; %bb.3:
	v_dual_mov_b32 v1, 0 :: v_dual_mov_b32 v8, v4
	s_mov_b32 s17, 0
	s_delay_alu instid0(SALU_CYCLE_1) | instskip(NEXT) | instid1(VALU_DEP_1)
	s_mov_b32 s18, s17
	v_sub_nc_u64_e64 v[6:7], v[0:1], s[16:17]
	s_branch .LBB283_5
.LBB283_4:                              ;   in Loop: Header=BB283_5 Depth=1
	s_or_b32 exec_lo, exec_lo, s19
	v_add_nc_u32_e32 v8, s1, v8
	s_delay_alu instid0(VALU_DEP_1) | instskip(SKIP_1) | instid1(SALU_CYCLE_1)
	v_cmp_le_i32_e32 vcc_lo, s3, v8
	s_or_b32 s18, vcc_lo, s18
	s_and_not1_b32 exec_lo, exec_lo, s18
	s_cbranch_execz .LBB283_8
.LBB283_5:                              ; =>This Loop Header: Depth=1
                                        ;     Child Loop BB283_7 Depth 2
	s_clause 0x1
	global_load_b64 v[10:11], v8, s[4:5] scale_offset
	global_load_b64 v[12:13], v8, s[14:15] scale_offset
	s_mov_b32 s19, exec_lo
	s_wait_loadcnt 0x1
	v_sub_nc_u64_e64 v[10:11], v[10:11], s[16:17]
	s_wait_loadcnt 0x0
	v_add_nc_u64_e32 v[12:13], v[12:13], v[6:7]
	s_wait_xcnt 0x0
	s_delay_alu instid0(VALU_DEP_1)
	v_cmpx_lt_i64_e64 v[12:13], v[10:11]
	s_cbranch_execz .LBB283_4
; %bb.6:                                ;   in Loop: Header=BB283_5 Depth=1
	v_ashrrev_i32_e32 v9, 31, v8
	v_lshlrev_b64_e32 v[16:17], 2, v[12:13]
	s_mov_b32 s20, 0
	s_delay_alu instid0(VALU_DEP_2) | instskip(SKIP_3) | instid1(VALU_DEP_1)
	v_lshl_add_u64 v[14:15], v[8:9], 3, s[10:11]
	global_load_b64 v[14:15], v[14:15], off
	s_wait_loadcnt 0x0
	v_mul_f32_e64 v1, v15, -v3
	v_dual_mul_f32 v5, v2, v15 :: v_dual_fmac_f32 v1, v2, v14
	s_delay_alu instid0(VALU_DEP_1)
	v_fmac_f32_e32 v5, v3, v14
	s_wait_xcnt 0x0
	v_add_nc_u64_e32 v[14:15], s[6:7], v[16:17]
	v_add_nc_u64_e32 v[16:17], s[8:9], v[16:17]
	v_mul_f32_e32 v18, 0, v1
	v_mul_f32_e32 v9, 0x80000000, v5
.LBB283_7:                              ;   Parent Loop BB283_5 Depth=1
                                        ; =>  This Inner Loop Header: Depth=2
	global_load_b32 v19, v[14:15], off
	global_load_b32 v22, v[16:17], off
	v_add_nc_u64_e32 v[12:13], 16, v[12:13]
	s_wait_xcnt 0x1
	v_add_nc_u64_e32 v[14:15], 64, v[14:15]
	s_wait_xcnt 0x0
	v_add_nc_u64_e32 v[16:17], 64, v[16:17]
	s_delay_alu instid0(VALU_DEP_3)
	v_cmp_ge_i64_e32 vcc_lo, v[12:13], v[10:11]
	s_or_b32 s20, vcc_lo, s20
	s_wait_loadcnt 0x1
	v_subrev_nc_u32_e32 v20, s16, v19
	s_wait_loadcnt 0x0
	v_fma_f32 v19, v1, v22, v9
	s_delay_alu instid0(VALU_DEP_2) | instskip(NEXT) | instid1(VALU_DEP_1)
	v_dual_fma_f32 v22, v5, v22, v18 :: v_dual_ashrrev_i32 v21, 31, v20
	v_lshl_add_u64 v[20:21], v[20:21], 3, s[12:13]
	global_atomic_add_f32 v[20:21], v19, off scope:SCOPE_DEV
	s_wait_xcnt 0x0
	global_atomic_add_f32 v[20:21], v22, off offset:4 scope:SCOPE_DEV
	s_wait_xcnt 0x0
	s_and_not1_b32 exec_lo, exec_lo, s20
	s_cbranch_execnz .LBB283_7
	s_branch .LBB283_4
.LBB283_8:
	s_or_b32 exec_lo, exec_lo, s2
	s_mov_b32 s2, 0
.LBB283_9:
	s_delay_alu instid0(SALU_CYCLE_1)
	s_and_not1_b32 vcc_lo, exec_lo, s2
	s_cbranch_vccnz .LBB283_18
; %bb.10:
	s_and_b32 exec_lo, exec_lo, s0
	s_cbranch_execz .LBB283_18
; %bb.11:
	v_mov_b32_e32 v1, 0
	s_mov_b32 s17, 0
	s_delay_alu instid0(SALU_CYCLE_1) | instskip(NEXT) | instid1(VALU_DEP_1)
	s_mov_b32 s0, s17
	v_sub_nc_u64_e64 v[0:1], v[0:1], s[16:17]
	s_branch .LBB283_13
.LBB283_12:                             ;   in Loop: Header=BB283_13 Depth=1
	s_or_b32 exec_lo, exec_lo, s2
	v_add_nc_u32_e32 v4, s1, v4
	s_delay_alu instid0(VALU_DEP_1) | instskip(SKIP_1) | instid1(SALU_CYCLE_1)
	v_cmp_le_i32_e32 vcc_lo, s3, v4
	s_or_b32 s0, vcc_lo, s0
	s_and_not1_b32 exec_lo, exec_lo, s0
	s_cbranch_execz .LBB283_18
.LBB283_13:                             ; =>This Loop Header: Depth=1
                                        ;     Child Loop BB283_16 Depth 2
	s_clause 0x1
	global_load_b64 v[6:7], v4, s[4:5] scale_offset
	global_load_b64 v[8:9], v4, s[14:15] scale_offset
	s_mov_b32 s2, exec_lo
	s_wait_loadcnt 0x1
	v_sub_nc_u64_e64 v[6:7], v[6:7], s[16:17]
	s_wait_loadcnt 0x0
	v_add_nc_u64_e32 v[8:9], v[8:9], v[0:1]
	s_wait_xcnt 0x0
	s_delay_alu instid0(VALU_DEP_1)
	v_cmpx_lt_i64_e64 v[8:9], v[6:7]
	s_cbranch_execz .LBB283_12
; %bb.14:                               ;   in Loop: Header=BB283_13 Depth=1
	v_ashrrev_i32_e32 v5, 31, v4
	v_lshlrev_b64_e32 v[12:13], 2, v[8:9]
	s_mov_b32 s18, 0
	s_delay_alu instid0(VALU_DEP_2) | instskip(SKIP_3) | instid1(VALU_DEP_1)
	v_lshl_add_u64 v[10:11], v[4:5], 3, s[10:11]
	global_load_b64 v[10:11], v[10:11], off
	s_wait_loadcnt 0x0
	v_mul_f32_e64 v5, v11, -v3
	v_dual_mul_f32 v16, v2, v11 :: v_dual_fmac_f32 v5, v2, v10
	s_delay_alu instid0(VALU_DEP_1) | instskip(SKIP_3) | instid1(VALU_DEP_3)
	v_fmac_f32_e32 v16, v3, v10
	s_wait_xcnt 0x0
	v_add_nc_u64_e32 v[10:11], s[6:7], v[12:13]
	v_add_nc_u64_e32 v[12:13], s[8:9], v[12:13]
	v_dual_mul_f32 v18, 0, v5 :: v_dual_mul_f32 v17, 0x80000000, v16
	s_branch .LBB283_16
.LBB283_15:                             ;   in Loop: Header=BB283_16 Depth=2
	s_wait_xcnt 0x0
	s_or_b32 exec_lo, exec_lo, s19
	v_add_nc_u64_e32 v[8:9], 16, v[8:9]
	v_add_nc_u64_e32 v[10:11], 64, v[10:11]
	;; [unrolled: 1-line block ×3, first 2 shown]
	s_delay_alu instid0(VALU_DEP_3) | instskip(SKIP_1) | instid1(SALU_CYCLE_1)
	v_cmp_ge_i64_e32 vcc_lo, v[8:9], v[6:7]
	s_or_b32 s18, vcc_lo, s18
	s_and_not1_b32 exec_lo, exec_lo, s18
	s_cbranch_execz .LBB283_12
.LBB283_16:                             ;   Parent Loop BB283_13 Depth=1
                                        ; =>  This Inner Loop Header: Depth=2
	global_load_b32 v14, v[10:11], off
	s_mov_b32 s19, exec_lo
	s_wait_loadcnt 0x0
	v_subrev_nc_u32_e32 v14, s16, v14
	s_wait_xcnt 0x0
	s_delay_alu instid0(VALU_DEP_1)
	v_cmpx_ne_u32_e64 v14, v4
	s_cbranch_execz .LBB283_15
; %bb.17:                               ;   in Loop: Header=BB283_16 Depth=2
	global_load_b32 v19, v[12:13], off
	s_wait_loadcnt 0x0
	v_dual_ashrrev_i32 v15, 31, v14 :: v_dual_fma_f32 v20, v5, v19, v17
	s_delay_alu instid0(VALU_DEP_1)
	v_lshl_add_u64 v[14:15], v[14:15], 3, s[12:13]
	v_fma_f32 v19, v16, v19, v18
	s_wait_xcnt 0x0
	global_atomic_add_f32 v[14:15], v20, off scope:SCOPE_DEV
	s_wait_xcnt 0x0
	global_atomic_add_f32 v[14:15], v19, off offset:4 scope:SCOPE_DEV
	s_branch .LBB283_15
.LBB283_18:
	s_endpgm
	.section	.rodata,"a",@progbits
	.p2align	6, 0x0
	.amdhsa_kernel _ZN9rocsparseL21csrmvt_general_kernelILj256ELj16Elif21rocsparse_complex_numIfES2_S2_EEvbbT2_NS_24const_host_device_scalarIT6_EEPKT1_S9_PKS3_PKT3_PKT4_PT5_21rocsparse_index_base_b
		.amdhsa_group_segment_fixed_size 0
		.amdhsa_private_segment_fixed_size 0
		.amdhsa_kernarg_size 328
		.amdhsa_user_sgpr_count 2
		.amdhsa_user_sgpr_dispatch_ptr 0
		.amdhsa_user_sgpr_queue_ptr 0
		.amdhsa_user_sgpr_kernarg_segment_ptr 1
		.amdhsa_user_sgpr_dispatch_id 0
		.amdhsa_user_sgpr_kernarg_preload_length 0
		.amdhsa_user_sgpr_kernarg_preload_offset 0
		.amdhsa_user_sgpr_private_segment_size 0
		.amdhsa_wavefront_size32 1
		.amdhsa_uses_dynamic_stack 0
		.amdhsa_enable_private_segment 0
		.amdhsa_system_sgpr_workgroup_id_x 1
		.amdhsa_system_sgpr_workgroup_id_y 0
		.amdhsa_system_sgpr_workgroup_id_z 0
		.amdhsa_system_sgpr_workgroup_info 0
		.amdhsa_system_vgpr_workitem_id 0
		.amdhsa_next_free_vgpr 23
		.amdhsa_next_free_sgpr 21
		.amdhsa_named_barrier_count 0
		.amdhsa_reserve_vcc 1
		.amdhsa_float_round_mode_32 0
		.amdhsa_float_round_mode_16_64 0
		.amdhsa_float_denorm_mode_32 3
		.amdhsa_float_denorm_mode_16_64 3
		.amdhsa_fp16_overflow 0
		.amdhsa_memory_ordered 1
		.amdhsa_forward_progress 1
		.amdhsa_inst_pref_size 8
		.amdhsa_round_robin_scheduling 0
		.amdhsa_exception_fp_ieee_invalid_op 0
		.amdhsa_exception_fp_denorm_src 0
		.amdhsa_exception_fp_ieee_div_zero 0
		.amdhsa_exception_fp_ieee_overflow 0
		.amdhsa_exception_fp_ieee_underflow 0
		.amdhsa_exception_fp_ieee_inexact 0
		.amdhsa_exception_int_div_zero 0
	.end_amdhsa_kernel
	.section	.text._ZN9rocsparseL21csrmvt_general_kernelILj256ELj16Elif21rocsparse_complex_numIfES2_S2_EEvbbT2_NS_24const_host_device_scalarIT6_EEPKT1_S9_PKS3_PKT3_PKT4_PT5_21rocsparse_index_base_b,"axG",@progbits,_ZN9rocsparseL21csrmvt_general_kernelILj256ELj16Elif21rocsparse_complex_numIfES2_S2_EEvbbT2_NS_24const_host_device_scalarIT6_EEPKT1_S9_PKS3_PKT3_PKT4_PT5_21rocsparse_index_base_b,comdat
.Lfunc_end283:
	.size	_ZN9rocsparseL21csrmvt_general_kernelILj256ELj16Elif21rocsparse_complex_numIfES2_S2_EEvbbT2_NS_24const_host_device_scalarIT6_EEPKT1_S9_PKS3_PKT3_PKT4_PT5_21rocsparse_index_base_b, .Lfunc_end283-_ZN9rocsparseL21csrmvt_general_kernelILj256ELj16Elif21rocsparse_complex_numIfES2_S2_EEvbbT2_NS_24const_host_device_scalarIT6_EEPKT1_S9_PKS3_PKT3_PKT4_PT5_21rocsparse_index_base_b
                                        ; -- End function
	.set _ZN9rocsparseL21csrmvt_general_kernelILj256ELj16Elif21rocsparse_complex_numIfES2_S2_EEvbbT2_NS_24const_host_device_scalarIT6_EEPKT1_S9_PKS3_PKT3_PKT4_PT5_21rocsparse_index_base_b.num_vgpr, 23
	.set _ZN9rocsparseL21csrmvt_general_kernelILj256ELj16Elif21rocsparse_complex_numIfES2_S2_EEvbbT2_NS_24const_host_device_scalarIT6_EEPKT1_S9_PKS3_PKT3_PKT4_PT5_21rocsparse_index_base_b.num_agpr, 0
	.set _ZN9rocsparseL21csrmvt_general_kernelILj256ELj16Elif21rocsparse_complex_numIfES2_S2_EEvbbT2_NS_24const_host_device_scalarIT6_EEPKT1_S9_PKS3_PKT3_PKT4_PT5_21rocsparse_index_base_b.numbered_sgpr, 21
	.set _ZN9rocsparseL21csrmvt_general_kernelILj256ELj16Elif21rocsparse_complex_numIfES2_S2_EEvbbT2_NS_24const_host_device_scalarIT6_EEPKT1_S9_PKS3_PKT3_PKT4_PT5_21rocsparse_index_base_b.num_named_barrier, 0
	.set _ZN9rocsparseL21csrmvt_general_kernelILj256ELj16Elif21rocsparse_complex_numIfES2_S2_EEvbbT2_NS_24const_host_device_scalarIT6_EEPKT1_S9_PKS3_PKT3_PKT4_PT5_21rocsparse_index_base_b.private_seg_size, 0
	.set _ZN9rocsparseL21csrmvt_general_kernelILj256ELj16Elif21rocsparse_complex_numIfES2_S2_EEvbbT2_NS_24const_host_device_scalarIT6_EEPKT1_S9_PKS3_PKT3_PKT4_PT5_21rocsparse_index_base_b.uses_vcc, 1
	.set _ZN9rocsparseL21csrmvt_general_kernelILj256ELj16Elif21rocsparse_complex_numIfES2_S2_EEvbbT2_NS_24const_host_device_scalarIT6_EEPKT1_S9_PKS3_PKT3_PKT4_PT5_21rocsparse_index_base_b.uses_flat_scratch, 0
	.set _ZN9rocsparseL21csrmvt_general_kernelILj256ELj16Elif21rocsparse_complex_numIfES2_S2_EEvbbT2_NS_24const_host_device_scalarIT6_EEPKT1_S9_PKS3_PKT3_PKT4_PT5_21rocsparse_index_base_b.has_dyn_sized_stack, 0
	.set _ZN9rocsparseL21csrmvt_general_kernelILj256ELj16Elif21rocsparse_complex_numIfES2_S2_EEvbbT2_NS_24const_host_device_scalarIT6_EEPKT1_S9_PKS3_PKT3_PKT4_PT5_21rocsparse_index_base_b.has_recursion, 0
	.set _ZN9rocsparseL21csrmvt_general_kernelILj256ELj16Elif21rocsparse_complex_numIfES2_S2_EEvbbT2_NS_24const_host_device_scalarIT6_EEPKT1_S9_PKS3_PKT3_PKT4_PT5_21rocsparse_index_base_b.has_indirect_call, 0
	.section	.AMDGPU.csdata,"",@progbits
; Kernel info:
; codeLenInByte = 1020
; TotalNumSgprs: 23
; NumVgprs: 23
; ScratchSize: 0
; MemoryBound: 0
; FloatMode: 240
; IeeeMode: 1
; LDSByteSize: 0 bytes/workgroup (compile time only)
; SGPRBlocks: 0
; VGPRBlocks: 1
; NumSGPRsForWavesPerEU: 23
; NumVGPRsForWavesPerEU: 23
; NamedBarCnt: 0
; Occupancy: 16
; WaveLimiterHint : 1
; COMPUTE_PGM_RSRC2:SCRATCH_EN: 0
; COMPUTE_PGM_RSRC2:USER_SGPR: 2
; COMPUTE_PGM_RSRC2:TRAP_HANDLER: 0
; COMPUTE_PGM_RSRC2:TGID_X_EN: 1
; COMPUTE_PGM_RSRC2:TGID_Y_EN: 0
; COMPUTE_PGM_RSRC2:TGID_Z_EN: 0
; COMPUTE_PGM_RSRC2:TIDIG_COMP_CNT: 0
	.section	.text._ZN9rocsparseL21csrmvt_general_kernelILj256ELj32Elif21rocsparse_complex_numIfES2_S2_EEvbbT2_NS_24const_host_device_scalarIT6_EEPKT1_S9_PKS3_PKT3_PKT4_PT5_21rocsparse_index_base_b,"axG",@progbits,_ZN9rocsparseL21csrmvt_general_kernelILj256ELj32Elif21rocsparse_complex_numIfES2_S2_EEvbbT2_NS_24const_host_device_scalarIT6_EEPKT1_S9_PKS3_PKT3_PKT4_PT5_21rocsparse_index_base_b,comdat
	.globl	_ZN9rocsparseL21csrmvt_general_kernelILj256ELj32Elif21rocsparse_complex_numIfES2_S2_EEvbbT2_NS_24const_host_device_scalarIT6_EEPKT1_S9_PKS3_PKT3_PKT4_PT5_21rocsparse_index_base_b ; -- Begin function _ZN9rocsparseL21csrmvt_general_kernelILj256ELj32Elif21rocsparse_complex_numIfES2_S2_EEvbbT2_NS_24const_host_device_scalarIT6_EEPKT1_S9_PKS3_PKT3_PKT4_PT5_21rocsparse_index_base_b
	.p2align	8
	.type	_ZN9rocsparseL21csrmvt_general_kernelILj256ELj32Elif21rocsparse_complex_numIfES2_S2_EEvbbT2_NS_24const_host_device_scalarIT6_EEPKT1_S9_PKS3_PKT3_PKT4_PT5_21rocsparse_index_base_b,@function
_ZN9rocsparseL21csrmvt_general_kernelILj256ELj32Elif21rocsparse_complex_numIfES2_S2_EEvbbT2_NS_24const_host_device_scalarIT6_EEPKT1_S9_PKS3_PKT3_PKT4_PT5_21rocsparse_index_base_b: ; @_ZN9rocsparseL21csrmvt_general_kernelILj256ELj32Elif21rocsparse_complex_numIfES2_S2_EEvbbT2_NS_24const_host_device_scalarIT6_EEPKT1_S9_PKS3_PKT3_PKT4_PT5_21rocsparse_index_base_b
; %bb.0:
	s_clause 0x1
	s_load_b64 s[16:17], s[0:1], 0x40
	s_load_b128 s[12:15], s[0:1], 0x8
	v_mov_b32_e32 v1, 0
	s_add_nc_u64 s[2:3], s[0:1], 8
	s_wait_kmcnt 0x0
	s_bitcmp1_b32 s17, 0
	s_cselect_b32 s3, s3, s13
	s_cselect_b32 s2, s2, s12
	flat_load_b64 v[2:3], v1, s[2:3]
	s_wait_loadcnt_dscnt 0x0
	v_cmp_neq_f32_e32 vcc_lo, 0, v2
	v_cmp_neq_f32_e64 s2, 0, v3
	s_or_b32 s2, vcc_lo, s2
	s_delay_alu instid0(SALU_CYCLE_1)
	s_and_saveexec_b32 s3, s2
	s_cbranch_execz .LBB284_18
; %bb.1:
	s_clause 0x3
	s_load_b64 s[2:3], s[0:1], 0x0
	s_load_b32 s17, s[0:1], 0x48
	s_load_b64 s[12:13], s[0:1], 0x38
	s_load_b256 s[4:11], s[0:1], 0x18
	s_wait_xcnt 0x0
	s_bfe_u32 s0, ttmp6, 0x4000c
	s_and_b32 s18, ttmp6, 15
	s_add_co_i32 s0, s0, 1
	s_getreg_b32 s19, hwreg(HW_REG_IB_STS2, 6, 4)
	s_mul_i32 s0, ttmp9, s0
	s_delay_alu instid0(SALU_CYCLE_1)
	s_add_co_i32 s18, s18, s0
	s_wait_kmcnt 0x0
	s_and_b32 s2, s2, 1
	s_lshl_b32 s1, s17, 3
	s_cmp_eq_u32 s19, 0
	s_cselect_b32 s0, ttmp9, s18
	s_cmp_eq_u32 s2, 0
	v_lshl_or_b32 v1, s0, 8, v0
	s_mov_b32 s2, -1
	s_delay_alu instid0(VALU_DEP_1) | instskip(NEXT) | instid1(VALU_DEP_1)
	v_dual_lshrrev_b32 v4, 5, v1 :: v_dual_bitop2_b32 v0, 31, v0 bitop3:0x40
	v_cmp_gt_i32_e64 s0, s3, v4
	s_cbranch_scc0 .LBB284_9
; %bb.2:
	s_and_saveexec_b32 s2, s0
	s_cbranch_execz .LBB284_8
; %bb.3:
	v_dual_mov_b32 v1, 0 :: v_dual_mov_b32 v8, v4
	s_mov_b32 s17, 0
	s_delay_alu instid0(SALU_CYCLE_1) | instskip(NEXT) | instid1(VALU_DEP_1)
	s_mov_b32 s18, s17
	v_sub_nc_u64_e64 v[6:7], v[0:1], s[16:17]
	s_branch .LBB284_5
.LBB284_4:                              ;   in Loop: Header=BB284_5 Depth=1
	s_or_b32 exec_lo, exec_lo, s19
	v_add_nc_u32_e32 v8, s1, v8
	s_delay_alu instid0(VALU_DEP_1) | instskip(SKIP_1) | instid1(SALU_CYCLE_1)
	v_cmp_le_i32_e32 vcc_lo, s3, v8
	s_or_b32 s18, vcc_lo, s18
	s_and_not1_b32 exec_lo, exec_lo, s18
	s_cbranch_execz .LBB284_8
.LBB284_5:                              ; =>This Loop Header: Depth=1
                                        ;     Child Loop BB284_7 Depth 2
	s_clause 0x1
	global_load_b64 v[10:11], v8, s[4:5] scale_offset
	global_load_b64 v[12:13], v8, s[14:15] scale_offset
	s_mov_b32 s19, exec_lo
	s_wait_loadcnt 0x1
	v_sub_nc_u64_e64 v[10:11], v[10:11], s[16:17]
	s_wait_loadcnt 0x0
	v_add_nc_u64_e32 v[12:13], v[12:13], v[6:7]
	s_wait_xcnt 0x0
	s_delay_alu instid0(VALU_DEP_1)
	v_cmpx_lt_i64_e64 v[12:13], v[10:11]
	s_cbranch_execz .LBB284_4
; %bb.6:                                ;   in Loop: Header=BB284_5 Depth=1
	v_ashrrev_i32_e32 v9, 31, v8
	v_lshlrev_b64_e32 v[16:17], 2, v[12:13]
	s_mov_b32 s20, 0
	s_delay_alu instid0(VALU_DEP_2) | instskip(SKIP_3) | instid1(VALU_DEP_1)
	v_lshl_add_u64 v[14:15], v[8:9], 3, s[10:11]
	global_load_b64 v[14:15], v[14:15], off
	s_wait_loadcnt 0x0
	v_mul_f32_e64 v1, v15, -v3
	v_dual_mul_f32 v5, v2, v15 :: v_dual_fmac_f32 v1, v2, v14
	s_delay_alu instid0(VALU_DEP_1)
	v_fmac_f32_e32 v5, v3, v14
	s_wait_xcnt 0x0
	v_add_nc_u64_e32 v[14:15], s[6:7], v[16:17]
	v_add_nc_u64_e32 v[16:17], s[8:9], v[16:17]
	v_mul_f32_e32 v18, 0, v1
	v_mul_f32_e32 v9, 0x80000000, v5
.LBB284_7:                              ;   Parent Loop BB284_5 Depth=1
                                        ; =>  This Inner Loop Header: Depth=2
	global_load_b32 v19, v[14:15], off
	global_load_b32 v22, v[16:17], off
	v_add_nc_u64_e32 v[12:13], 32, v[12:13]
	s_wait_xcnt 0x1
	v_add_nc_u64_e32 v[14:15], 0x80, v[14:15]
	s_wait_xcnt 0x0
	v_add_nc_u64_e32 v[16:17], 0x80, v[16:17]
	s_delay_alu instid0(VALU_DEP_3)
	v_cmp_ge_i64_e32 vcc_lo, v[12:13], v[10:11]
	s_or_b32 s20, vcc_lo, s20
	s_wait_loadcnt 0x1
	v_subrev_nc_u32_e32 v20, s16, v19
	s_wait_loadcnt 0x0
	v_fma_f32 v19, v1, v22, v9
	s_delay_alu instid0(VALU_DEP_2) | instskip(NEXT) | instid1(VALU_DEP_1)
	v_dual_fma_f32 v22, v5, v22, v18 :: v_dual_ashrrev_i32 v21, 31, v20
	v_lshl_add_u64 v[20:21], v[20:21], 3, s[12:13]
	global_atomic_add_f32 v[20:21], v19, off scope:SCOPE_DEV
	s_wait_xcnt 0x0
	global_atomic_add_f32 v[20:21], v22, off offset:4 scope:SCOPE_DEV
	s_wait_xcnt 0x0
	s_and_not1_b32 exec_lo, exec_lo, s20
	s_cbranch_execnz .LBB284_7
	s_branch .LBB284_4
.LBB284_8:
	s_or_b32 exec_lo, exec_lo, s2
	s_mov_b32 s2, 0
.LBB284_9:
	s_delay_alu instid0(SALU_CYCLE_1)
	s_and_not1_b32 vcc_lo, exec_lo, s2
	s_cbranch_vccnz .LBB284_18
; %bb.10:
	s_and_b32 exec_lo, exec_lo, s0
	s_cbranch_execz .LBB284_18
; %bb.11:
	v_mov_b32_e32 v1, 0
	s_mov_b32 s17, 0
	s_delay_alu instid0(SALU_CYCLE_1) | instskip(NEXT) | instid1(VALU_DEP_1)
	s_mov_b32 s0, s17
	v_sub_nc_u64_e64 v[0:1], v[0:1], s[16:17]
	s_branch .LBB284_13
.LBB284_12:                             ;   in Loop: Header=BB284_13 Depth=1
	s_or_b32 exec_lo, exec_lo, s2
	v_add_nc_u32_e32 v4, s1, v4
	s_delay_alu instid0(VALU_DEP_1) | instskip(SKIP_1) | instid1(SALU_CYCLE_1)
	v_cmp_le_i32_e32 vcc_lo, s3, v4
	s_or_b32 s0, vcc_lo, s0
	s_and_not1_b32 exec_lo, exec_lo, s0
	s_cbranch_execz .LBB284_18
.LBB284_13:                             ; =>This Loop Header: Depth=1
                                        ;     Child Loop BB284_16 Depth 2
	s_clause 0x1
	global_load_b64 v[6:7], v4, s[4:5] scale_offset
	global_load_b64 v[8:9], v4, s[14:15] scale_offset
	s_mov_b32 s2, exec_lo
	s_wait_loadcnt 0x1
	v_sub_nc_u64_e64 v[6:7], v[6:7], s[16:17]
	s_wait_loadcnt 0x0
	v_add_nc_u64_e32 v[8:9], v[8:9], v[0:1]
	s_wait_xcnt 0x0
	s_delay_alu instid0(VALU_DEP_1)
	v_cmpx_lt_i64_e64 v[8:9], v[6:7]
	s_cbranch_execz .LBB284_12
; %bb.14:                               ;   in Loop: Header=BB284_13 Depth=1
	v_ashrrev_i32_e32 v5, 31, v4
	v_lshlrev_b64_e32 v[12:13], 2, v[8:9]
	s_mov_b32 s18, 0
	s_delay_alu instid0(VALU_DEP_2) | instskip(SKIP_3) | instid1(VALU_DEP_1)
	v_lshl_add_u64 v[10:11], v[4:5], 3, s[10:11]
	global_load_b64 v[10:11], v[10:11], off
	s_wait_loadcnt 0x0
	v_mul_f32_e64 v5, v11, -v3
	v_dual_mul_f32 v16, v2, v11 :: v_dual_fmac_f32 v5, v2, v10
	s_delay_alu instid0(VALU_DEP_1) | instskip(SKIP_3) | instid1(VALU_DEP_3)
	v_fmac_f32_e32 v16, v3, v10
	s_wait_xcnt 0x0
	v_add_nc_u64_e32 v[10:11], s[6:7], v[12:13]
	v_add_nc_u64_e32 v[12:13], s[8:9], v[12:13]
	v_dual_mul_f32 v18, 0, v5 :: v_dual_mul_f32 v17, 0x80000000, v16
	s_branch .LBB284_16
.LBB284_15:                             ;   in Loop: Header=BB284_16 Depth=2
	s_wait_xcnt 0x0
	s_or_b32 exec_lo, exec_lo, s19
	v_add_nc_u64_e32 v[8:9], 32, v[8:9]
	v_add_nc_u64_e32 v[10:11], 0x80, v[10:11]
	;; [unrolled: 1-line block ×3, first 2 shown]
	s_delay_alu instid0(VALU_DEP_3) | instskip(SKIP_1) | instid1(SALU_CYCLE_1)
	v_cmp_ge_i64_e32 vcc_lo, v[8:9], v[6:7]
	s_or_b32 s18, vcc_lo, s18
	s_and_not1_b32 exec_lo, exec_lo, s18
	s_cbranch_execz .LBB284_12
.LBB284_16:                             ;   Parent Loop BB284_13 Depth=1
                                        ; =>  This Inner Loop Header: Depth=2
	global_load_b32 v14, v[10:11], off
	s_mov_b32 s19, exec_lo
	s_wait_loadcnt 0x0
	v_subrev_nc_u32_e32 v14, s16, v14
	s_wait_xcnt 0x0
	s_delay_alu instid0(VALU_DEP_1)
	v_cmpx_ne_u32_e64 v14, v4
	s_cbranch_execz .LBB284_15
; %bb.17:                               ;   in Loop: Header=BB284_16 Depth=2
	global_load_b32 v19, v[12:13], off
	s_wait_loadcnt 0x0
	v_dual_ashrrev_i32 v15, 31, v14 :: v_dual_fma_f32 v20, v5, v19, v17
	s_delay_alu instid0(VALU_DEP_1)
	v_lshl_add_u64 v[14:15], v[14:15], 3, s[12:13]
	v_fma_f32 v19, v16, v19, v18
	s_wait_xcnt 0x0
	global_atomic_add_f32 v[14:15], v20, off scope:SCOPE_DEV
	s_wait_xcnt 0x0
	global_atomic_add_f32 v[14:15], v19, off offset:4 scope:SCOPE_DEV
	s_branch .LBB284_15
.LBB284_18:
	s_endpgm
	.section	.rodata,"a",@progbits
	.p2align	6, 0x0
	.amdhsa_kernel _ZN9rocsparseL21csrmvt_general_kernelILj256ELj32Elif21rocsparse_complex_numIfES2_S2_EEvbbT2_NS_24const_host_device_scalarIT6_EEPKT1_S9_PKS3_PKT3_PKT4_PT5_21rocsparse_index_base_b
		.amdhsa_group_segment_fixed_size 0
		.amdhsa_private_segment_fixed_size 0
		.amdhsa_kernarg_size 328
		.amdhsa_user_sgpr_count 2
		.amdhsa_user_sgpr_dispatch_ptr 0
		.amdhsa_user_sgpr_queue_ptr 0
		.amdhsa_user_sgpr_kernarg_segment_ptr 1
		.amdhsa_user_sgpr_dispatch_id 0
		.amdhsa_user_sgpr_kernarg_preload_length 0
		.amdhsa_user_sgpr_kernarg_preload_offset 0
		.amdhsa_user_sgpr_private_segment_size 0
		.amdhsa_wavefront_size32 1
		.amdhsa_uses_dynamic_stack 0
		.amdhsa_enable_private_segment 0
		.amdhsa_system_sgpr_workgroup_id_x 1
		.amdhsa_system_sgpr_workgroup_id_y 0
		.amdhsa_system_sgpr_workgroup_id_z 0
		.amdhsa_system_sgpr_workgroup_info 0
		.amdhsa_system_vgpr_workitem_id 0
		.amdhsa_next_free_vgpr 23
		.amdhsa_next_free_sgpr 21
		.amdhsa_named_barrier_count 0
		.amdhsa_reserve_vcc 1
		.amdhsa_float_round_mode_32 0
		.amdhsa_float_round_mode_16_64 0
		.amdhsa_float_denorm_mode_32 3
		.amdhsa_float_denorm_mode_16_64 3
		.amdhsa_fp16_overflow 0
		.amdhsa_memory_ordered 1
		.amdhsa_forward_progress 1
		.amdhsa_inst_pref_size 9
		.amdhsa_round_robin_scheduling 0
		.amdhsa_exception_fp_ieee_invalid_op 0
		.amdhsa_exception_fp_denorm_src 0
		.amdhsa_exception_fp_ieee_div_zero 0
		.amdhsa_exception_fp_ieee_overflow 0
		.amdhsa_exception_fp_ieee_underflow 0
		.amdhsa_exception_fp_ieee_inexact 0
		.amdhsa_exception_int_div_zero 0
	.end_amdhsa_kernel
	.section	.text._ZN9rocsparseL21csrmvt_general_kernelILj256ELj32Elif21rocsparse_complex_numIfES2_S2_EEvbbT2_NS_24const_host_device_scalarIT6_EEPKT1_S9_PKS3_PKT3_PKT4_PT5_21rocsparse_index_base_b,"axG",@progbits,_ZN9rocsparseL21csrmvt_general_kernelILj256ELj32Elif21rocsparse_complex_numIfES2_S2_EEvbbT2_NS_24const_host_device_scalarIT6_EEPKT1_S9_PKS3_PKT3_PKT4_PT5_21rocsparse_index_base_b,comdat
.Lfunc_end284:
	.size	_ZN9rocsparseL21csrmvt_general_kernelILj256ELj32Elif21rocsparse_complex_numIfES2_S2_EEvbbT2_NS_24const_host_device_scalarIT6_EEPKT1_S9_PKS3_PKT3_PKT4_PT5_21rocsparse_index_base_b, .Lfunc_end284-_ZN9rocsparseL21csrmvt_general_kernelILj256ELj32Elif21rocsparse_complex_numIfES2_S2_EEvbbT2_NS_24const_host_device_scalarIT6_EEPKT1_S9_PKS3_PKT3_PKT4_PT5_21rocsparse_index_base_b
                                        ; -- End function
	.set _ZN9rocsparseL21csrmvt_general_kernelILj256ELj32Elif21rocsparse_complex_numIfES2_S2_EEvbbT2_NS_24const_host_device_scalarIT6_EEPKT1_S9_PKS3_PKT3_PKT4_PT5_21rocsparse_index_base_b.num_vgpr, 23
	.set _ZN9rocsparseL21csrmvt_general_kernelILj256ELj32Elif21rocsparse_complex_numIfES2_S2_EEvbbT2_NS_24const_host_device_scalarIT6_EEPKT1_S9_PKS3_PKT3_PKT4_PT5_21rocsparse_index_base_b.num_agpr, 0
	.set _ZN9rocsparseL21csrmvt_general_kernelILj256ELj32Elif21rocsparse_complex_numIfES2_S2_EEvbbT2_NS_24const_host_device_scalarIT6_EEPKT1_S9_PKS3_PKT3_PKT4_PT5_21rocsparse_index_base_b.numbered_sgpr, 21
	.set _ZN9rocsparseL21csrmvt_general_kernelILj256ELj32Elif21rocsparse_complex_numIfES2_S2_EEvbbT2_NS_24const_host_device_scalarIT6_EEPKT1_S9_PKS3_PKT3_PKT4_PT5_21rocsparse_index_base_b.num_named_barrier, 0
	.set _ZN9rocsparseL21csrmvt_general_kernelILj256ELj32Elif21rocsparse_complex_numIfES2_S2_EEvbbT2_NS_24const_host_device_scalarIT6_EEPKT1_S9_PKS3_PKT3_PKT4_PT5_21rocsparse_index_base_b.private_seg_size, 0
	.set _ZN9rocsparseL21csrmvt_general_kernelILj256ELj32Elif21rocsparse_complex_numIfES2_S2_EEvbbT2_NS_24const_host_device_scalarIT6_EEPKT1_S9_PKS3_PKT3_PKT4_PT5_21rocsparse_index_base_b.uses_vcc, 1
	.set _ZN9rocsparseL21csrmvt_general_kernelILj256ELj32Elif21rocsparse_complex_numIfES2_S2_EEvbbT2_NS_24const_host_device_scalarIT6_EEPKT1_S9_PKS3_PKT3_PKT4_PT5_21rocsparse_index_base_b.uses_flat_scratch, 0
	.set _ZN9rocsparseL21csrmvt_general_kernelILj256ELj32Elif21rocsparse_complex_numIfES2_S2_EEvbbT2_NS_24const_host_device_scalarIT6_EEPKT1_S9_PKS3_PKT3_PKT4_PT5_21rocsparse_index_base_b.has_dyn_sized_stack, 0
	.set _ZN9rocsparseL21csrmvt_general_kernelILj256ELj32Elif21rocsparse_complex_numIfES2_S2_EEvbbT2_NS_24const_host_device_scalarIT6_EEPKT1_S9_PKS3_PKT3_PKT4_PT5_21rocsparse_index_base_b.has_recursion, 0
	.set _ZN9rocsparseL21csrmvt_general_kernelILj256ELj32Elif21rocsparse_complex_numIfES2_S2_EEvbbT2_NS_24const_host_device_scalarIT6_EEPKT1_S9_PKS3_PKT3_PKT4_PT5_21rocsparse_index_base_b.has_indirect_call, 0
	.section	.AMDGPU.csdata,"",@progbits
; Kernel info:
; codeLenInByte = 1036
; TotalNumSgprs: 23
; NumVgprs: 23
; ScratchSize: 0
; MemoryBound: 0
; FloatMode: 240
; IeeeMode: 1
; LDSByteSize: 0 bytes/workgroup (compile time only)
; SGPRBlocks: 0
; VGPRBlocks: 1
; NumSGPRsForWavesPerEU: 23
; NumVGPRsForWavesPerEU: 23
; NamedBarCnt: 0
; Occupancy: 16
; WaveLimiterHint : 1
; COMPUTE_PGM_RSRC2:SCRATCH_EN: 0
; COMPUTE_PGM_RSRC2:USER_SGPR: 2
; COMPUTE_PGM_RSRC2:TRAP_HANDLER: 0
; COMPUTE_PGM_RSRC2:TGID_X_EN: 1
; COMPUTE_PGM_RSRC2:TGID_Y_EN: 0
; COMPUTE_PGM_RSRC2:TGID_Z_EN: 0
; COMPUTE_PGM_RSRC2:TIDIG_COMP_CNT: 0
	.section	.text._ZN9rocsparseL21csrmvt_general_kernelILj256ELj64Elif21rocsparse_complex_numIfES2_S2_EEvbbT2_NS_24const_host_device_scalarIT6_EEPKT1_S9_PKS3_PKT3_PKT4_PT5_21rocsparse_index_base_b,"axG",@progbits,_ZN9rocsparseL21csrmvt_general_kernelILj256ELj64Elif21rocsparse_complex_numIfES2_S2_EEvbbT2_NS_24const_host_device_scalarIT6_EEPKT1_S9_PKS3_PKT3_PKT4_PT5_21rocsparse_index_base_b,comdat
	.globl	_ZN9rocsparseL21csrmvt_general_kernelILj256ELj64Elif21rocsparse_complex_numIfES2_S2_EEvbbT2_NS_24const_host_device_scalarIT6_EEPKT1_S9_PKS3_PKT3_PKT4_PT5_21rocsparse_index_base_b ; -- Begin function _ZN9rocsparseL21csrmvt_general_kernelILj256ELj64Elif21rocsparse_complex_numIfES2_S2_EEvbbT2_NS_24const_host_device_scalarIT6_EEPKT1_S9_PKS3_PKT3_PKT4_PT5_21rocsparse_index_base_b
	.p2align	8
	.type	_ZN9rocsparseL21csrmvt_general_kernelILj256ELj64Elif21rocsparse_complex_numIfES2_S2_EEvbbT2_NS_24const_host_device_scalarIT6_EEPKT1_S9_PKS3_PKT3_PKT4_PT5_21rocsparse_index_base_b,@function
_ZN9rocsparseL21csrmvt_general_kernelILj256ELj64Elif21rocsparse_complex_numIfES2_S2_EEvbbT2_NS_24const_host_device_scalarIT6_EEPKT1_S9_PKS3_PKT3_PKT4_PT5_21rocsparse_index_base_b: ; @_ZN9rocsparseL21csrmvt_general_kernelILj256ELj64Elif21rocsparse_complex_numIfES2_S2_EEvbbT2_NS_24const_host_device_scalarIT6_EEPKT1_S9_PKS3_PKT3_PKT4_PT5_21rocsparse_index_base_b
; %bb.0:
	s_clause 0x1
	s_load_b64 s[16:17], s[0:1], 0x40
	s_load_b128 s[12:15], s[0:1], 0x8
	v_mov_b32_e32 v1, 0
	s_add_nc_u64 s[2:3], s[0:1], 8
	s_wait_kmcnt 0x0
	s_bitcmp1_b32 s17, 0
	s_cselect_b32 s3, s3, s13
	s_cselect_b32 s2, s2, s12
	flat_load_b64 v[2:3], v1, s[2:3]
	s_wait_loadcnt_dscnt 0x0
	v_cmp_neq_f32_e32 vcc_lo, 0, v2
	v_cmp_neq_f32_e64 s2, 0, v3
	s_or_b32 s2, vcc_lo, s2
	s_delay_alu instid0(SALU_CYCLE_1)
	s_and_saveexec_b32 s3, s2
	s_cbranch_execz .LBB285_18
; %bb.1:
	s_clause 0x3
	s_load_b64 s[2:3], s[0:1], 0x0
	s_load_b32 s17, s[0:1], 0x48
	s_load_b64 s[12:13], s[0:1], 0x38
	s_load_b256 s[4:11], s[0:1], 0x18
	s_wait_xcnt 0x0
	s_bfe_u32 s0, ttmp6, 0x4000c
	s_and_b32 s18, ttmp6, 15
	s_add_co_i32 s0, s0, 1
	s_getreg_b32 s19, hwreg(HW_REG_IB_STS2, 6, 4)
	s_mul_i32 s0, ttmp9, s0
	s_delay_alu instid0(SALU_CYCLE_1)
	s_add_co_i32 s18, s18, s0
	s_wait_kmcnt 0x0
	s_and_b32 s2, s2, 1
	s_lshl_b32 s1, s17, 2
	s_cmp_eq_u32 s19, 0
	s_cselect_b32 s0, ttmp9, s18
	s_cmp_eq_u32 s2, 0
	v_lshl_or_b32 v1, s0, 8, v0
	s_mov_b32 s2, -1
	s_delay_alu instid0(VALU_DEP_1) | instskip(NEXT) | instid1(VALU_DEP_1)
	v_dual_lshrrev_b32 v4, 6, v1 :: v_dual_bitop2_b32 v0, 63, v0 bitop3:0x40
	v_cmp_gt_i32_e64 s0, s3, v4
	s_cbranch_scc0 .LBB285_9
; %bb.2:
	s_and_saveexec_b32 s2, s0
	s_cbranch_execz .LBB285_8
; %bb.3:
	v_dual_mov_b32 v1, 0 :: v_dual_mov_b32 v8, v4
	s_mov_b32 s17, 0
	s_delay_alu instid0(SALU_CYCLE_1) | instskip(NEXT) | instid1(VALU_DEP_1)
	s_mov_b32 s18, s17
	v_sub_nc_u64_e64 v[6:7], v[0:1], s[16:17]
	s_branch .LBB285_5
.LBB285_4:                              ;   in Loop: Header=BB285_5 Depth=1
	s_or_b32 exec_lo, exec_lo, s19
	v_add_nc_u32_e32 v8, s1, v8
	s_delay_alu instid0(VALU_DEP_1) | instskip(SKIP_1) | instid1(SALU_CYCLE_1)
	v_cmp_le_i32_e32 vcc_lo, s3, v8
	s_or_b32 s18, vcc_lo, s18
	s_and_not1_b32 exec_lo, exec_lo, s18
	s_cbranch_execz .LBB285_8
.LBB285_5:                              ; =>This Loop Header: Depth=1
                                        ;     Child Loop BB285_7 Depth 2
	s_clause 0x1
	global_load_b64 v[10:11], v8, s[4:5] scale_offset
	global_load_b64 v[12:13], v8, s[14:15] scale_offset
	s_mov_b32 s19, exec_lo
	s_wait_loadcnt 0x1
	v_sub_nc_u64_e64 v[10:11], v[10:11], s[16:17]
	s_wait_loadcnt 0x0
	v_add_nc_u64_e32 v[12:13], v[12:13], v[6:7]
	s_wait_xcnt 0x0
	s_delay_alu instid0(VALU_DEP_1)
	v_cmpx_lt_i64_e64 v[12:13], v[10:11]
	s_cbranch_execz .LBB285_4
; %bb.6:                                ;   in Loop: Header=BB285_5 Depth=1
	v_ashrrev_i32_e32 v9, 31, v8
	v_lshlrev_b64_e32 v[16:17], 2, v[12:13]
	s_mov_b32 s20, 0
	s_delay_alu instid0(VALU_DEP_2) | instskip(SKIP_3) | instid1(VALU_DEP_1)
	v_lshl_add_u64 v[14:15], v[8:9], 3, s[10:11]
	global_load_b64 v[14:15], v[14:15], off
	s_wait_loadcnt 0x0
	v_mul_f32_e64 v1, v15, -v3
	v_dual_mul_f32 v5, v2, v15 :: v_dual_fmac_f32 v1, v2, v14
	s_delay_alu instid0(VALU_DEP_1)
	v_fmac_f32_e32 v5, v3, v14
	s_wait_xcnt 0x0
	v_add_nc_u64_e32 v[14:15], s[6:7], v[16:17]
	v_add_nc_u64_e32 v[16:17], s[8:9], v[16:17]
	v_mul_f32_e32 v18, 0, v1
	v_mul_f32_e32 v9, 0x80000000, v5
.LBB285_7:                              ;   Parent Loop BB285_5 Depth=1
                                        ; =>  This Inner Loop Header: Depth=2
	global_load_b32 v19, v[14:15], off
	global_load_b32 v22, v[16:17], off
	v_add_nc_u64_e32 v[12:13], 64, v[12:13]
	s_wait_xcnt 0x1
	v_add_nc_u64_e32 v[14:15], 0x100, v[14:15]
	s_wait_xcnt 0x0
	v_add_nc_u64_e32 v[16:17], 0x100, v[16:17]
	s_delay_alu instid0(VALU_DEP_3)
	v_cmp_ge_i64_e32 vcc_lo, v[12:13], v[10:11]
	s_or_b32 s20, vcc_lo, s20
	s_wait_loadcnt 0x1
	v_subrev_nc_u32_e32 v20, s16, v19
	s_wait_loadcnt 0x0
	v_fma_f32 v19, v1, v22, v9
	s_delay_alu instid0(VALU_DEP_2) | instskip(NEXT) | instid1(VALU_DEP_1)
	v_dual_fma_f32 v22, v5, v22, v18 :: v_dual_ashrrev_i32 v21, 31, v20
	v_lshl_add_u64 v[20:21], v[20:21], 3, s[12:13]
	global_atomic_add_f32 v[20:21], v19, off scope:SCOPE_DEV
	s_wait_xcnt 0x0
	global_atomic_add_f32 v[20:21], v22, off offset:4 scope:SCOPE_DEV
	s_wait_xcnt 0x0
	s_and_not1_b32 exec_lo, exec_lo, s20
	s_cbranch_execnz .LBB285_7
	s_branch .LBB285_4
.LBB285_8:
	s_or_b32 exec_lo, exec_lo, s2
	s_mov_b32 s2, 0
.LBB285_9:
	s_delay_alu instid0(SALU_CYCLE_1)
	s_and_not1_b32 vcc_lo, exec_lo, s2
	s_cbranch_vccnz .LBB285_18
; %bb.10:
	s_and_b32 exec_lo, exec_lo, s0
	s_cbranch_execz .LBB285_18
; %bb.11:
	v_mov_b32_e32 v1, 0
	s_mov_b32 s17, 0
	s_delay_alu instid0(SALU_CYCLE_1) | instskip(NEXT) | instid1(VALU_DEP_1)
	s_mov_b32 s0, s17
	v_sub_nc_u64_e64 v[0:1], v[0:1], s[16:17]
	s_branch .LBB285_13
.LBB285_12:                             ;   in Loop: Header=BB285_13 Depth=1
	s_or_b32 exec_lo, exec_lo, s2
	v_add_nc_u32_e32 v4, s1, v4
	s_delay_alu instid0(VALU_DEP_1) | instskip(SKIP_1) | instid1(SALU_CYCLE_1)
	v_cmp_le_i32_e32 vcc_lo, s3, v4
	s_or_b32 s0, vcc_lo, s0
	s_and_not1_b32 exec_lo, exec_lo, s0
	s_cbranch_execz .LBB285_18
.LBB285_13:                             ; =>This Loop Header: Depth=1
                                        ;     Child Loop BB285_16 Depth 2
	s_clause 0x1
	global_load_b64 v[6:7], v4, s[4:5] scale_offset
	global_load_b64 v[8:9], v4, s[14:15] scale_offset
	s_mov_b32 s2, exec_lo
	s_wait_loadcnt 0x1
	v_sub_nc_u64_e64 v[6:7], v[6:7], s[16:17]
	s_wait_loadcnt 0x0
	v_add_nc_u64_e32 v[8:9], v[8:9], v[0:1]
	s_wait_xcnt 0x0
	s_delay_alu instid0(VALU_DEP_1)
	v_cmpx_lt_i64_e64 v[8:9], v[6:7]
	s_cbranch_execz .LBB285_12
; %bb.14:                               ;   in Loop: Header=BB285_13 Depth=1
	v_ashrrev_i32_e32 v5, 31, v4
	v_lshlrev_b64_e32 v[12:13], 2, v[8:9]
	s_mov_b32 s18, 0
	s_delay_alu instid0(VALU_DEP_2) | instskip(SKIP_3) | instid1(VALU_DEP_1)
	v_lshl_add_u64 v[10:11], v[4:5], 3, s[10:11]
	global_load_b64 v[10:11], v[10:11], off
	s_wait_loadcnt 0x0
	v_mul_f32_e64 v5, v11, -v3
	v_dual_mul_f32 v16, v2, v11 :: v_dual_fmac_f32 v5, v2, v10
	s_delay_alu instid0(VALU_DEP_1) | instskip(SKIP_3) | instid1(VALU_DEP_3)
	v_fmac_f32_e32 v16, v3, v10
	s_wait_xcnt 0x0
	v_add_nc_u64_e32 v[10:11], s[6:7], v[12:13]
	v_add_nc_u64_e32 v[12:13], s[8:9], v[12:13]
	v_dual_mul_f32 v18, 0, v5 :: v_dual_mul_f32 v17, 0x80000000, v16
	s_branch .LBB285_16
.LBB285_15:                             ;   in Loop: Header=BB285_16 Depth=2
	s_wait_xcnt 0x0
	s_or_b32 exec_lo, exec_lo, s19
	v_add_nc_u64_e32 v[8:9], 64, v[8:9]
	v_add_nc_u64_e32 v[10:11], 0x100, v[10:11]
	;; [unrolled: 1-line block ×3, first 2 shown]
	s_delay_alu instid0(VALU_DEP_3) | instskip(SKIP_1) | instid1(SALU_CYCLE_1)
	v_cmp_ge_i64_e32 vcc_lo, v[8:9], v[6:7]
	s_or_b32 s18, vcc_lo, s18
	s_and_not1_b32 exec_lo, exec_lo, s18
	s_cbranch_execz .LBB285_12
.LBB285_16:                             ;   Parent Loop BB285_13 Depth=1
                                        ; =>  This Inner Loop Header: Depth=2
	global_load_b32 v14, v[10:11], off
	s_mov_b32 s19, exec_lo
	s_wait_loadcnt 0x0
	v_subrev_nc_u32_e32 v14, s16, v14
	s_wait_xcnt 0x0
	s_delay_alu instid0(VALU_DEP_1)
	v_cmpx_ne_u32_e64 v14, v4
	s_cbranch_execz .LBB285_15
; %bb.17:                               ;   in Loop: Header=BB285_16 Depth=2
	global_load_b32 v19, v[12:13], off
	s_wait_loadcnt 0x0
	v_dual_ashrrev_i32 v15, 31, v14 :: v_dual_fma_f32 v20, v5, v19, v17
	s_delay_alu instid0(VALU_DEP_1)
	v_lshl_add_u64 v[14:15], v[14:15], 3, s[12:13]
	v_fma_f32 v19, v16, v19, v18
	s_wait_xcnt 0x0
	global_atomic_add_f32 v[14:15], v20, off scope:SCOPE_DEV
	s_wait_xcnt 0x0
	global_atomic_add_f32 v[14:15], v19, off offset:4 scope:SCOPE_DEV
	s_branch .LBB285_15
.LBB285_18:
	s_endpgm
	.section	.rodata,"a",@progbits
	.p2align	6, 0x0
	.amdhsa_kernel _ZN9rocsparseL21csrmvt_general_kernelILj256ELj64Elif21rocsparse_complex_numIfES2_S2_EEvbbT2_NS_24const_host_device_scalarIT6_EEPKT1_S9_PKS3_PKT3_PKT4_PT5_21rocsparse_index_base_b
		.amdhsa_group_segment_fixed_size 0
		.amdhsa_private_segment_fixed_size 0
		.amdhsa_kernarg_size 328
		.amdhsa_user_sgpr_count 2
		.amdhsa_user_sgpr_dispatch_ptr 0
		.amdhsa_user_sgpr_queue_ptr 0
		.amdhsa_user_sgpr_kernarg_segment_ptr 1
		.amdhsa_user_sgpr_dispatch_id 0
		.amdhsa_user_sgpr_kernarg_preload_length 0
		.amdhsa_user_sgpr_kernarg_preload_offset 0
		.amdhsa_user_sgpr_private_segment_size 0
		.amdhsa_wavefront_size32 1
		.amdhsa_uses_dynamic_stack 0
		.amdhsa_enable_private_segment 0
		.amdhsa_system_sgpr_workgroup_id_x 1
		.amdhsa_system_sgpr_workgroup_id_y 0
		.amdhsa_system_sgpr_workgroup_id_z 0
		.amdhsa_system_sgpr_workgroup_info 0
		.amdhsa_system_vgpr_workitem_id 0
		.amdhsa_next_free_vgpr 23
		.amdhsa_next_free_sgpr 21
		.amdhsa_named_barrier_count 0
		.amdhsa_reserve_vcc 1
		.amdhsa_float_round_mode_32 0
		.amdhsa_float_round_mode_16_64 0
		.amdhsa_float_denorm_mode_32 3
		.amdhsa_float_denorm_mode_16_64 3
		.amdhsa_fp16_overflow 0
		.amdhsa_memory_ordered 1
		.amdhsa_forward_progress 1
		.amdhsa_inst_pref_size 9
		.amdhsa_round_robin_scheduling 0
		.amdhsa_exception_fp_ieee_invalid_op 0
		.amdhsa_exception_fp_denorm_src 0
		.amdhsa_exception_fp_ieee_div_zero 0
		.amdhsa_exception_fp_ieee_overflow 0
		.amdhsa_exception_fp_ieee_underflow 0
		.amdhsa_exception_fp_ieee_inexact 0
		.amdhsa_exception_int_div_zero 0
	.end_amdhsa_kernel
	.section	.text._ZN9rocsparseL21csrmvt_general_kernelILj256ELj64Elif21rocsparse_complex_numIfES2_S2_EEvbbT2_NS_24const_host_device_scalarIT6_EEPKT1_S9_PKS3_PKT3_PKT4_PT5_21rocsparse_index_base_b,"axG",@progbits,_ZN9rocsparseL21csrmvt_general_kernelILj256ELj64Elif21rocsparse_complex_numIfES2_S2_EEvbbT2_NS_24const_host_device_scalarIT6_EEPKT1_S9_PKS3_PKT3_PKT4_PT5_21rocsparse_index_base_b,comdat
.Lfunc_end285:
	.size	_ZN9rocsparseL21csrmvt_general_kernelILj256ELj64Elif21rocsparse_complex_numIfES2_S2_EEvbbT2_NS_24const_host_device_scalarIT6_EEPKT1_S9_PKS3_PKT3_PKT4_PT5_21rocsparse_index_base_b, .Lfunc_end285-_ZN9rocsparseL21csrmvt_general_kernelILj256ELj64Elif21rocsparse_complex_numIfES2_S2_EEvbbT2_NS_24const_host_device_scalarIT6_EEPKT1_S9_PKS3_PKT3_PKT4_PT5_21rocsparse_index_base_b
                                        ; -- End function
	.set _ZN9rocsparseL21csrmvt_general_kernelILj256ELj64Elif21rocsparse_complex_numIfES2_S2_EEvbbT2_NS_24const_host_device_scalarIT6_EEPKT1_S9_PKS3_PKT3_PKT4_PT5_21rocsparse_index_base_b.num_vgpr, 23
	.set _ZN9rocsparseL21csrmvt_general_kernelILj256ELj64Elif21rocsparse_complex_numIfES2_S2_EEvbbT2_NS_24const_host_device_scalarIT6_EEPKT1_S9_PKS3_PKT3_PKT4_PT5_21rocsparse_index_base_b.num_agpr, 0
	.set _ZN9rocsparseL21csrmvt_general_kernelILj256ELj64Elif21rocsparse_complex_numIfES2_S2_EEvbbT2_NS_24const_host_device_scalarIT6_EEPKT1_S9_PKS3_PKT3_PKT4_PT5_21rocsparse_index_base_b.numbered_sgpr, 21
	.set _ZN9rocsparseL21csrmvt_general_kernelILj256ELj64Elif21rocsparse_complex_numIfES2_S2_EEvbbT2_NS_24const_host_device_scalarIT6_EEPKT1_S9_PKS3_PKT3_PKT4_PT5_21rocsparse_index_base_b.num_named_barrier, 0
	.set _ZN9rocsparseL21csrmvt_general_kernelILj256ELj64Elif21rocsparse_complex_numIfES2_S2_EEvbbT2_NS_24const_host_device_scalarIT6_EEPKT1_S9_PKS3_PKT3_PKT4_PT5_21rocsparse_index_base_b.private_seg_size, 0
	.set _ZN9rocsparseL21csrmvt_general_kernelILj256ELj64Elif21rocsparse_complex_numIfES2_S2_EEvbbT2_NS_24const_host_device_scalarIT6_EEPKT1_S9_PKS3_PKT3_PKT4_PT5_21rocsparse_index_base_b.uses_vcc, 1
	.set _ZN9rocsparseL21csrmvt_general_kernelILj256ELj64Elif21rocsparse_complex_numIfES2_S2_EEvbbT2_NS_24const_host_device_scalarIT6_EEPKT1_S9_PKS3_PKT3_PKT4_PT5_21rocsparse_index_base_b.uses_flat_scratch, 0
	.set _ZN9rocsparseL21csrmvt_general_kernelILj256ELj64Elif21rocsparse_complex_numIfES2_S2_EEvbbT2_NS_24const_host_device_scalarIT6_EEPKT1_S9_PKS3_PKT3_PKT4_PT5_21rocsparse_index_base_b.has_dyn_sized_stack, 0
	.set _ZN9rocsparseL21csrmvt_general_kernelILj256ELj64Elif21rocsparse_complex_numIfES2_S2_EEvbbT2_NS_24const_host_device_scalarIT6_EEPKT1_S9_PKS3_PKT3_PKT4_PT5_21rocsparse_index_base_b.has_recursion, 0
	.set _ZN9rocsparseL21csrmvt_general_kernelILj256ELj64Elif21rocsparse_complex_numIfES2_S2_EEvbbT2_NS_24const_host_device_scalarIT6_EEPKT1_S9_PKS3_PKT3_PKT4_PT5_21rocsparse_index_base_b.has_indirect_call, 0
	.section	.AMDGPU.csdata,"",@progbits
; Kernel info:
; codeLenInByte = 1036
; TotalNumSgprs: 23
; NumVgprs: 23
; ScratchSize: 0
; MemoryBound: 0
; FloatMode: 240
; IeeeMode: 1
; LDSByteSize: 0 bytes/workgroup (compile time only)
; SGPRBlocks: 0
; VGPRBlocks: 1
; NumSGPRsForWavesPerEU: 23
; NumVGPRsForWavesPerEU: 23
; NamedBarCnt: 0
; Occupancy: 16
; WaveLimiterHint : 1
; COMPUTE_PGM_RSRC2:SCRATCH_EN: 0
; COMPUTE_PGM_RSRC2:USER_SGPR: 2
; COMPUTE_PGM_RSRC2:TRAP_HANDLER: 0
; COMPUTE_PGM_RSRC2:TGID_X_EN: 1
; COMPUTE_PGM_RSRC2:TGID_Y_EN: 0
; COMPUTE_PGM_RSRC2:TGID_Z_EN: 0
; COMPUTE_PGM_RSRC2:TIDIG_COMP_CNT: 0
	.section	.text._ZN9rocsparseL21csrmvn_general_kernelILj256ELj2Ellf21rocsparse_complex_numIfES2_S2_EEvbT2_NS_24const_host_device_scalarIT6_EEPKT1_S9_PKS3_PKT3_PKT4_S6_PT5_21rocsparse_index_base_b,"axG",@progbits,_ZN9rocsparseL21csrmvn_general_kernelILj256ELj2Ellf21rocsparse_complex_numIfES2_S2_EEvbT2_NS_24const_host_device_scalarIT6_EEPKT1_S9_PKS3_PKT3_PKT4_S6_PT5_21rocsparse_index_base_b,comdat
	.globl	_ZN9rocsparseL21csrmvn_general_kernelILj256ELj2Ellf21rocsparse_complex_numIfES2_S2_EEvbT2_NS_24const_host_device_scalarIT6_EEPKT1_S9_PKS3_PKT3_PKT4_S6_PT5_21rocsparse_index_base_b ; -- Begin function _ZN9rocsparseL21csrmvn_general_kernelILj256ELj2Ellf21rocsparse_complex_numIfES2_S2_EEvbT2_NS_24const_host_device_scalarIT6_EEPKT1_S9_PKS3_PKT3_PKT4_S6_PT5_21rocsparse_index_base_b
	.p2align	8
	.type	_ZN9rocsparseL21csrmvn_general_kernelILj256ELj2Ellf21rocsparse_complex_numIfES2_S2_EEvbT2_NS_24const_host_device_scalarIT6_EEPKT1_S9_PKS3_PKT3_PKT4_S6_PT5_21rocsparse_index_base_b,@function
_ZN9rocsparseL21csrmvn_general_kernelILj256ELj2Ellf21rocsparse_complex_numIfES2_S2_EEvbT2_NS_24const_host_device_scalarIT6_EEPKT1_S9_PKS3_PKT3_PKT4_S6_PT5_21rocsparse_index_base_b: ; @_ZN9rocsparseL21csrmvn_general_kernelILj256ELj2Ellf21rocsparse_complex_numIfES2_S2_EEvbT2_NS_24const_host_device_scalarIT6_EEPKT1_S9_PKS3_PKT3_PKT4_S6_PT5_21rocsparse_index_base_b
; %bb.0:
	s_clause 0x2
	s_load_b64 s[16:17], s[0:1], 0x50
	s_load_b256 s[8:15], s[0:1], 0x8
	s_load_b64 s[2:3], s[0:1], 0x40
	v_mov_b32_e32 v3, 0
	s_add_nc_u64 s[4:5], s[0:1], 16
	s_add_nc_u64 s[6:7], s[0:1], 64
	s_wait_kmcnt 0x0
	s_bitcmp1_b32 s17, 0
	s_cselect_b32 s5, s5, s11
	s_cselect_b32 s4, s4, s10
	;; [unrolled: 1-line block ×4, first 2 shown]
	s_clause 0x1
	flat_load_b64 v[4:5], v3, s[4:5]
	flat_load_b64 v[6:7], v3, s[2:3]
	s_wait_loadcnt_dscnt 0x101
	v_cmp_neq_f32_e32 vcc_lo, 0, v4
	s_wait_xcnt 0x0
	v_cmp_neq_f32_e64 s2, 0, v5
	s_wait_loadcnt_dscnt 0x0
	v_cmp_neq_f32_e64 s3, 1.0, v6
	v_cmp_neq_f32_e64 s4, 0, v7
	s_or_b32 s2, vcc_lo, s2
	s_or_b32 s3, s3, s4
	s_delay_alu instid0(SALU_CYCLE_1) | instskip(NEXT) | instid1(SALU_CYCLE_1)
	s_or_b32 s2, s2, s3
	s_and_saveexec_b32 s3, s2
	s_cbranch_execz .LBB286_12
; %bb.1:
	s_bfe_u32 s2, ttmp6, 0x4000c
	s_and_b32 s3, ttmp6, 15
	s_add_co_i32 s2, s2, 1
	s_getreg_b32 s4, hwreg(HW_REG_IB_STS2, 6, 4)
	s_mul_i32 s2, ttmp9, s2
	s_delay_alu instid0(SALU_CYCLE_1) | instskip(SKIP_2) | instid1(SALU_CYCLE_1)
	s_add_co_i32 s3, s3, s2
	s_cmp_eq_u32 s4, 0
	s_cselect_b32 s2, ttmp9, s3
	v_lshl_or_b32 v1, s2, 8, v0
	s_delay_alu instid0(VALU_DEP_1) | instskip(NEXT) | instid1(VALU_DEP_1)
	v_lshrrev_b32_e32 v2, 1, v1
	v_cmp_gt_i64_e32 vcc_lo, s[8:9], v[2:3]
	s_and_b32 exec_lo, exec_lo, vcc_lo
	s_cbranch_execz .LBB286_12
; %bb.2:
	v_mov_b64_e32 v[8:9], 0x8000000000000000
	v_mbcnt_lo_u32_b32 v1, -1, 0
	s_clause 0x3
	s_load_b32 s10, s[0:1], 0x58
	s_load_b64 s[2:3], s[0:1], 0x48
	s_load_b128 s[4:7], s[0:1], 0x28
	s_load_b64 s[18:19], s[0:1], 0x38
	v_dual_mov_b32 v11, 0 :: v_dual_bitop2_b32 v10, 1, v0 bitop3:0x40
	s_mov_b32 s11, 0
	s_wait_xcnt 0x0
	s_ashr_i32 s1, s16, 31
	v_pk_mul_f32 v[12:13], v[4:5], v[8:9]
	v_xor_b32_e32 v0, 1, v1
	s_mov_b32 s0, s16
	s_mov_b32 s17, s11
	s_lshl_b64 s[20:21], s[0:1], 3
	v_mov_b32_e32 v8, v13
	v_cmp_gt_i32_e32 vcc_lo, 32, v0
	v_cmp_neq_f32_e64 s0, 0, v6
	v_cmp_neq_f32_e64 s1, 0, v7
	v_dual_mov_b32 v9, v12 :: v_dual_cndmask_b32 v14, v1, v0
	v_sub_nc_u64_e64 v[0:1], v[10:11], s[16:17]
	v_cmp_eq_u32_e32 vcc_lo, 1, v10
	v_xor_b32_e32 v10, 0x80000000, v7
	s_delay_alu instid0(VALU_DEP_4)
	v_dual_mov_b32 v11, v6 :: v_dual_lshlrev_b32 v22, 2, v14
	s_wait_kmcnt 0x0
	s_lshl_b32 s10, s10, 7
	s_sub_nc_u64 s[18:19], s[18:19], s[20:21]
	s_or_b32 s1, s0, s1
	s_mov_b32 s20, s11
	s_branch .LBB286_5
.LBB286_3:                              ;   in Loop: Header=BB286_5 Depth=1
	s_wait_xcnt 0x0
	s_or_b32 exec_lo, exec_lo, s21
	global_store_b64 v[12:13], v[14:15], off
.LBB286_4:                              ;   in Loop: Header=BB286_5 Depth=1
	s_wait_xcnt 0x0
	s_or_b32 exec_lo, exec_lo, s0
	v_add_nc_u64_e32 v[2:3], s[10:11], v[2:3]
	s_delay_alu instid0(VALU_DEP_1) | instskip(SKIP_1) | instid1(SALU_CYCLE_1)
	v_cmp_le_i64_e64 s0, s[8:9], v[2:3]
	s_or_b32 s20, s0, s20
	s_and_not1_b32 exec_lo, exec_lo, s20
	s_cbranch_execz .LBB286_12
.LBB286_5:                              ; =>This Loop Header: Depth=1
                                        ;     Child Loop BB286_7 Depth 2
	v_lshlrev_b64_e32 v[12:13], 3, v[2:3]
	s_mov_b32 s21, exec_lo
	s_wait_dscnt 0x0
	s_delay_alu instid0(VALU_DEP_1)
	v_add_nc_u64_e32 v[14:15], s[14:15], v[12:13]
	v_add_nc_u64_e32 v[12:13], s[12:13], v[12:13]
	global_load_b64 v[16:17], v[14:15], off
	global_load_b64 v[18:19], v[12:13], off
	s_wait_xcnt 0x0
	v_dual_mov_b32 v13, 0 :: v_dual_mov_b32 v12, 0
	s_wait_loadcnt 0x1
	v_sub_nc_u64_e64 v[14:15], v[16:17], s[16:17]
	s_wait_loadcnt 0x0
	v_add_nc_u64_e32 v[16:17], v[18:19], v[0:1]
	s_delay_alu instid0(VALU_DEP_1)
	v_cmpx_lt_i64_e64 v[16:17], v[14:15]
	s_cbranch_execz .LBB286_9
; %bb.6:                                ;   in Loop: Header=BB286_5 Depth=1
	v_mov_b32_e32 v12, 0
	v_lshl_add_u64 v[18:19], v[16:17], 2, s[6:7]
	v_lshl_add_u64 v[20:21], v[16:17], 3, s[4:5]
	s_mov_b32 s22, 0
	s_delay_alu instid0(VALU_DEP_3)
	v_mov_b32_e32 v13, v12
.LBB286_7:                              ;   Parent Loop BB286_5 Depth=1
                                        ; =>  This Inner Loop Header: Depth=2
	global_load_b64 v[24:25], v[20:21], off
	global_load_b32 v26, v[18:19], off
	v_add_nc_u64_e32 v[16:17], 2, v[16:17]
	s_wait_xcnt 0x0
	v_add_nc_u64_e32 v[18:19], 8, v[18:19]
	v_add_nc_u64_e32 v[20:21], 16, v[20:21]
	s_delay_alu instid0(VALU_DEP_3)
	v_cmp_ge_i64_e64 s0, v[16:17], v[14:15]
	s_or_b32 s22, s0, s22
	s_wait_loadcnt 0x1
	v_lshl_add_u64 v[24:25], v[24:25], 3, s[18:19]
	s_wait_loadcnt 0x0
	v_pk_fma_f32 v[26:27], v[4:5], v[26:27], v[8:9] op_sel_hi:[1,0,1]
	global_load_b64 v[24:25], v[24:25], off
	s_wait_loadcnt 0x0
	v_pk_fma_f32 v[12:13], v[26:27], v[24:25], v[12:13] op_sel_hi:[1,0,1]
	s_delay_alu instid0(VALU_DEP_1)
	v_pk_fma_f32 v[12:13], v[26:27], v[24:25], v[12:13] op_sel:[1,1,0] op_sel_hi:[0,1,1] neg_lo:[1,0,0]
	s_wait_xcnt 0x0
	s_and_not1_b32 exec_lo, exec_lo, s22
	s_cbranch_execnz .LBB286_7
; %bb.8:                                ;   in Loop: Header=BB286_5 Depth=1
	s_or_b32 exec_lo, exec_lo, s22
.LBB286_9:                              ;   in Loop: Header=BB286_5 Depth=1
	s_delay_alu instid0(SALU_CYCLE_1)
	s_or_b32 exec_lo, exec_lo, s21
	ds_bpermute_b32 v14, v22, v12
	ds_bpermute_b32 v15, v22, v13
	s_and_saveexec_b32 s0, vcc_lo
	s_cbranch_execz .LBB286_4
; %bb.10:                               ;   in Loop: Header=BB286_5 Depth=1
	s_wait_dscnt 0x0
	v_pk_add_f32 v[14:15], v[12:13], v[14:15]
	v_lshl_add_u64 v[12:13], v[2:3], 3, s[2:3]
	s_and_saveexec_b32 s21, s1
	s_cbranch_execz .LBB286_3
; %bb.11:                               ;   in Loop: Header=BB286_5 Depth=1
	global_load_b64 v[16:17], v[12:13], off
	s_wait_loadcnt 0x0
	v_pk_fma_f32 v[14:15], v[6:7], v[16:17], v[14:15] op_sel_hi:[1,0,1]
	s_delay_alu instid0(VALU_DEP_1)
	v_pk_fma_f32 v[14:15], v[10:11], v[16:17], v[14:15] op_sel:[0,1,0]
	s_branch .LBB286_3
.LBB286_12:
	s_endpgm
	.section	.rodata,"a",@progbits
	.p2align	6, 0x0
	.amdhsa_kernel _ZN9rocsparseL21csrmvn_general_kernelILj256ELj2Ellf21rocsparse_complex_numIfES2_S2_EEvbT2_NS_24const_host_device_scalarIT6_EEPKT1_S9_PKS3_PKT3_PKT4_S6_PT5_21rocsparse_index_base_b
		.amdhsa_group_segment_fixed_size 0
		.amdhsa_private_segment_fixed_size 0
		.amdhsa_kernarg_size 344
		.amdhsa_user_sgpr_count 2
		.amdhsa_user_sgpr_dispatch_ptr 0
		.amdhsa_user_sgpr_queue_ptr 0
		.amdhsa_user_sgpr_kernarg_segment_ptr 1
		.amdhsa_user_sgpr_dispatch_id 0
		.amdhsa_user_sgpr_kernarg_preload_length 0
		.amdhsa_user_sgpr_kernarg_preload_offset 0
		.amdhsa_user_sgpr_private_segment_size 0
		.amdhsa_wavefront_size32 1
		.amdhsa_uses_dynamic_stack 0
		.amdhsa_enable_private_segment 0
		.amdhsa_system_sgpr_workgroup_id_x 1
		.amdhsa_system_sgpr_workgroup_id_y 0
		.amdhsa_system_sgpr_workgroup_id_z 0
		.amdhsa_system_sgpr_workgroup_info 0
		.amdhsa_system_vgpr_workitem_id 0
		.amdhsa_next_free_vgpr 28
		.amdhsa_next_free_sgpr 23
		.amdhsa_named_barrier_count 0
		.amdhsa_reserve_vcc 1
		.amdhsa_float_round_mode_32 0
		.amdhsa_float_round_mode_16_64 0
		.amdhsa_float_denorm_mode_32 3
		.amdhsa_float_denorm_mode_16_64 3
		.amdhsa_fp16_overflow 0
		.amdhsa_memory_ordered 1
		.amdhsa_forward_progress 1
		.amdhsa_inst_pref_size 7
		.amdhsa_round_robin_scheduling 0
		.amdhsa_exception_fp_ieee_invalid_op 0
		.amdhsa_exception_fp_denorm_src 0
		.amdhsa_exception_fp_ieee_div_zero 0
		.amdhsa_exception_fp_ieee_overflow 0
		.amdhsa_exception_fp_ieee_underflow 0
		.amdhsa_exception_fp_ieee_inexact 0
		.amdhsa_exception_int_div_zero 0
	.end_amdhsa_kernel
	.section	.text._ZN9rocsparseL21csrmvn_general_kernelILj256ELj2Ellf21rocsparse_complex_numIfES2_S2_EEvbT2_NS_24const_host_device_scalarIT6_EEPKT1_S9_PKS3_PKT3_PKT4_S6_PT5_21rocsparse_index_base_b,"axG",@progbits,_ZN9rocsparseL21csrmvn_general_kernelILj256ELj2Ellf21rocsparse_complex_numIfES2_S2_EEvbT2_NS_24const_host_device_scalarIT6_EEPKT1_S9_PKS3_PKT3_PKT4_S6_PT5_21rocsparse_index_base_b,comdat
.Lfunc_end286:
	.size	_ZN9rocsparseL21csrmvn_general_kernelILj256ELj2Ellf21rocsparse_complex_numIfES2_S2_EEvbT2_NS_24const_host_device_scalarIT6_EEPKT1_S9_PKS3_PKT3_PKT4_S6_PT5_21rocsparse_index_base_b, .Lfunc_end286-_ZN9rocsparseL21csrmvn_general_kernelILj256ELj2Ellf21rocsparse_complex_numIfES2_S2_EEvbT2_NS_24const_host_device_scalarIT6_EEPKT1_S9_PKS3_PKT3_PKT4_S6_PT5_21rocsparse_index_base_b
                                        ; -- End function
	.set _ZN9rocsparseL21csrmvn_general_kernelILj256ELj2Ellf21rocsparse_complex_numIfES2_S2_EEvbT2_NS_24const_host_device_scalarIT6_EEPKT1_S9_PKS3_PKT3_PKT4_S6_PT5_21rocsparse_index_base_b.num_vgpr, 28
	.set _ZN9rocsparseL21csrmvn_general_kernelILj256ELj2Ellf21rocsparse_complex_numIfES2_S2_EEvbT2_NS_24const_host_device_scalarIT6_EEPKT1_S9_PKS3_PKT3_PKT4_S6_PT5_21rocsparse_index_base_b.num_agpr, 0
	.set _ZN9rocsparseL21csrmvn_general_kernelILj256ELj2Ellf21rocsparse_complex_numIfES2_S2_EEvbT2_NS_24const_host_device_scalarIT6_EEPKT1_S9_PKS3_PKT3_PKT4_S6_PT5_21rocsparse_index_base_b.numbered_sgpr, 23
	.set _ZN9rocsparseL21csrmvn_general_kernelILj256ELj2Ellf21rocsparse_complex_numIfES2_S2_EEvbT2_NS_24const_host_device_scalarIT6_EEPKT1_S9_PKS3_PKT3_PKT4_S6_PT5_21rocsparse_index_base_b.num_named_barrier, 0
	.set _ZN9rocsparseL21csrmvn_general_kernelILj256ELj2Ellf21rocsparse_complex_numIfES2_S2_EEvbT2_NS_24const_host_device_scalarIT6_EEPKT1_S9_PKS3_PKT3_PKT4_S6_PT5_21rocsparse_index_base_b.private_seg_size, 0
	.set _ZN9rocsparseL21csrmvn_general_kernelILj256ELj2Ellf21rocsparse_complex_numIfES2_S2_EEvbT2_NS_24const_host_device_scalarIT6_EEPKT1_S9_PKS3_PKT3_PKT4_S6_PT5_21rocsparse_index_base_b.uses_vcc, 1
	.set _ZN9rocsparseL21csrmvn_general_kernelILj256ELj2Ellf21rocsparse_complex_numIfES2_S2_EEvbT2_NS_24const_host_device_scalarIT6_EEPKT1_S9_PKS3_PKT3_PKT4_S6_PT5_21rocsparse_index_base_b.uses_flat_scratch, 1
	.set _ZN9rocsparseL21csrmvn_general_kernelILj256ELj2Ellf21rocsparse_complex_numIfES2_S2_EEvbT2_NS_24const_host_device_scalarIT6_EEPKT1_S9_PKS3_PKT3_PKT4_S6_PT5_21rocsparse_index_base_b.has_dyn_sized_stack, 0
	.set _ZN9rocsparseL21csrmvn_general_kernelILj256ELj2Ellf21rocsparse_complex_numIfES2_S2_EEvbT2_NS_24const_host_device_scalarIT6_EEPKT1_S9_PKS3_PKT3_PKT4_S6_PT5_21rocsparse_index_base_b.has_recursion, 0
	.set _ZN9rocsparseL21csrmvn_general_kernelILj256ELj2Ellf21rocsparse_complex_numIfES2_S2_EEvbT2_NS_24const_host_device_scalarIT6_EEPKT1_S9_PKS3_PKT3_PKT4_S6_PT5_21rocsparse_index_base_b.has_indirect_call, 0
	.section	.AMDGPU.csdata,"",@progbits
; Kernel info:
; codeLenInByte = 836
; TotalNumSgprs: 25
; NumVgprs: 28
; ScratchSize: 0
; MemoryBound: 0
; FloatMode: 240
; IeeeMode: 1
; LDSByteSize: 0 bytes/workgroup (compile time only)
; SGPRBlocks: 0
; VGPRBlocks: 1
; NumSGPRsForWavesPerEU: 25
; NumVGPRsForWavesPerEU: 28
; NamedBarCnt: 0
; Occupancy: 16
; WaveLimiterHint : 1
; COMPUTE_PGM_RSRC2:SCRATCH_EN: 0
; COMPUTE_PGM_RSRC2:USER_SGPR: 2
; COMPUTE_PGM_RSRC2:TRAP_HANDLER: 0
; COMPUTE_PGM_RSRC2:TGID_X_EN: 1
; COMPUTE_PGM_RSRC2:TGID_Y_EN: 0
; COMPUTE_PGM_RSRC2:TGID_Z_EN: 0
; COMPUTE_PGM_RSRC2:TIDIG_COMP_CNT: 0
	.section	.text._ZN9rocsparseL21csrmvn_general_kernelILj256ELj4Ellf21rocsparse_complex_numIfES2_S2_EEvbT2_NS_24const_host_device_scalarIT6_EEPKT1_S9_PKS3_PKT3_PKT4_S6_PT5_21rocsparse_index_base_b,"axG",@progbits,_ZN9rocsparseL21csrmvn_general_kernelILj256ELj4Ellf21rocsparse_complex_numIfES2_S2_EEvbT2_NS_24const_host_device_scalarIT6_EEPKT1_S9_PKS3_PKT3_PKT4_S6_PT5_21rocsparse_index_base_b,comdat
	.globl	_ZN9rocsparseL21csrmvn_general_kernelILj256ELj4Ellf21rocsparse_complex_numIfES2_S2_EEvbT2_NS_24const_host_device_scalarIT6_EEPKT1_S9_PKS3_PKT3_PKT4_S6_PT5_21rocsparse_index_base_b ; -- Begin function _ZN9rocsparseL21csrmvn_general_kernelILj256ELj4Ellf21rocsparse_complex_numIfES2_S2_EEvbT2_NS_24const_host_device_scalarIT6_EEPKT1_S9_PKS3_PKT3_PKT4_S6_PT5_21rocsparse_index_base_b
	.p2align	8
	.type	_ZN9rocsparseL21csrmvn_general_kernelILj256ELj4Ellf21rocsparse_complex_numIfES2_S2_EEvbT2_NS_24const_host_device_scalarIT6_EEPKT1_S9_PKS3_PKT3_PKT4_S6_PT5_21rocsparse_index_base_b,@function
_ZN9rocsparseL21csrmvn_general_kernelILj256ELj4Ellf21rocsparse_complex_numIfES2_S2_EEvbT2_NS_24const_host_device_scalarIT6_EEPKT1_S9_PKS3_PKT3_PKT4_S6_PT5_21rocsparse_index_base_b: ; @_ZN9rocsparseL21csrmvn_general_kernelILj256ELj4Ellf21rocsparse_complex_numIfES2_S2_EEvbT2_NS_24const_host_device_scalarIT6_EEPKT1_S9_PKS3_PKT3_PKT4_S6_PT5_21rocsparse_index_base_b
; %bb.0:
	s_clause 0x2
	s_load_b64 s[16:17], s[0:1], 0x50
	s_load_b256 s[8:15], s[0:1], 0x8
	s_load_b64 s[2:3], s[0:1], 0x40
	v_mov_b32_e32 v3, 0
	s_add_nc_u64 s[4:5], s[0:1], 16
	s_add_nc_u64 s[6:7], s[0:1], 64
	s_wait_kmcnt 0x0
	s_bitcmp1_b32 s17, 0
	s_cselect_b32 s5, s5, s11
	s_cselect_b32 s4, s4, s10
	s_cselect_b32 s3, s7, s3
	s_cselect_b32 s2, s6, s2
	s_clause 0x1
	flat_load_b64 v[4:5], v3, s[4:5]
	flat_load_b64 v[6:7], v3, s[2:3]
	s_wait_loadcnt_dscnt 0x101
	v_cmp_neq_f32_e32 vcc_lo, 0, v4
	s_wait_xcnt 0x0
	v_cmp_neq_f32_e64 s2, 0, v5
	s_wait_loadcnt_dscnt 0x0
	v_cmp_neq_f32_e64 s3, 1.0, v6
	v_cmp_neq_f32_e64 s4, 0, v7
	s_or_b32 s2, vcc_lo, s2
	s_or_b32 s3, s3, s4
	s_delay_alu instid0(SALU_CYCLE_1) | instskip(NEXT) | instid1(SALU_CYCLE_1)
	s_or_b32 s2, s2, s3
	s_and_saveexec_b32 s3, s2
	s_cbranch_execz .LBB287_12
; %bb.1:
	s_bfe_u32 s2, ttmp6, 0x4000c
	s_and_b32 s3, ttmp6, 15
	s_add_co_i32 s2, s2, 1
	s_getreg_b32 s4, hwreg(HW_REG_IB_STS2, 6, 4)
	s_mul_i32 s2, ttmp9, s2
	s_delay_alu instid0(SALU_CYCLE_1) | instskip(SKIP_2) | instid1(SALU_CYCLE_1)
	s_add_co_i32 s3, s3, s2
	s_cmp_eq_u32 s4, 0
	s_cselect_b32 s2, ttmp9, s3
	v_lshl_or_b32 v1, s2, 8, v0
	s_delay_alu instid0(VALU_DEP_1) | instskip(NEXT) | instid1(VALU_DEP_1)
	v_lshrrev_b32_e32 v2, 2, v1
	v_cmp_gt_i64_e32 vcc_lo, s[8:9], v[2:3]
	s_and_b32 exec_lo, exec_lo, vcc_lo
	s_cbranch_execz .LBB287_12
; %bb.2:
	v_mbcnt_lo_u32_b32 v14, -1, 0
	s_clause 0x3
	s_load_b32 s10, s[0:1], 0x58
	s_load_b64 s[2:3], s[0:1], 0x48
	s_load_b128 s[4:7], s[0:1], 0x28
	s_load_b64 s[18:19], s[0:1], 0x38
	v_dual_mov_b32 v11, 0 :: v_dual_bitop2_b32 v10, 3, v0 bitop3:0x40
	s_mov_b32 s11, 0
	v_xor_b32_e32 v16, 1, v14
	v_xor_b32_e32 v15, 2, v14
	v_mov_b64_e32 v[8:9], 0x8000000000000000
	s_mov_b32 s17, s11
	s_wait_xcnt 0x0
	s_ashr_i32 s1, s16, 31
	v_sub_nc_u64_e64 v[0:1], v[10:11], s[16:17]
	v_cmp_gt_i32_e32 vcc_lo, 32, v15
	s_mov_b32 s0, s16
	v_pk_mul_f32 v[12:13], v[4:5], v[8:9]
	s_lshl_b64 s[20:21], s[0:1], 3
	v_cndmask_b32_e32 v11, v14, v15, vcc_lo
	v_cmp_gt_i32_e32 vcc_lo, 32, v16
	v_cmp_neq_f32_e64 s0, 0, v6
	v_cmp_neq_f32_e64 s1, 0, v7
	v_dual_mov_b32 v8, v13 :: v_dual_mov_b32 v9, v12
	v_dual_cndmask_b32 v14, v14, v16, vcc_lo :: v_dual_lshlrev_b32 v22, 2, v11
	v_cmp_eq_u32_e32 vcc_lo, 3, v10
	v_xor_b32_e32 v10, 0x80000000, v7
	s_delay_alu instid0(VALU_DEP_3)
	v_dual_mov_b32 v11, v6 :: v_dual_lshlrev_b32 v23, 2, v14
	s_wait_kmcnt 0x0
	s_lshl_b32 s10, s10, 6
	s_sub_nc_u64 s[18:19], s[18:19], s[20:21]
	s_or_b32 s1, s0, s1
	s_mov_b32 s20, s11
	s_branch .LBB287_5
.LBB287_3:                              ;   in Loop: Header=BB287_5 Depth=1
	s_wait_xcnt 0x0
	s_or_b32 exec_lo, exec_lo, s21
	global_store_b64 v[12:13], v[14:15], off
.LBB287_4:                              ;   in Loop: Header=BB287_5 Depth=1
	s_wait_xcnt 0x0
	s_or_b32 exec_lo, exec_lo, s0
	v_add_nc_u64_e32 v[2:3], s[10:11], v[2:3]
	s_delay_alu instid0(VALU_DEP_1) | instskip(SKIP_1) | instid1(SALU_CYCLE_1)
	v_cmp_le_i64_e64 s0, s[8:9], v[2:3]
	s_or_b32 s20, s0, s20
	s_and_not1_b32 exec_lo, exec_lo, s20
	s_cbranch_execz .LBB287_12
.LBB287_5:                              ; =>This Loop Header: Depth=1
                                        ;     Child Loop BB287_7 Depth 2
	v_lshlrev_b64_e32 v[12:13], 3, v[2:3]
	s_mov_b32 s21, exec_lo
	s_wait_dscnt 0x0
	s_delay_alu instid0(VALU_DEP_1)
	v_add_nc_u64_e32 v[14:15], s[14:15], v[12:13]
	v_add_nc_u64_e32 v[12:13], s[12:13], v[12:13]
	global_load_b64 v[16:17], v[14:15], off
	global_load_b64 v[18:19], v[12:13], off
	s_wait_xcnt 0x0
	v_dual_mov_b32 v13, 0 :: v_dual_mov_b32 v12, 0
	s_wait_loadcnt 0x1
	v_sub_nc_u64_e64 v[14:15], v[16:17], s[16:17]
	s_wait_loadcnt 0x0
	v_add_nc_u64_e32 v[16:17], v[18:19], v[0:1]
	s_delay_alu instid0(VALU_DEP_1)
	v_cmpx_lt_i64_e64 v[16:17], v[14:15]
	s_cbranch_execz .LBB287_9
; %bb.6:                                ;   in Loop: Header=BB287_5 Depth=1
	v_mov_b32_e32 v12, 0
	v_lshl_add_u64 v[18:19], v[16:17], 2, s[6:7]
	v_lshl_add_u64 v[20:21], v[16:17], 3, s[4:5]
	s_mov_b32 s22, 0
	s_delay_alu instid0(VALU_DEP_3)
	v_mov_b32_e32 v13, v12
.LBB287_7:                              ;   Parent Loop BB287_5 Depth=1
                                        ; =>  This Inner Loop Header: Depth=2
	global_load_b64 v[24:25], v[20:21], off
	global_load_b32 v26, v[18:19], off
	v_add_nc_u64_e32 v[16:17], 4, v[16:17]
	s_wait_xcnt 0x0
	v_add_nc_u64_e32 v[18:19], 16, v[18:19]
	v_add_nc_u64_e32 v[20:21], 32, v[20:21]
	s_delay_alu instid0(VALU_DEP_3)
	v_cmp_ge_i64_e64 s0, v[16:17], v[14:15]
	s_or_b32 s22, s0, s22
	s_wait_loadcnt 0x1
	v_lshl_add_u64 v[24:25], v[24:25], 3, s[18:19]
	s_wait_loadcnt 0x0
	v_pk_fma_f32 v[26:27], v[4:5], v[26:27], v[8:9] op_sel_hi:[1,0,1]
	global_load_b64 v[24:25], v[24:25], off
	s_wait_loadcnt 0x0
	v_pk_fma_f32 v[12:13], v[26:27], v[24:25], v[12:13] op_sel_hi:[1,0,1]
	s_delay_alu instid0(VALU_DEP_1)
	v_pk_fma_f32 v[12:13], v[26:27], v[24:25], v[12:13] op_sel:[1,1,0] op_sel_hi:[0,1,1] neg_lo:[1,0,0]
	s_wait_xcnt 0x0
	s_and_not1_b32 exec_lo, exec_lo, s22
	s_cbranch_execnz .LBB287_7
; %bb.8:                                ;   in Loop: Header=BB287_5 Depth=1
	s_or_b32 exec_lo, exec_lo, s22
.LBB287_9:                              ;   in Loop: Header=BB287_5 Depth=1
	s_delay_alu instid0(SALU_CYCLE_1)
	s_or_b32 exec_lo, exec_lo, s21
	ds_bpermute_b32 v14, v22, v12
	ds_bpermute_b32 v15, v22, v13
	s_wait_dscnt 0x0
	v_pk_add_f32 v[12:13], v[12:13], v[14:15]
	ds_bpermute_b32 v14, v23, v12
	ds_bpermute_b32 v15, v23, v13
	s_and_saveexec_b32 s0, vcc_lo
	s_cbranch_execz .LBB287_4
; %bb.10:                               ;   in Loop: Header=BB287_5 Depth=1
	s_wait_dscnt 0x0
	v_pk_add_f32 v[14:15], v[12:13], v[14:15]
	v_lshl_add_u64 v[12:13], v[2:3], 3, s[2:3]
	s_and_saveexec_b32 s21, s1
	s_cbranch_execz .LBB287_3
; %bb.11:                               ;   in Loop: Header=BB287_5 Depth=1
	global_load_b64 v[16:17], v[12:13], off
	s_wait_loadcnt 0x0
	v_pk_fma_f32 v[14:15], v[6:7], v[16:17], v[14:15] op_sel_hi:[1,0,1]
	s_delay_alu instid0(VALU_DEP_1)
	v_pk_fma_f32 v[14:15], v[10:11], v[16:17], v[14:15] op_sel:[0,1,0]
	s_branch .LBB287_3
.LBB287_12:
	s_endpgm
	.section	.rodata,"a",@progbits
	.p2align	6, 0x0
	.amdhsa_kernel _ZN9rocsparseL21csrmvn_general_kernelILj256ELj4Ellf21rocsparse_complex_numIfES2_S2_EEvbT2_NS_24const_host_device_scalarIT6_EEPKT1_S9_PKS3_PKT3_PKT4_S6_PT5_21rocsparse_index_base_b
		.amdhsa_group_segment_fixed_size 0
		.amdhsa_private_segment_fixed_size 0
		.amdhsa_kernarg_size 344
		.amdhsa_user_sgpr_count 2
		.amdhsa_user_sgpr_dispatch_ptr 0
		.amdhsa_user_sgpr_queue_ptr 0
		.amdhsa_user_sgpr_kernarg_segment_ptr 1
		.amdhsa_user_sgpr_dispatch_id 0
		.amdhsa_user_sgpr_kernarg_preload_length 0
		.amdhsa_user_sgpr_kernarg_preload_offset 0
		.amdhsa_user_sgpr_private_segment_size 0
		.amdhsa_wavefront_size32 1
		.amdhsa_uses_dynamic_stack 0
		.amdhsa_enable_private_segment 0
		.amdhsa_system_sgpr_workgroup_id_x 1
		.amdhsa_system_sgpr_workgroup_id_y 0
		.amdhsa_system_sgpr_workgroup_id_z 0
		.amdhsa_system_sgpr_workgroup_info 0
		.amdhsa_system_vgpr_workitem_id 0
		.amdhsa_next_free_vgpr 28
		.amdhsa_next_free_sgpr 23
		.amdhsa_named_barrier_count 0
		.amdhsa_reserve_vcc 1
		.amdhsa_float_round_mode_32 0
		.amdhsa_float_round_mode_16_64 0
		.amdhsa_float_denorm_mode_32 3
		.amdhsa_float_denorm_mode_16_64 3
		.amdhsa_fp16_overflow 0
		.amdhsa_memory_ordered 1
		.amdhsa_forward_progress 1
		.amdhsa_inst_pref_size 7
		.amdhsa_round_robin_scheduling 0
		.amdhsa_exception_fp_ieee_invalid_op 0
		.amdhsa_exception_fp_denorm_src 0
		.amdhsa_exception_fp_ieee_div_zero 0
		.amdhsa_exception_fp_ieee_overflow 0
		.amdhsa_exception_fp_ieee_underflow 0
		.amdhsa_exception_fp_ieee_inexact 0
		.amdhsa_exception_int_div_zero 0
	.end_amdhsa_kernel
	.section	.text._ZN9rocsparseL21csrmvn_general_kernelILj256ELj4Ellf21rocsparse_complex_numIfES2_S2_EEvbT2_NS_24const_host_device_scalarIT6_EEPKT1_S9_PKS3_PKT3_PKT4_S6_PT5_21rocsparse_index_base_b,"axG",@progbits,_ZN9rocsparseL21csrmvn_general_kernelILj256ELj4Ellf21rocsparse_complex_numIfES2_S2_EEvbT2_NS_24const_host_device_scalarIT6_EEPKT1_S9_PKS3_PKT3_PKT4_S6_PT5_21rocsparse_index_base_b,comdat
.Lfunc_end287:
	.size	_ZN9rocsparseL21csrmvn_general_kernelILj256ELj4Ellf21rocsparse_complex_numIfES2_S2_EEvbT2_NS_24const_host_device_scalarIT6_EEPKT1_S9_PKS3_PKT3_PKT4_S6_PT5_21rocsparse_index_base_b, .Lfunc_end287-_ZN9rocsparseL21csrmvn_general_kernelILj256ELj4Ellf21rocsparse_complex_numIfES2_S2_EEvbT2_NS_24const_host_device_scalarIT6_EEPKT1_S9_PKS3_PKT3_PKT4_S6_PT5_21rocsparse_index_base_b
                                        ; -- End function
	.set _ZN9rocsparseL21csrmvn_general_kernelILj256ELj4Ellf21rocsparse_complex_numIfES2_S2_EEvbT2_NS_24const_host_device_scalarIT6_EEPKT1_S9_PKS3_PKT3_PKT4_S6_PT5_21rocsparse_index_base_b.num_vgpr, 28
	.set _ZN9rocsparseL21csrmvn_general_kernelILj256ELj4Ellf21rocsparse_complex_numIfES2_S2_EEvbT2_NS_24const_host_device_scalarIT6_EEPKT1_S9_PKS3_PKT3_PKT4_S6_PT5_21rocsparse_index_base_b.num_agpr, 0
	.set _ZN9rocsparseL21csrmvn_general_kernelILj256ELj4Ellf21rocsparse_complex_numIfES2_S2_EEvbT2_NS_24const_host_device_scalarIT6_EEPKT1_S9_PKS3_PKT3_PKT4_S6_PT5_21rocsparse_index_base_b.numbered_sgpr, 23
	.set _ZN9rocsparseL21csrmvn_general_kernelILj256ELj4Ellf21rocsparse_complex_numIfES2_S2_EEvbT2_NS_24const_host_device_scalarIT6_EEPKT1_S9_PKS3_PKT3_PKT4_S6_PT5_21rocsparse_index_base_b.num_named_barrier, 0
	.set _ZN9rocsparseL21csrmvn_general_kernelILj256ELj4Ellf21rocsparse_complex_numIfES2_S2_EEvbT2_NS_24const_host_device_scalarIT6_EEPKT1_S9_PKS3_PKT3_PKT4_S6_PT5_21rocsparse_index_base_b.private_seg_size, 0
	.set _ZN9rocsparseL21csrmvn_general_kernelILj256ELj4Ellf21rocsparse_complex_numIfES2_S2_EEvbT2_NS_24const_host_device_scalarIT6_EEPKT1_S9_PKS3_PKT3_PKT4_S6_PT5_21rocsparse_index_base_b.uses_vcc, 1
	.set _ZN9rocsparseL21csrmvn_general_kernelILj256ELj4Ellf21rocsparse_complex_numIfES2_S2_EEvbT2_NS_24const_host_device_scalarIT6_EEPKT1_S9_PKS3_PKT3_PKT4_S6_PT5_21rocsparse_index_base_b.uses_flat_scratch, 1
	.set _ZN9rocsparseL21csrmvn_general_kernelILj256ELj4Ellf21rocsparse_complex_numIfES2_S2_EEvbT2_NS_24const_host_device_scalarIT6_EEPKT1_S9_PKS3_PKT3_PKT4_S6_PT5_21rocsparse_index_base_b.has_dyn_sized_stack, 0
	.set _ZN9rocsparseL21csrmvn_general_kernelILj256ELj4Ellf21rocsparse_complex_numIfES2_S2_EEvbT2_NS_24const_host_device_scalarIT6_EEPKT1_S9_PKS3_PKT3_PKT4_S6_PT5_21rocsparse_index_base_b.has_recursion, 0
	.set _ZN9rocsparseL21csrmvn_general_kernelILj256ELj4Ellf21rocsparse_complex_numIfES2_S2_EEvbT2_NS_24const_host_device_scalarIT6_EEPKT1_S9_PKS3_PKT3_PKT4_S6_PT5_21rocsparse_index_base_b.has_indirect_call, 0
	.section	.AMDGPU.csdata,"",@progbits
; Kernel info:
; codeLenInByte = 888
; TotalNumSgprs: 25
; NumVgprs: 28
; ScratchSize: 0
; MemoryBound: 0
; FloatMode: 240
; IeeeMode: 1
; LDSByteSize: 0 bytes/workgroup (compile time only)
; SGPRBlocks: 0
; VGPRBlocks: 1
; NumSGPRsForWavesPerEU: 25
; NumVGPRsForWavesPerEU: 28
; NamedBarCnt: 0
; Occupancy: 16
; WaveLimiterHint : 1
; COMPUTE_PGM_RSRC2:SCRATCH_EN: 0
; COMPUTE_PGM_RSRC2:USER_SGPR: 2
; COMPUTE_PGM_RSRC2:TRAP_HANDLER: 0
; COMPUTE_PGM_RSRC2:TGID_X_EN: 1
; COMPUTE_PGM_RSRC2:TGID_Y_EN: 0
; COMPUTE_PGM_RSRC2:TGID_Z_EN: 0
; COMPUTE_PGM_RSRC2:TIDIG_COMP_CNT: 0
	.section	.text._ZN9rocsparseL21csrmvn_general_kernelILj256ELj8Ellf21rocsparse_complex_numIfES2_S2_EEvbT2_NS_24const_host_device_scalarIT6_EEPKT1_S9_PKS3_PKT3_PKT4_S6_PT5_21rocsparse_index_base_b,"axG",@progbits,_ZN9rocsparseL21csrmvn_general_kernelILj256ELj8Ellf21rocsparse_complex_numIfES2_S2_EEvbT2_NS_24const_host_device_scalarIT6_EEPKT1_S9_PKS3_PKT3_PKT4_S6_PT5_21rocsparse_index_base_b,comdat
	.globl	_ZN9rocsparseL21csrmvn_general_kernelILj256ELj8Ellf21rocsparse_complex_numIfES2_S2_EEvbT2_NS_24const_host_device_scalarIT6_EEPKT1_S9_PKS3_PKT3_PKT4_S6_PT5_21rocsparse_index_base_b ; -- Begin function _ZN9rocsparseL21csrmvn_general_kernelILj256ELj8Ellf21rocsparse_complex_numIfES2_S2_EEvbT2_NS_24const_host_device_scalarIT6_EEPKT1_S9_PKS3_PKT3_PKT4_S6_PT5_21rocsparse_index_base_b
	.p2align	8
	.type	_ZN9rocsparseL21csrmvn_general_kernelILj256ELj8Ellf21rocsparse_complex_numIfES2_S2_EEvbT2_NS_24const_host_device_scalarIT6_EEPKT1_S9_PKS3_PKT3_PKT4_S6_PT5_21rocsparse_index_base_b,@function
_ZN9rocsparseL21csrmvn_general_kernelILj256ELj8Ellf21rocsparse_complex_numIfES2_S2_EEvbT2_NS_24const_host_device_scalarIT6_EEPKT1_S9_PKS3_PKT3_PKT4_S6_PT5_21rocsparse_index_base_b: ; @_ZN9rocsparseL21csrmvn_general_kernelILj256ELj8Ellf21rocsparse_complex_numIfES2_S2_EEvbT2_NS_24const_host_device_scalarIT6_EEPKT1_S9_PKS3_PKT3_PKT4_S6_PT5_21rocsparse_index_base_b
; %bb.0:
	s_clause 0x2
	s_load_b64 s[16:17], s[0:1], 0x50
	s_load_b256 s[8:15], s[0:1], 0x8
	s_load_b64 s[2:3], s[0:1], 0x40
	v_mov_b32_e32 v3, 0
	s_add_nc_u64 s[4:5], s[0:1], 16
	s_add_nc_u64 s[6:7], s[0:1], 64
	s_wait_kmcnt 0x0
	s_bitcmp1_b32 s17, 0
	s_cselect_b32 s5, s5, s11
	s_cselect_b32 s4, s4, s10
	;; [unrolled: 1-line block ×4, first 2 shown]
	s_clause 0x1
	flat_load_b64 v[4:5], v3, s[4:5]
	flat_load_b64 v[6:7], v3, s[2:3]
	s_wait_loadcnt_dscnt 0x101
	v_cmp_neq_f32_e32 vcc_lo, 0, v4
	s_wait_xcnt 0x0
	v_cmp_neq_f32_e64 s2, 0, v5
	s_wait_loadcnt_dscnt 0x0
	v_cmp_neq_f32_e64 s3, 1.0, v6
	v_cmp_neq_f32_e64 s4, 0, v7
	s_or_b32 s2, vcc_lo, s2
	s_or_b32 s3, s3, s4
	s_delay_alu instid0(SALU_CYCLE_1) | instskip(NEXT) | instid1(SALU_CYCLE_1)
	s_or_b32 s2, s2, s3
	s_and_saveexec_b32 s3, s2
	s_cbranch_execz .LBB288_12
; %bb.1:
	s_bfe_u32 s2, ttmp6, 0x4000c
	s_and_b32 s3, ttmp6, 15
	s_add_co_i32 s2, s2, 1
	s_getreg_b32 s4, hwreg(HW_REG_IB_STS2, 6, 4)
	s_mul_i32 s2, ttmp9, s2
	s_delay_alu instid0(SALU_CYCLE_1) | instskip(SKIP_2) | instid1(SALU_CYCLE_1)
	s_add_co_i32 s3, s3, s2
	s_cmp_eq_u32 s4, 0
	s_cselect_b32 s2, ttmp9, s3
	v_lshl_or_b32 v1, s2, 8, v0
	s_delay_alu instid0(VALU_DEP_1) | instskip(NEXT) | instid1(VALU_DEP_1)
	v_lshrrev_b32_e32 v2, 3, v1
	v_cmp_gt_i64_e32 vcc_lo, s[8:9], v[2:3]
	s_and_b32 exec_lo, exec_lo, vcc_lo
	s_cbranch_execz .LBB288_12
; %bb.2:
	v_mov_b64_e32 v[8:9], 0x8000000000000000
	v_mbcnt_lo_u32_b32 v14, -1, 0
	v_dual_mov_b32 v11, 0 :: v_dual_bitop2_b32 v10, 7, v0 bitop3:0x40
	s_mov_b32 s11, 0
	s_clause 0x3
	s_load_b32 s10, s[0:1], 0x58
	s_load_b64 s[2:3], s[0:1], 0x48
	s_load_b128 s[4:7], s[0:1], 0x28
	s_load_b64 s[18:19], s[0:1], 0x38
	s_mov_b32 s17, s11
	v_pk_mul_f32 v[12:13], v[4:5], v[8:9]
	v_xor_b32_e32 v15, 4, v14
	v_sub_nc_u64_e64 v[0:1], v[10:11], s[16:17]
	s_wait_xcnt 0x0
	s_ashr_i32 s1, s16, 31
	s_mov_b32 s0, s16
	v_mov_b32_e32 v8, v13
	v_cmp_gt_i32_e32 vcc_lo, 32, v15
	v_xor_b32_e32 v9, 2, v14
	s_lshl_b64 s[20:21], s[0:1], 3
	v_cmp_neq_f32_e64 s0, 0, v6
	v_cmp_neq_f32_e64 s1, 0, v7
	v_cndmask_b32_e32 v15, v14, v15, vcc_lo
	v_cmp_gt_i32_e32 vcc_lo, 32, v9
	v_xor_b32_e32 v11, 1, v14
	s_wait_kmcnt 0x0
	s_lshl_b32 s10, s10, 5
	s_or_b32 s1, s0, s1
	v_cndmask_b32_e32 v13, v14, v9, vcc_lo
	v_cmp_gt_i32_e32 vcc_lo, 32, v11
	v_dual_mov_b32 v9, v12 :: v_dual_lshlrev_b32 v22, 2, v15
	s_sub_nc_u64 s[18:19], s[18:19], s[20:21]
	s_delay_alu instid0(VALU_DEP_3) | instskip(SKIP_3) | instid1(VALU_DEP_3)
	v_dual_lshlrev_b32 v23, 2, v13 :: v_dual_cndmask_b32 v11, v14, v11, vcc_lo
	v_cmp_eq_u32_e32 vcc_lo, 7, v10
	v_xor_b32_e32 v10, 0x80000000, v7
	s_mov_b32 s20, s11
	v_dual_mov_b32 v11, v6 :: v_dual_lshlrev_b32 v24, 2, v11
	s_branch .LBB288_5
.LBB288_3:                              ;   in Loop: Header=BB288_5 Depth=1
	s_wait_xcnt 0x0
	s_or_b32 exec_lo, exec_lo, s21
	global_store_b64 v[12:13], v[14:15], off
.LBB288_4:                              ;   in Loop: Header=BB288_5 Depth=1
	s_wait_xcnt 0x0
	s_or_b32 exec_lo, exec_lo, s0
	v_add_nc_u64_e32 v[2:3], s[10:11], v[2:3]
	s_delay_alu instid0(VALU_DEP_1) | instskip(SKIP_1) | instid1(SALU_CYCLE_1)
	v_cmp_le_i64_e64 s0, s[8:9], v[2:3]
	s_or_b32 s20, s0, s20
	s_and_not1_b32 exec_lo, exec_lo, s20
	s_cbranch_execz .LBB288_12
.LBB288_5:                              ; =>This Loop Header: Depth=1
                                        ;     Child Loop BB288_7 Depth 2
	v_lshlrev_b64_e32 v[12:13], 3, v[2:3]
	s_mov_b32 s21, exec_lo
	s_wait_dscnt 0x0
	s_delay_alu instid0(VALU_DEP_1)
	v_add_nc_u64_e32 v[14:15], s[14:15], v[12:13]
	v_add_nc_u64_e32 v[12:13], s[12:13], v[12:13]
	global_load_b64 v[16:17], v[14:15], off
	global_load_b64 v[18:19], v[12:13], off
	s_wait_xcnt 0x0
	v_dual_mov_b32 v13, 0 :: v_dual_mov_b32 v12, 0
	s_wait_loadcnt 0x1
	v_sub_nc_u64_e64 v[14:15], v[16:17], s[16:17]
	s_wait_loadcnt 0x0
	v_add_nc_u64_e32 v[16:17], v[18:19], v[0:1]
	s_delay_alu instid0(VALU_DEP_1)
	v_cmpx_lt_i64_e64 v[16:17], v[14:15]
	s_cbranch_execz .LBB288_9
; %bb.6:                                ;   in Loop: Header=BB288_5 Depth=1
	v_mov_b32_e32 v12, 0
	v_lshl_add_u64 v[18:19], v[16:17], 2, s[6:7]
	v_lshl_add_u64 v[20:21], v[16:17], 3, s[4:5]
	s_mov_b32 s22, 0
	s_delay_alu instid0(VALU_DEP_3)
	v_mov_b32_e32 v13, v12
.LBB288_7:                              ;   Parent Loop BB288_5 Depth=1
                                        ; =>  This Inner Loop Header: Depth=2
	global_load_b64 v[26:27], v[20:21], off
	global_load_b32 v28, v[18:19], off
	v_add_nc_u64_e32 v[16:17], 8, v[16:17]
	s_wait_xcnt 0x0
	v_add_nc_u64_e32 v[18:19], 32, v[18:19]
	v_add_nc_u64_e32 v[20:21], 64, v[20:21]
	s_delay_alu instid0(VALU_DEP_3)
	v_cmp_ge_i64_e64 s0, v[16:17], v[14:15]
	s_or_b32 s22, s0, s22
	s_wait_loadcnt 0x1
	v_lshl_add_u64 v[26:27], v[26:27], 3, s[18:19]
	s_wait_loadcnt 0x0
	v_pk_fma_f32 v[28:29], v[4:5], v[28:29], v[8:9] op_sel_hi:[1,0,1]
	global_load_b64 v[26:27], v[26:27], off
	s_wait_loadcnt 0x0
	v_pk_fma_f32 v[12:13], v[28:29], v[26:27], v[12:13] op_sel_hi:[1,0,1]
	s_delay_alu instid0(VALU_DEP_1)
	v_pk_fma_f32 v[12:13], v[28:29], v[26:27], v[12:13] op_sel:[1,1,0] op_sel_hi:[0,1,1] neg_lo:[1,0,0]
	s_wait_xcnt 0x0
	s_and_not1_b32 exec_lo, exec_lo, s22
	s_cbranch_execnz .LBB288_7
; %bb.8:                                ;   in Loop: Header=BB288_5 Depth=1
	s_or_b32 exec_lo, exec_lo, s22
.LBB288_9:                              ;   in Loop: Header=BB288_5 Depth=1
	s_delay_alu instid0(SALU_CYCLE_1)
	s_or_b32 exec_lo, exec_lo, s21
	ds_bpermute_b32 v14, v22, v12
	ds_bpermute_b32 v15, v22, v13
	s_wait_dscnt 0x0
	v_pk_add_f32 v[12:13], v[12:13], v[14:15]
	ds_bpermute_b32 v14, v23, v12
	ds_bpermute_b32 v15, v23, v13
	s_wait_dscnt 0x0
	v_pk_add_f32 v[12:13], v[12:13], v[14:15]
	ds_bpermute_b32 v14, v24, v12
	ds_bpermute_b32 v15, v24, v13
	s_and_saveexec_b32 s0, vcc_lo
	s_cbranch_execz .LBB288_4
; %bb.10:                               ;   in Loop: Header=BB288_5 Depth=1
	s_wait_dscnt 0x0
	v_pk_add_f32 v[14:15], v[12:13], v[14:15]
	v_lshl_add_u64 v[12:13], v[2:3], 3, s[2:3]
	s_and_saveexec_b32 s21, s1
	s_cbranch_execz .LBB288_3
; %bb.11:                               ;   in Loop: Header=BB288_5 Depth=1
	global_load_b64 v[16:17], v[12:13], off
	s_wait_loadcnt 0x0
	v_pk_fma_f32 v[14:15], v[6:7], v[16:17], v[14:15] op_sel_hi:[1,0,1]
	s_delay_alu instid0(VALU_DEP_1)
	v_pk_fma_f32 v[14:15], v[10:11], v[16:17], v[14:15] op_sel:[0,1,0]
	s_branch .LBB288_3
.LBB288_12:
	s_endpgm
	.section	.rodata,"a",@progbits
	.p2align	6, 0x0
	.amdhsa_kernel _ZN9rocsparseL21csrmvn_general_kernelILj256ELj8Ellf21rocsparse_complex_numIfES2_S2_EEvbT2_NS_24const_host_device_scalarIT6_EEPKT1_S9_PKS3_PKT3_PKT4_S6_PT5_21rocsparse_index_base_b
		.amdhsa_group_segment_fixed_size 0
		.amdhsa_private_segment_fixed_size 0
		.amdhsa_kernarg_size 344
		.amdhsa_user_sgpr_count 2
		.amdhsa_user_sgpr_dispatch_ptr 0
		.amdhsa_user_sgpr_queue_ptr 0
		.amdhsa_user_sgpr_kernarg_segment_ptr 1
		.amdhsa_user_sgpr_dispatch_id 0
		.amdhsa_user_sgpr_kernarg_preload_length 0
		.amdhsa_user_sgpr_kernarg_preload_offset 0
		.amdhsa_user_sgpr_private_segment_size 0
		.amdhsa_wavefront_size32 1
		.amdhsa_uses_dynamic_stack 0
		.amdhsa_enable_private_segment 0
		.amdhsa_system_sgpr_workgroup_id_x 1
		.amdhsa_system_sgpr_workgroup_id_y 0
		.amdhsa_system_sgpr_workgroup_id_z 0
		.amdhsa_system_sgpr_workgroup_info 0
		.amdhsa_system_vgpr_workitem_id 0
		.amdhsa_next_free_vgpr 30
		.amdhsa_next_free_sgpr 23
		.amdhsa_named_barrier_count 0
		.amdhsa_reserve_vcc 1
		.amdhsa_float_round_mode_32 0
		.amdhsa_float_round_mode_16_64 0
		.amdhsa_float_denorm_mode_32 3
		.amdhsa_float_denorm_mode_16_64 3
		.amdhsa_fp16_overflow 0
		.amdhsa_memory_ordered 1
		.amdhsa_forward_progress 1
		.amdhsa_inst_pref_size 8
		.amdhsa_round_robin_scheduling 0
		.amdhsa_exception_fp_ieee_invalid_op 0
		.amdhsa_exception_fp_denorm_src 0
		.amdhsa_exception_fp_ieee_div_zero 0
		.amdhsa_exception_fp_ieee_overflow 0
		.amdhsa_exception_fp_ieee_underflow 0
		.amdhsa_exception_fp_ieee_inexact 0
		.amdhsa_exception_int_div_zero 0
	.end_amdhsa_kernel
	.section	.text._ZN9rocsparseL21csrmvn_general_kernelILj256ELj8Ellf21rocsparse_complex_numIfES2_S2_EEvbT2_NS_24const_host_device_scalarIT6_EEPKT1_S9_PKS3_PKT3_PKT4_S6_PT5_21rocsparse_index_base_b,"axG",@progbits,_ZN9rocsparseL21csrmvn_general_kernelILj256ELj8Ellf21rocsparse_complex_numIfES2_S2_EEvbT2_NS_24const_host_device_scalarIT6_EEPKT1_S9_PKS3_PKT3_PKT4_S6_PT5_21rocsparse_index_base_b,comdat
.Lfunc_end288:
	.size	_ZN9rocsparseL21csrmvn_general_kernelILj256ELj8Ellf21rocsparse_complex_numIfES2_S2_EEvbT2_NS_24const_host_device_scalarIT6_EEPKT1_S9_PKS3_PKT3_PKT4_S6_PT5_21rocsparse_index_base_b, .Lfunc_end288-_ZN9rocsparseL21csrmvn_general_kernelILj256ELj8Ellf21rocsparse_complex_numIfES2_S2_EEvbT2_NS_24const_host_device_scalarIT6_EEPKT1_S9_PKS3_PKT3_PKT4_S6_PT5_21rocsparse_index_base_b
                                        ; -- End function
	.set _ZN9rocsparseL21csrmvn_general_kernelILj256ELj8Ellf21rocsparse_complex_numIfES2_S2_EEvbT2_NS_24const_host_device_scalarIT6_EEPKT1_S9_PKS3_PKT3_PKT4_S6_PT5_21rocsparse_index_base_b.num_vgpr, 30
	.set _ZN9rocsparseL21csrmvn_general_kernelILj256ELj8Ellf21rocsparse_complex_numIfES2_S2_EEvbT2_NS_24const_host_device_scalarIT6_EEPKT1_S9_PKS3_PKT3_PKT4_S6_PT5_21rocsparse_index_base_b.num_agpr, 0
	.set _ZN9rocsparseL21csrmvn_general_kernelILj256ELj8Ellf21rocsparse_complex_numIfES2_S2_EEvbT2_NS_24const_host_device_scalarIT6_EEPKT1_S9_PKS3_PKT3_PKT4_S6_PT5_21rocsparse_index_base_b.numbered_sgpr, 23
	.set _ZN9rocsparseL21csrmvn_general_kernelILj256ELj8Ellf21rocsparse_complex_numIfES2_S2_EEvbT2_NS_24const_host_device_scalarIT6_EEPKT1_S9_PKS3_PKT3_PKT4_S6_PT5_21rocsparse_index_base_b.num_named_barrier, 0
	.set _ZN9rocsparseL21csrmvn_general_kernelILj256ELj8Ellf21rocsparse_complex_numIfES2_S2_EEvbT2_NS_24const_host_device_scalarIT6_EEPKT1_S9_PKS3_PKT3_PKT4_S6_PT5_21rocsparse_index_base_b.private_seg_size, 0
	.set _ZN9rocsparseL21csrmvn_general_kernelILj256ELj8Ellf21rocsparse_complex_numIfES2_S2_EEvbT2_NS_24const_host_device_scalarIT6_EEPKT1_S9_PKS3_PKT3_PKT4_S6_PT5_21rocsparse_index_base_b.uses_vcc, 1
	.set _ZN9rocsparseL21csrmvn_general_kernelILj256ELj8Ellf21rocsparse_complex_numIfES2_S2_EEvbT2_NS_24const_host_device_scalarIT6_EEPKT1_S9_PKS3_PKT3_PKT4_S6_PT5_21rocsparse_index_base_b.uses_flat_scratch, 1
	.set _ZN9rocsparseL21csrmvn_general_kernelILj256ELj8Ellf21rocsparse_complex_numIfES2_S2_EEvbT2_NS_24const_host_device_scalarIT6_EEPKT1_S9_PKS3_PKT3_PKT4_S6_PT5_21rocsparse_index_base_b.has_dyn_sized_stack, 0
	.set _ZN9rocsparseL21csrmvn_general_kernelILj256ELj8Ellf21rocsparse_complex_numIfES2_S2_EEvbT2_NS_24const_host_device_scalarIT6_EEPKT1_S9_PKS3_PKT3_PKT4_S6_PT5_21rocsparse_index_base_b.has_recursion, 0
	.set _ZN9rocsparseL21csrmvn_general_kernelILj256ELj8Ellf21rocsparse_complex_numIfES2_S2_EEvbT2_NS_24const_host_device_scalarIT6_EEPKT1_S9_PKS3_PKT3_PKT4_S6_PT5_21rocsparse_index_base_b.has_indirect_call, 0
	.section	.AMDGPU.csdata,"",@progbits
; Kernel info:
; codeLenInByte = 928
; TotalNumSgprs: 25
; NumVgprs: 30
; ScratchSize: 0
; MemoryBound: 0
; FloatMode: 240
; IeeeMode: 1
; LDSByteSize: 0 bytes/workgroup (compile time only)
; SGPRBlocks: 0
; VGPRBlocks: 1
; NumSGPRsForWavesPerEU: 25
; NumVGPRsForWavesPerEU: 30
; NamedBarCnt: 0
; Occupancy: 16
; WaveLimiterHint : 1
; COMPUTE_PGM_RSRC2:SCRATCH_EN: 0
; COMPUTE_PGM_RSRC2:USER_SGPR: 2
; COMPUTE_PGM_RSRC2:TRAP_HANDLER: 0
; COMPUTE_PGM_RSRC2:TGID_X_EN: 1
; COMPUTE_PGM_RSRC2:TGID_Y_EN: 0
; COMPUTE_PGM_RSRC2:TGID_Z_EN: 0
; COMPUTE_PGM_RSRC2:TIDIG_COMP_CNT: 0
	.section	.text._ZN9rocsparseL21csrmvn_general_kernelILj256ELj16Ellf21rocsparse_complex_numIfES2_S2_EEvbT2_NS_24const_host_device_scalarIT6_EEPKT1_S9_PKS3_PKT3_PKT4_S6_PT5_21rocsparse_index_base_b,"axG",@progbits,_ZN9rocsparseL21csrmvn_general_kernelILj256ELj16Ellf21rocsparse_complex_numIfES2_S2_EEvbT2_NS_24const_host_device_scalarIT6_EEPKT1_S9_PKS3_PKT3_PKT4_S6_PT5_21rocsparse_index_base_b,comdat
	.globl	_ZN9rocsparseL21csrmvn_general_kernelILj256ELj16Ellf21rocsparse_complex_numIfES2_S2_EEvbT2_NS_24const_host_device_scalarIT6_EEPKT1_S9_PKS3_PKT3_PKT4_S6_PT5_21rocsparse_index_base_b ; -- Begin function _ZN9rocsparseL21csrmvn_general_kernelILj256ELj16Ellf21rocsparse_complex_numIfES2_S2_EEvbT2_NS_24const_host_device_scalarIT6_EEPKT1_S9_PKS3_PKT3_PKT4_S6_PT5_21rocsparse_index_base_b
	.p2align	8
	.type	_ZN9rocsparseL21csrmvn_general_kernelILj256ELj16Ellf21rocsparse_complex_numIfES2_S2_EEvbT2_NS_24const_host_device_scalarIT6_EEPKT1_S9_PKS3_PKT3_PKT4_S6_PT5_21rocsparse_index_base_b,@function
_ZN9rocsparseL21csrmvn_general_kernelILj256ELj16Ellf21rocsparse_complex_numIfES2_S2_EEvbT2_NS_24const_host_device_scalarIT6_EEPKT1_S9_PKS3_PKT3_PKT4_S6_PT5_21rocsparse_index_base_b: ; @_ZN9rocsparseL21csrmvn_general_kernelILj256ELj16Ellf21rocsparse_complex_numIfES2_S2_EEvbT2_NS_24const_host_device_scalarIT6_EEPKT1_S9_PKS3_PKT3_PKT4_S6_PT5_21rocsparse_index_base_b
; %bb.0:
	s_clause 0x2
	s_load_b64 s[16:17], s[0:1], 0x50
	s_load_b256 s[8:15], s[0:1], 0x8
	s_load_b64 s[2:3], s[0:1], 0x40
	v_mov_b32_e32 v3, 0
	s_add_nc_u64 s[4:5], s[0:1], 16
	s_add_nc_u64 s[6:7], s[0:1], 64
	s_wait_kmcnt 0x0
	s_bitcmp1_b32 s17, 0
	s_cselect_b32 s5, s5, s11
	s_cselect_b32 s4, s4, s10
	;; [unrolled: 1-line block ×4, first 2 shown]
	s_clause 0x1
	flat_load_b64 v[4:5], v3, s[4:5]
	flat_load_b64 v[6:7], v3, s[2:3]
	s_wait_loadcnt_dscnt 0x101
	v_cmp_neq_f32_e32 vcc_lo, 0, v4
	s_wait_xcnt 0x0
	v_cmp_neq_f32_e64 s2, 0, v5
	s_wait_loadcnt_dscnt 0x0
	v_cmp_neq_f32_e64 s3, 1.0, v6
	v_cmp_neq_f32_e64 s4, 0, v7
	s_or_b32 s2, vcc_lo, s2
	s_or_b32 s3, s3, s4
	s_delay_alu instid0(SALU_CYCLE_1) | instskip(NEXT) | instid1(SALU_CYCLE_1)
	s_or_b32 s2, s2, s3
	s_and_saveexec_b32 s3, s2
	s_cbranch_execz .LBB289_12
; %bb.1:
	s_bfe_u32 s2, ttmp6, 0x4000c
	s_and_b32 s3, ttmp6, 15
	s_add_co_i32 s2, s2, 1
	s_getreg_b32 s4, hwreg(HW_REG_IB_STS2, 6, 4)
	s_mul_i32 s2, ttmp9, s2
	s_delay_alu instid0(SALU_CYCLE_1) | instskip(SKIP_2) | instid1(SALU_CYCLE_1)
	s_add_co_i32 s3, s3, s2
	s_cmp_eq_u32 s4, 0
	s_cselect_b32 s2, ttmp9, s3
	v_lshl_or_b32 v1, s2, 8, v0
	s_delay_alu instid0(VALU_DEP_1) | instskip(NEXT) | instid1(VALU_DEP_1)
	v_lshrrev_b32_e32 v2, 4, v1
	v_cmp_gt_i64_e32 vcc_lo, s[8:9], v[2:3]
	s_and_b32 exec_lo, exec_lo, vcc_lo
	s_cbranch_execz .LBB289_12
; %bb.2:
	v_dual_mov_b32 v9, 0 :: v_dual_bitop2_b32 v8, 15, v0 bitop3:0x40
	v_mbcnt_lo_u32_b32 v14, -1, 0
	s_mov_b32 s11, 0
	v_mov_b64_e32 v[10:11], 0x8000000000000000
	s_mov_b32 s17, s11
	s_clause 0x3
	s_load_b32 s10, s[0:1], 0x58
	s_load_b64 s[2:3], s[0:1], 0x48
	s_load_b128 s[4:7], s[0:1], 0x28
	s_load_b64 s[18:19], s[0:1], 0x38
	v_sub_nc_u64_e64 v[0:1], v[8:9], s[16:17]
	v_xor_b32_e32 v15, 4, v14
	v_xor_b32_e32 v9, 8, v14
	;; [unrolled: 1-line block ×4, first 2 shown]
	v_pk_mul_f32 v[12:13], v[4:5], v[10:11]
	s_wait_xcnt 0x0
	s_ashr_i32 s1, s16, 31
	v_cmp_gt_i32_e32 vcc_lo, 32, v9
	s_mov_b32 s0, s16
	s_delay_alu instid0(SALU_CYCLE_1)
	s_lshl_b64 s[20:21], s[0:1], 3
	v_cmp_neq_f32_e64 s0, 0, v6
	v_cndmask_b32_e32 v9, v14, v9, vcc_lo
	v_cmp_gt_i32_e32 vcc_lo, 32, v15
	v_cmp_neq_f32_e64 s1, 0, v7
	s_wait_kmcnt 0x0
	s_lshl_b32 s10, s10, 4
	v_cndmask_b32_e32 v10, v14, v15, vcc_lo
	v_cmp_gt_i32_e32 vcc_lo, 32, v16
	v_dual_mov_b32 v9, v6 :: v_dual_lshlrev_b32 v22, 2, v9
	s_sub_nc_u64 s[18:19], s[18:19], s[20:21]
	s_delay_alu instid0(VALU_DEP_3)
	v_dual_lshlrev_b32 v23, 2, v10 :: v_dual_cndmask_b32 v11, v14, v16, vcc_lo
	v_cmp_gt_i32_e32 vcc_lo, 32, v17
	v_mov_b32_e32 v10, v13
	s_or_b32 s1, s0, s1
	s_mov_b32 s20, s11
	v_dual_cndmask_b32 v14, v14, v17, vcc_lo :: v_dual_lshlrev_b32 v24, 2, v11
	v_cmp_eq_u32_e32 vcc_lo, 15, v8
	v_xor_b32_e32 v8, 0x80000000, v7
	s_delay_alu instid0(VALU_DEP_3)
	v_dual_mov_b32 v11, v12 :: v_dual_lshlrev_b32 v25, 2, v14
	s_branch .LBB289_5
.LBB289_3:                              ;   in Loop: Header=BB289_5 Depth=1
	s_wait_xcnt 0x0
	s_or_b32 exec_lo, exec_lo, s21
	global_store_b64 v[12:13], v[14:15], off
.LBB289_4:                              ;   in Loop: Header=BB289_5 Depth=1
	s_wait_xcnt 0x0
	s_or_b32 exec_lo, exec_lo, s0
	v_add_nc_u64_e32 v[2:3], s[10:11], v[2:3]
	s_delay_alu instid0(VALU_DEP_1) | instskip(SKIP_1) | instid1(SALU_CYCLE_1)
	v_cmp_le_i64_e64 s0, s[8:9], v[2:3]
	s_or_b32 s20, s0, s20
	s_and_not1_b32 exec_lo, exec_lo, s20
	s_cbranch_execz .LBB289_12
.LBB289_5:                              ; =>This Loop Header: Depth=1
                                        ;     Child Loop BB289_7 Depth 2
	v_lshlrev_b64_e32 v[12:13], 3, v[2:3]
	s_mov_b32 s21, exec_lo
	s_wait_dscnt 0x0
	s_delay_alu instid0(VALU_DEP_1)
	v_add_nc_u64_e32 v[14:15], s[14:15], v[12:13]
	v_add_nc_u64_e32 v[12:13], s[12:13], v[12:13]
	global_load_b64 v[16:17], v[14:15], off
	global_load_b64 v[18:19], v[12:13], off
	s_wait_xcnt 0x0
	v_dual_mov_b32 v13, 0 :: v_dual_mov_b32 v12, 0
	s_wait_loadcnt 0x1
	v_sub_nc_u64_e64 v[14:15], v[16:17], s[16:17]
	s_wait_loadcnt 0x0
	v_add_nc_u64_e32 v[16:17], v[18:19], v[0:1]
	s_delay_alu instid0(VALU_DEP_1)
	v_cmpx_lt_i64_e64 v[16:17], v[14:15]
	s_cbranch_execz .LBB289_9
; %bb.6:                                ;   in Loop: Header=BB289_5 Depth=1
	v_mov_b32_e32 v12, 0
	v_lshl_add_u64 v[18:19], v[16:17], 2, s[6:7]
	v_lshl_add_u64 v[20:21], v[16:17], 3, s[4:5]
	s_mov_b32 s22, 0
	s_delay_alu instid0(VALU_DEP_3)
	v_mov_b32_e32 v13, v12
.LBB289_7:                              ;   Parent Loop BB289_5 Depth=1
                                        ; =>  This Inner Loop Header: Depth=2
	global_load_b64 v[26:27], v[20:21], off
	global_load_b32 v28, v[18:19], off
	v_add_nc_u64_e32 v[16:17], 16, v[16:17]
	s_wait_xcnt 0x0
	v_add_nc_u64_e32 v[18:19], 64, v[18:19]
	v_add_nc_u64_e32 v[20:21], 0x80, v[20:21]
	s_delay_alu instid0(VALU_DEP_3)
	v_cmp_ge_i64_e64 s0, v[16:17], v[14:15]
	s_or_b32 s22, s0, s22
	s_wait_loadcnt 0x1
	v_lshl_add_u64 v[26:27], v[26:27], 3, s[18:19]
	s_wait_loadcnt 0x0
	v_pk_fma_f32 v[28:29], v[4:5], v[28:29], v[10:11] op_sel_hi:[1,0,1]
	global_load_b64 v[26:27], v[26:27], off
	s_wait_loadcnt 0x0
	v_pk_fma_f32 v[12:13], v[28:29], v[26:27], v[12:13] op_sel_hi:[1,0,1]
	s_delay_alu instid0(VALU_DEP_1)
	v_pk_fma_f32 v[12:13], v[28:29], v[26:27], v[12:13] op_sel:[1,1,0] op_sel_hi:[0,1,1] neg_lo:[1,0,0]
	s_wait_xcnt 0x0
	s_and_not1_b32 exec_lo, exec_lo, s22
	s_cbranch_execnz .LBB289_7
; %bb.8:                                ;   in Loop: Header=BB289_5 Depth=1
	s_or_b32 exec_lo, exec_lo, s22
.LBB289_9:                              ;   in Loop: Header=BB289_5 Depth=1
	s_delay_alu instid0(SALU_CYCLE_1)
	s_or_b32 exec_lo, exec_lo, s21
	ds_bpermute_b32 v14, v22, v12
	ds_bpermute_b32 v15, v22, v13
	s_wait_dscnt 0x0
	v_pk_add_f32 v[12:13], v[12:13], v[14:15]
	ds_bpermute_b32 v14, v23, v12
	ds_bpermute_b32 v15, v23, v13
	s_wait_dscnt 0x0
	v_pk_add_f32 v[12:13], v[12:13], v[14:15]
	ds_bpermute_b32 v14, v24, v12
	ds_bpermute_b32 v15, v24, v13
	s_wait_dscnt 0x0
	v_pk_add_f32 v[12:13], v[12:13], v[14:15]
	ds_bpermute_b32 v14, v25, v12
	ds_bpermute_b32 v15, v25, v13
	s_and_saveexec_b32 s0, vcc_lo
	s_cbranch_execz .LBB289_4
; %bb.10:                               ;   in Loop: Header=BB289_5 Depth=1
	s_wait_dscnt 0x0
	v_pk_add_f32 v[14:15], v[12:13], v[14:15]
	v_lshl_add_u64 v[12:13], v[2:3], 3, s[2:3]
	s_and_saveexec_b32 s21, s1
	s_cbranch_execz .LBB289_3
; %bb.11:                               ;   in Loop: Header=BB289_5 Depth=1
	global_load_b64 v[16:17], v[12:13], off
	s_wait_loadcnt 0x0
	v_pk_fma_f32 v[14:15], v[6:7], v[16:17], v[14:15] op_sel_hi:[1,0,1]
	s_delay_alu instid0(VALU_DEP_1)
	v_pk_fma_f32 v[14:15], v[8:9], v[16:17], v[14:15] op_sel:[0,1,0]
	s_branch .LBB289_3
.LBB289_12:
	s_endpgm
	.section	.rodata,"a",@progbits
	.p2align	6, 0x0
	.amdhsa_kernel _ZN9rocsparseL21csrmvn_general_kernelILj256ELj16Ellf21rocsparse_complex_numIfES2_S2_EEvbT2_NS_24const_host_device_scalarIT6_EEPKT1_S9_PKS3_PKT3_PKT4_S6_PT5_21rocsparse_index_base_b
		.amdhsa_group_segment_fixed_size 0
		.amdhsa_private_segment_fixed_size 0
		.amdhsa_kernarg_size 344
		.amdhsa_user_sgpr_count 2
		.amdhsa_user_sgpr_dispatch_ptr 0
		.amdhsa_user_sgpr_queue_ptr 0
		.amdhsa_user_sgpr_kernarg_segment_ptr 1
		.amdhsa_user_sgpr_dispatch_id 0
		.amdhsa_user_sgpr_kernarg_preload_length 0
		.amdhsa_user_sgpr_kernarg_preload_offset 0
		.amdhsa_user_sgpr_private_segment_size 0
		.amdhsa_wavefront_size32 1
		.amdhsa_uses_dynamic_stack 0
		.amdhsa_enable_private_segment 0
		.amdhsa_system_sgpr_workgroup_id_x 1
		.amdhsa_system_sgpr_workgroup_id_y 0
		.amdhsa_system_sgpr_workgroup_id_z 0
		.amdhsa_system_sgpr_workgroup_info 0
		.amdhsa_system_vgpr_workitem_id 0
		.amdhsa_next_free_vgpr 30
		.amdhsa_next_free_sgpr 23
		.amdhsa_named_barrier_count 0
		.amdhsa_reserve_vcc 1
		.amdhsa_float_round_mode_32 0
		.amdhsa_float_round_mode_16_64 0
		.amdhsa_float_denorm_mode_32 3
		.amdhsa_float_denorm_mode_16_64 3
		.amdhsa_fp16_overflow 0
		.amdhsa_memory_ordered 1
		.amdhsa_forward_progress 1
		.amdhsa_inst_pref_size 8
		.amdhsa_round_robin_scheduling 0
		.amdhsa_exception_fp_ieee_invalid_op 0
		.amdhsa_exception_fp_denorm_src 0
		.amdhsa_exception_fp_ieee_div_zero 0
		.amdhsa_exception_fp_ieee_overflow 0
		.amdhsa_exception_fp_ieee_underflow 0
		.amdhsa_exception_fp_ieee_inexact 0
		.amdhsa_exception_int_div_zero 0
	.end_amdhsa_kernel
	.section	.text._ZN9rocsparseL21csrmvn_general_kernelILj256ELj16Ellf21rocsparse_complex_numIfES2_S2_EEvbT2_NS_24const_host_device_scalarIT6_EEPKT1_S9_PKS3_PKT3_PKT4_S6_PT5_21rocsparse_index_base_b,"axG",@progbits,_ZN9rocsparseL21csrmvn_general_kernelILj256ELj16Ellf21rocsparse_complex_numIfES2_S2_EEvbT2_NS_24const_host_device_scalarIT6_EEPKT1_S9_PKS3_PKT3_PKT4_S6_PT5_21rocsparse_index_base_b,comdat
.Lfunc_end289:
	.size	_ZN9rocsparseL21csrmvn_general_kernelILj256ELj16Ellf21rocsparse_complex_numIfES2_S2_EEvbT2_NS_24const_host_device_scalarIT6_EEPKT1_S9_PKS3_PKT3_PKT4_S6_PT5_21rocsparse_index_base_b, .Lfunc_end289-_ZN9rocsparseL21csrmvn_general_kernelILj256ELj16Ellf21rocsparse_complex_numIfES2_S2_EEvbT2_NS_24const_host_device_scalarIT6_EEPKT1_S9_PKS3_PKT3_PKT4_S6_PT5_21rocsparse_index_base_b
                                        ; -- End function
	.set _ZN9rocsparseL21csrmvn_general_kernelILj256ELj16Ellf21rocsparse_complex_numIfES2_S2_EEvbT2_NS_24const_host_device_scalarIT6_EEPKT1_S9_PKS3_PKT3_PKT4_S6_PT5_21rocsparse_index_base_b.num_vgpr, 30
	.set _ZN9rocsparseL21csrmvn_general_kernelILj256ELj16Ellf21rocsparse_complex_numIfES2_S2_EEvbT2_NS_24const_host_device_scalarIT6_EEPKT1_S9_PKS3_PKT3_PKT4_S6_PT5_21rocsparse_index_base_b.num_agpr, 0
	.set _ZN9rocsparseL21csrmvn_general_kernelILj256ELj16Ellf21rocsparse_complex_numIfES2_S2_EEvbT2_NS_24const_host_device_scalarIT6_EEPKT1_S9_PKS3_PKT3_PKT4_S6_PT5_21rocsparse_index_base_b.numbered_sgpr, 23
	.set _ZN9rocsparseL21csrmvn_general_kernelILj256ELj16Ellf21rocsparse_complex_numIfES2_S2_EEvbT2_NS_24const_host_device_scalarIT6_EEPKT1_S9_PKS3_PKT3_PKT4_S6_PT5_21rocsparse_index_base_b.num_named_barrier, 0
	.set _ZN9rocsparseL21csrmvn_general_kernelILj256ELj16Ellf21rocsparse_complex_numIfES2_S2_EEvbT2_NS_24const_host_device_scalarIT6_EEPKT1_S9_PKS3_PKT3_PKT4_S6_PT5_21rocsparse_index_base_b.private_seg_size, 0
	.set _ZN9rocsparseL21csrmvn_general_kernelILj256ELj16Ellf21rocsparse_complex_numIfES2_S2_EEvbT2_NS_24const_host_device_scalarIT6_EEPKT1_S9_PKS3_PKT3_PKT4_S6_PT5_21rocsparse_index_base_b.uses_vcc, 1
	.set _ZN9rocsparseL21csrmvn_general_kernelILj256ELj16Ellf21rocsparse_complex_numIfES2_S2_EEvbT2_NS_24const_host_device_scalarIT6_EEPKT1_S9_PKS3_PKT3_PKT4_S6_PT5_21rocsparse_index_base_b.uses_flat_scratch, 1
	.set _ZN9rocsparseL21csrmvn_general_kernelILj256ELj16Ellf21rocsparse_complex_numIfES2_S2_EEvbT2_NS_24const_host_device_scalarIT6_EEPKT1_S9_PKS3_PKT3_PKT4_S6_PT5_21rocsparse_index_base_b.has_dyn_sized_stack, 0
	.set _ZN9rocsparseL21csrmvn_general_kernelILj256ELj16Ellf21rocsparse_complex_numIfES2_S2_EEvbT2_NS_24const_host_device_scalarIT6_EEPKT1_S9_PKS3_PKT3_PKT4_S6_PT5_21rocsparse_index_base_b.has_recursion, 0
	.set _ZN9rocsparseL21csrmvn_general_kernelILj256ELj16Ellf21rocsparse_complex_numIfES2_S2_EEvbT2_NS_24const_host_device_scalarIT6_EEPKT1_S9_PKS3_PKT3_PKT4_S6_PT5_21rocsparse_index_base_b.has_indirect_call, 0
	.section	.AMDGPU.csdata,"",@progbits
; Kernel info:
; codeLenInByte = 992
; TotalNumSgprs: 25
; NumVgprs: 30
; ScratchSize: 0
; MemoryBound: 0
; FloatMode: 240
; IeeeMode: 1
; LDSByteSize: 0 bytes/workgroup (compile time only)
; SGPRBlocks: 0
; VGPRBlocks: 1
; NumSGPRsForWavesPerEU: 25
; NumVGPRsForWavesPerEU: 30
; NamedBarCnt: 0
; Occupancy: 16
; WaveLimiterHint : 1
; COMPUTE_PGM_RSRC2:SCRATCH_EN: 0
; COMPUTE_PGM_RSRC2:USER_SGPR: 2
; COMPUTE_PGM_RSRC2:TRAP_HANDLER: 0
; COMPUTE_PGM_RSRC2:TGID_X_EN: 1
; COMPUTE_PGM_RSRC2:TGID_Y_EN: 0
; COMPUTE_PGM_RSRC2:TGID_Z_EN: 0
; COMPUTE_PGM_RSRC2:TIDIG_COMP_CNT: 0
	.section	.text._ZN9rocsparseL21csrmvn_general_kernelILj256ELj32Ellf21rocsparse_complex_numIfES2_S2_EEvbT2_NS_24const_host_device_scalarIT6_EEPKT1_S9_PKS3_PKT3_PKT4_S6_PT5_21rocsparse_index_base_b,"axG",@progbits,_ZN9rocsparseL21csrmvn_general_kernelILj256ELj32Ellf21rocsparse_complex_numIfES2_S2_EEvbT2_NS_24const_host_device_scalarIT6_EEPKT1_S9_PKS3_PKT3_PKT4_S6_PT5_21rocsparse_index_base_b,comdat
	.globl	_ZN9rocsparseL21csrmvn_general_kernelILj256ELj32Ellf21rocsparse_complex_numIfES2_S2_EEvbT2_NS_24const_host_device_scalarIT6_EEPKT1_S9_PKS3_PKT3_PKT4_S6_PT5_21rocsparse_index_base_b ; -- Begin function _ZN9rocsparseL21csrmvn_general_kernelILj256ELj32Ellf21rocsparse_complex_numIfES2_S2_EEvbT2_NS_24const_host_device_scalarIT6_EEPKT1_S9_PKS3_PKT3_PKT4_S6_PT5_21rocsparse_index_base_b
	.p2align	8
	.type	_ZN9rocsparseL21csrmvn_general_kernelILj256ELj32Ellf21rocsparse_complex_numIfES2_S2_EEvbT2_NS_24const_host_device_scalarIT6_EEPKT1_S9_PKS3_PKT3_PKT4_S6_PT5_21rocsparse_index_base_b,@function
_ZN9rocsparseL21csrmvn_general_kernelILj256ELj32Ellf21rocsparse_complex_numIfES2_S2_EEvbT2_NS_24const_host_device_scalarIT6_EEPKT1_S9_PKS3_PKT3_PKT4_S6_PT5_21rocsparse_index_base_b: ; @_ZN9rocsparseL21csrmvn_general_kernelILj256ELj32Ellf21rocsparse_complex_numIfES2_S2_EEvbT2_NS_24const_host_device_scalarIT6_EEPKT1_S9_PKS3_PKT3_PKT4_S6_PT5_21rocsparse_index_base_b
; %bb.0:
	s_clause 0x2
	s_load_b64 s[16:17], s[0:1], 0x50
	s_load_b256 s[8:15], s[0:1], 0x8
	s_load_b64 s[2:3], s[0:1], 0x40
	v_mov_b32_e32 v3, 0
	s_add_nc_u64 s[4:5], s[0:1], 16
	s_add_nc_u64 s[6:7], s[0:1], 64
	s_wait_kmcnt 0x0
	s_bitcmp1_b32 s17, 0
	s_cselect_b32 s5, s5, s11
	s_cselect_b32 s4, s4, s10
	;; [unrolled: 1-line block ×4, first 2 shown]
	s_clause 0x1
	flat_load_b64 v[4:5], v3, s[4:5]
	flat_load_b64 v[6:7], v3, s[2:3]
	s_wait_loadcnt_dscnt 0x101
	v_cmp_neq_f32_e32 vcc_lo, 0, v4
	s_wait_xcnt 0x0
	v_cmp_neq_f32_e64 s2, 0, v5
	s_wait_loadcnt_dscnt 0x0
	v_cmp_neq_f32_e64 s3, 1.0, v6
	v_cmp_neq_f32_e64 s4, 0, v7
	s_or_b32 s2, vcc_lo, s2
	s_or_b32 s3, s3, s4
	s_delay_alu instid0(SALU_CYCLE_1) | instskip(NEXT) | instid1(SALU_CYCLE_1)
	s_or_b32 s2, s2, s3
	s_and_saveexec_b32 s3, s2
	s_cbranch_execz .LBB290_12
; %bb.1:
	s_bfe_u32 s2, ttmp6, 0x4000c
	s_and_b32 s3, ttmp6, 15
	s_add_co_i32 s2, s2, 1
	s_getreg_b32 s4, hwreg(HW_REG_IB_STS2, 6, 4)
	s_mul_i32 s2, ttmp9, s2
	s_delay_alu instid0(SALU_CYCLE_1) | instskip(SKIP_2) | instid1(SALU_CYCLE_1)
	s_add_co_i32 s3, s3, s2
	s_cmp_eq_u32 s4, 0
	s_cselect_b32 s2, ttmp9, s3
	v_lshl_or_b32 v1, s2, 8, v0
	s_delay_alu instid0(VALU_DEP_1) | instskip(NEXT) | instid1(VALU_DEP_1)
	v_lshrrev_b32_e32 v2, 5, v1
	v_cmp_gt_i64_e32 vcc_lo, s[8:9], v[2:3]
	s_and_b32 exec_lo, exec_lo, vcc_lo
	s_cbranch_execz .LBB290_12
; %bb.2:
	v_mov_b64_e32 v[8:9], 0x8000000000000000
	v_dual_mov_b32 v11, 0 :: v_dual_bitop2_b32 v10, 31, v0 bitop3:0x40
	v_mbcnt_lo_u32_b32 v14, -1, 0
	s_mov_b32 s11, 0
	s_clause 0x3
	s_load_b32 s10, s[0:1], 0x58
	s_load_b64 s[2:3], s[0:1], 0x48
	s_load_b128 s[4:7], s[0:1], 0x28
	s_load_b64 s[18:19], s[0:1], 0x38
	s_mov_b32 s17, s11
	v_pk_mul_f32 v[12:13], v[4:5], v[8:9]
	v_sub_nc_u64_e64 v[0:1], v[10:11], s[16:17]
	v_xor_b32_e32 v11, 16, v14
	v_xor_b32_e32 v15, 8, v14
	s_wait_xcnt 0x0
	s_ashr_i32 s1, s16, 31
	v_dual_mov_b32 v8, v13 :: v_dual_mov_b32 v9, v12
	v_cmp_gt_i32_e32 vcc_lo, 32, v11
	s_mov_b32 s0, s16
	v_xor_b32_e32 v12, 4, v14
	s_lshl_b64 s[20:21], s[0:1], 3
	v_cmp_neq_f32_e64 s0, 0, v6
	v_cndmask_b32_e32 v11, v14, v11, vcc_lo
	v_cmp_gt_i32_e32 vcc_lo, 32, v15
	v_xor_b32_e32 v13, 2, v14
	v_cmp_neq_f32_e64 s1, 0, v7
	s_wait_kmcnt 0x0
	s_lshl_b32 s10, s10, 3
	v_cndmask_b32_e32 v15, v14, v15, vcc_lo
	v_cmp_gt_i32_e32 vcc_lo, 32, v12
	v_xor_b32_e32 v16, 1, v14
	s_sub_nc_u64 s[18:19], s[18:19], s[20:21]
	s_or_b32 s1, s0, s1
	s_mov_b32 s20, s11
	v_cndmask_b32_e32 v12, v14, v12, vcc_lo
	v_cmp_gt_i32_e32 vcc_lo, 32, v13
	v_dual_mov_b32 v11, v6 :: v_dual_lshlrev_b32 v22, 2, v11
	s_delay_alu instid0(VALU_DEP_3) | instskip(SKIP_2) | instid1(VALU_DEP_3)
	v_dual_cndmask_b32 v13, v14, v13 :: v_dual_lshlrev_b32 v24, 2, v12
	v_cmp_gt_i32_e32 vcc_lo, 32, v16
	v_dual_cndmask_b32 v14, v14, v16 :: v_dual_lshlrev_b32 v23, 2, v15
	v_lshlrev_b32_e32 v25, 2, v13
	v_cmp_eq_u32_e32 vcc_lo, 31, v10
	v_xor_b32_e32 v10, 0x80000000, v7
	s_delay_alu instid0(VALU_DEP_4)
	v_lshlrev_b32_e32 v26, 2, v14
	s_branch .LBB290_5
.LBB290_3:                              ;   in Loop: Header=BB290_5 Depth=1
	s_wait_xcnt 0x0
	s_or_b32 exec_lo, exec_lo, s21
	global_store_b64 v[12:13], v[14:15], off
.LBB290_4:                              ;   in Loop: Header=BB290_5 Depth=1
	s_wait_xcnt 0x0
	s_or_b32 exec_lo, exec_lo, s0
	v_add_nc_u64_e32 v[2:3], s[10:11], v[2:3]
	s_delay_alu instid0(VALU_DEP_1) | instskip(SKIP_1) | instid1(SALU_CYCLE_1)
	v_cmp_le_i64_e64 s0, s[8:9], v[2:3]
	s_or_b32 s20, s0, s20
	s_and_not1_b32 exec_lo, exec_lo, s20
	s_cbranch_execz .LBB290_12
.LBB290_5:                              ; =>This Loop Header: Depth=1
                                        ;     Child Loop BB290_7 Depth 2
	v_lshlrev_b64_e32 v[12:13], 3, v[2:3]
	s_mov_b32 s21, exec_lo
	s_wait_dscnt 0x0
	s_delay_alu instid0(VALU_DEP_1)
	v_add_nc_u64_e32 v[14:15], s[14:15], v[12:13]
	v_add_nc_u64_e32 v[12:13], s[12:13], v[12:13]
	global_load_b64 v[16:17], v[14:15], off
	global_load_b64 v[18:19], v[12:13], off
	s_wait_xcnt 0x0
	v_dual_mov_b32 v13, 0 :: v_dual_mov_b32 v12, 0
	s_wait_loadcnt 0x1
	v_sub_nc_u64_e64 v[14:15], v[16:17], s[16:17]
	s_wait_loadcnt 0x0
	v_add_nc_u64_e32 v[16:17], v[18:19], v[0:1]
	s_delay_alu instid0(VALU_DEP_1)
	v_cmpx_lt_i64_e64 v[16:17], v[14:15]
	s_cbranch_execz .LBB290_9
; %bb.6:                                ;   in Loop: Header=BB290_5 Depth=1
	v_mov_b32_e32 v13, 0
	v_lshl_add_u64 v[18:19], v[16:17], 2, s[6:7]
	v_lshl_add_u64 v[20:21], v[16:17], 3, s[4:5]
	s_mov_b32 s22, 0
	s_delay_alu instid0(VALU_DEP_3)
	v_mov_b32_e32 v12, v13
.LBB290_7:                              ;   Parent Loop BB290_5 Depth=1
                                        ; =>  This Inner Loop Header: Depth=2
	global_load_b64 v[28:29], v[20:21], off
	global_load_b32 v30, v[18:19], off
	v_add_nc_u64_e32 v[16:17], 32, v[16:17]
	s_wait_xcnt 0x0
	v_add_nc_u64_e32 v[18:19], 0x80, v[18:19]
	v_add_nc_u64_e32 v[20:21], 0x100, v[20:21]
	s_delay_alu instid0(VALU_DEP_3)
	v_cmp_ge_i64_e64 s0, v[16:17], v[14:15]
	s_or_b32 s22, s0, s22
	s_wait_loadcnt 0x1
	v_lshl_add_u64 v[28:29], v[28:29], 3, s[18:19]
	s_wait_loadcnt 0x0
	v_pk_fma_f32 v[30:31], v[4:5], v[30:31], v[8:9] op_sel_hi:[1,0,1]
	global_load_b64 v[28:29], v[28:29], off
	s_wait_loadcnt 0x0
	v_pk_fma_f32 v[12:13], v[30:31], v[28:29], v[12:13] op_sel_hi:[1,0,1]
	s_delay_alu instid0(VALU_DEP_1)
	v_pk_fma_f32 v[12:13], v[30:31], v[28:29], v[12:13] op_sel:[1,1,0] op_sel_hi:[0,1,1] neg_lo:[1,0,0]
	s_wait_xcnt 0x0
	s_and_not1_b32 exec_lo, exec_lo, s22
	s_cbranch_execnz .LBB290_7
; %bb.8:                                ;   in Loop: Header=BB290_5 Depth=1
	s_or_b32 exec_lo, exec_lo, s22
.LBB290_9:                              ;   in Loop: Header=BB290_5 Depth=1
	s_delay_alu instid0(SALU_CYCLE_1)
	s_or_b32 exec_lo, exec_lo, s21
	ds_bpermute_b32 v14, v22, v12
	ds_bpermute_b32 v15, v22, v13
	s_wait_dscnt 0x0
	v_pk_add_f32 v[12:13], v[12:13], v[14:15]
	ds_bpermute_b32 v14, v23, v12
	ds_bpermute_b32 v15, v23, v13
	s_wait_dscnt 0x0
	v_pk_add_f32 v[12:13], v[12:13], v[14:15]
	;; [unrolled: 4-line block ×4, first 2 shown]
	ds_bpermute_b32 v14, v26, v12
	ds_bpermute_b32 v15, v26, v13
	s_and_saveexec_b32 s0, vcc_lo
	s_cbranch_execz .LBB290_4
; %bb.10:                               ;   in Loop: Header=BB290_5 Depth=1
	s_wait_dscnt 0x0
	v_pk_add_f32 v[14:15], v[12:13], v[14:15]
	v_lshl_add_u64 v[12:13], v[2:3], 3, s[2:3]
	s_and_saveexec_b32 s21, s1
	s_cbranch_execz .LBB290_3
; %bb.11:                               ;   in Loop: Header=BB290_5 Depth=1
	global_load_b64 v[16:17], v[12:13], off
	s_wait_loadcnt 0x0
	v_pk_fma_f32 v[14:15], v[6:7], v[16:17], v[14:15] op_sel_hi:[1,0,1]
	s_delay_alu instid0(VALU_DEP_1)
	v_pk_fma_f32 v[14:15], v[10:11], v[16:17], v[14:15] op_sel:[0,1,0]
	s_branch .LBB290_3
.LBB290_12:
	s_endpgm
	.section	.rodata,"a",@progbits
	.p2align	6, 0x0
	.amdhsa_kernel _ZN9rocsparseL21csrmvn_general_kernelILj256ELj32Ellf21rocsparse_complex_numIfES2_S2_EEvbT2_NS_24const_host_device_scalarIT6_EEPKT1_S9_PKS3_PKT3_PKT4_S6_PT5_21rocsparse_index_base_b
		.amdhsa_group_segment_fixed_size 0
		.amdhsa_private_segment_fixed_size 0
		.amdhsa_kernarg_size 344
		.amdhsa_user_sgpr_count 2
		.amdhsa_user_sgpr_dispatch_ptr 0
		.amdhsa_user_sgpr_queue_ptr 0
		.amdhsa_user_sgpr_kernarg_segment_ptr 1
		.amdhsa_user_sgpr_dispatch_id 0
		.amdhsa_user_sgpr_kernarg_preload_length 0
		.amdhsa_user_sgpr_kernarg_preload_offset 0
		.amdhsa_user_sgpr_private_segment_size 0
		.amdhsa_wavefront_size32 1
		.amdhsa_uses_dynamic_stack 0
		.amdhsa_enable_private_segment 0
		.amdhsa_system_sgpr_workgroup_id_x 1
		.amdhsa_system_sgpr_workgroup_id_y 0
		.amdhsa_system_sgpr_workgroup_id_z 0
		.amdhsa_system_sgpr_workgroup_info 0
		.amdhsa_system_vgpr_workitem_id 0
		.amdhsa_next_free_vgpr 32
		.amdhsa_next_free_sgpr 23
		.amdhsa_named_barrier_count 0
		.amdhsa_reserve_vcc 1
		.amdhsa_float_round_mode_32 0
		.amdhsa_float_round_mode_16_64 0
		.amdhsa_float_denorm_mode_32 3
		.amdhsa_float_denorm_mode_16_64 3
		.amdhsa_fp16_overflow 0
		.amdhsa_memory_ordered 1
		.amdhsa_forward_progress 1
		.amdhsa_inst_pref_size 8
		.amdhsa_round_robin_scheduling 0
		.amdhsa_exception_fp_ieee_invalid_op 0
		.amdhsa_exception_fp_denorm_src 0
		.amdhsa_exception_fp_ieee_div_zero 0
		.amdhsa_exception_fp_ieee_overflow 0
		.amdhsa_exception_fp_ieee_underflow 0
		.amdhsa_exception_fp_ieee_inexact 0
		.amdhsa_exception_int_div_zero 0
	.end_amdhsa_kernel
	.section	.text._ZN9rocsparseL21csrmvn_general_kernelILj256ELj32Ellf21rocsparse_complex_numIfES2_S2_EEvbT2_NS_24const_host_device_scalarIT6_EEPKT1_S9_PKS3_PKT3_PKT4_S6_PT5_21rocsparse_index_base_b,"axG",@progbits,_ZN9rocsparseL21csrmvn_general_kernelILj256ELj32Ellf21rocsparse_complex_numIfES2_S2_EEvbT2_NS_24const_host_device_scalarIT6_EEPKT1_S9_PKS3_PKT3_PKT4_S6_PT5_21rocsparse_index_base_b,comdat
.Lfunc_end290:
	.size	_ZN9rocsparseL21csrmvn_general_kernelILj256ELj32Ellf21rocsparse_complex_numIfES2_S2_EEvbT2_NS_24const_host_device_scalarIT6_EEPKT1_S9_PKS3_PKT3_PKT4_S6_PT5_21rocsparse_index_base_b, .Lfunc_end290-_ZN9rocsparseL21csrmvn_general_kernelILj256ELj32Ellf21rocsparse_complex_numIfES2_S2_EEvbT2_NS_24const_host_device_scalarIT6_EEPKT1_S9_PKS3_PKT3_PKT4_S6_PT5_21rocsparse_index_base_b
                                        ; -- End function
	.set _ZN9rocsparseL21csrmvn_general_kernelILj256ELj32Ellf21rocsparse_complex_numIfES2_S2_EEvbT2_NS_24const_host_device_scalarIT6_EEPKT1_S9_PKS3_PKT3_PKT4_S6_PT5_21rocsparse_index_base_b.num_vgpr, 32
	.set _ZN9rocsparseL21csrmvn_general_kernelILj256ELj32Ellf21rocsparse_complex_numIfES2_S2_EEvbT2_NS_24const_host_device_scalarIT6_EEPKT1_S9_PKS3_PKT3_PKT4_S6_PT5_21rocsparse_index_base_b.num_agpr, 0
	.set _ZN9rocsparseL21csrmvn_general_kernelILj256ELj32Ellf21rocsparse_complex_numIfES2_S2_EEvbT2_NS_24const_host_device_scalarIT6_EEPKT1_S9_PKS3_PKT3_PKT4_S6_PT5_21rocsparse_index_base_b.numbered_sgpr, 23
	.set _ZN9rocsparseL21csrmvn_general_kernelILj256ELj32Ellf21rocsparse_complex_numIfES2_S2_EEvbT2_NS_24const_host_device_scalarIT6_EEPKT1_S9_PKS3_PKT3_PKT4_S6_PT5_21rocsparse_index_base_b.num_named_barrier, 0
	.set _ZN9rocsparseL21csrmvn_general_kernelILj256ELj32Ellf21rocsparse_complex_numIfES2_S2_EEvbT2_NS_24const_host_device_scalarIT6_EEPKT1_S9_PKS3_PKT3_PKT4_S6_PT5_21rocsparse_index_base_b.private_seg_size, 0
	.set _ZN9rocsparseL21csrmvn_general_kernelILj256ELj32Ellf21rocsparse_complex_numIfES2_S2_EEvbT2_NS_24const_host_device_scalarIT6_EEPKT1_S9_PKS3_PKT3_PKT4_S6_PT5_21rocsparse_index_base_b.uses_vcc, 1
	.set _ZN9rocsparseL21csrmvn_general_kernelILj256ELj32Ellf21rocsparse_complex_numIfES2_S2_EEvbT2_NS_24const_host_device_scalarIT6_EEPKT1_S9_PKS3_PKT3_PKT4_S6_PT5_21rocsparse_index_base_b.uses_flat_scratch, 1
	.set _ZN9rocsparseL21csrmvn_general_kernelILj256ELj32Ellf21rocsparse_complex_numIfES2_S2_EEvbT2_NS_24const_host_device_scalarIT6_EEPKT1_S9_PKS3_PKT3_PKT4_S6_PT5_21rocsparse_index_base_b.has_dyn_sized_stack, 0
	.set _ZN9rocsparseL21csrmvn_general_kernelILj256ELj32Ellf21rocsparse_complex_numIfES2_S2_EEvbT2_NS_24const_host_device_scalarIT6_EEPKT1_S9_PKS3_PKT3_PKT4_S6_PT5_21rocsparse_index_base_b.has_recursion, 0
	.set _ZN9rocsparseL21csrmvn_general_kernelILj256ELj32Ellf21rocsparse_complex_numIfES2_S2_EEvbT2_NS_24const_host_device_scalarIT6_EEPKT1_S9_PKS3_PKT3_PKT4_S6_PT5_21rocsparse_index_base_b.has_indirect_call, 0
	.section	.AMDGPU.csdata,"",@progbits
; Kernel info:
; codeLenInByte = 1024
; TotalNumSgprs: 25
; NumVgprs: 32
; ScratchSize: 0
; MemoryBound: 0
; FloatMode: 240
; IeeeMode: 1
; LDSByteSize: 0 bytes/workgroup (compile time only)
; SGPRBlocks: 0
; VGPRBlocks: 1
; NumSGPRsForWavesPerEU: 25
; NumVGPRsForWavesPerEU: 32
; NamedBarCnt: 0
; Occupancy: 16
; WaveLimiterHint : 1
; COMPUTE_PGM_RSRC2:SCRATCH_EN: 0
; COMPUTE_PGM_RSRC2:USER_SGPR: 2
; COMPUTE_PGM_RSRC2:TRAP_HANDLER: 0
; COMPUTE_PGM_RSRC2:TGID_X_EN: 1
; COMPUTE_PGM_RSRC2:TGID_Y_EN: 0
; COMPUTE_PGM_RSRC2:TGID_Z_EN: 0
; COMPUTE_PGM_RSRC2:TIDIG_COMP_CNT: 0
	.section	.text._ZN9rocsparseL21csrmvn_general_kernelILj256ELj64Ellf21rocsparse_complex_numIfES2_S2_EEvbT2_NS_24const_host_device_scalarIT6_EEPKT1_S9_PKS3_PKT3_PKT4_S6_PT5_21rocsparse_index_base_b,"axG",@progbits,_ZN9rocsparseL21csrmvn_general_kernelILj256ELj64Ellf21rocsparse_complex_numIfES2_S2_EEvbT2_NS_24const_host_device_scalarIT6_EEPKT1_S9_PKS3_PKT3_PKT4_S6_PT5_21rocsparse_index_base_b,comdat
	.globl	_ZN9rocsparseL21csrmvn_general_kernelILj256ELj64Ellf21rocsparse_complex_numIfES2_S2_EEvbT2_NS_24const_host_device_scalarIT6_EEPKT1_S9_PKS3_PKT3_PKT4_S6_PT5_21rocsparse_index_base_b ; -- Begin function _ZN9rocsparseL21csrmvn_general_kernelILj256ELj64Ellf21rocsparse_complex_numIfES2_S2_EEvbT2_NS_24const_host_device_scalarIT6_EEPKT1_S9_PKS3_PKT3_PKT4_S6_PT5_21rocsparse_index_base_b
	.p2align	8
	.type	_ZN9rocsparseL21csrmvn_general_kernelILj256ELj64Ellf21rocsparse_complex_numIfES2_S2_EEvbT2_NS_24const_host_device_scalarIT6_EEPKT1_S9_PKS3_PKT3_PKT4_S6_PT5_21rocsparse_index_base_b,@function
_ZN9rocsparseL21csrmvn_general_kernelILj256ELj64Ellf21rocsparse_complex_numIfES2_S2_EEvbT2_NS_24const_host_device_scalarIT6_EEPKT1_S9_PKS3_PKT3_PKT4_S6_PT5_21rocsparse_index_base_b: ; @_ZN9rocsparseL21csrmvn_general_kernelILj256ELj64Ellf21rocsparse_complex_numIfES2_S2_EEvbT2_NS_24const_host_device_scalarIT6_EEPKT1_S9_PKS3_PKT3_PKT4_S6_PT5_21rocsparse_index_base_b
; %bb.0:
	s_clause 0x2
	s_load_b64 s[16:17], s[0:1], 0x50
	s_load_b256 s[8:15], s[0:1], 0x8
	s_load_b64 s[2:3], s[0:1], 0x40
	v_mov_b32_e32 v3, 0
	s_add_nc_u64 s[4:5], s[0:1], 16
	s_add_nc_u64 s[6:7], s[0:1], 64
	s_wait_kmcnt 0x0
	s_bitcmp1_b32 s17, 0
	s_cselect_b32 s5, s5, s11
	s_cselect_b32 s4, s4, s10
	;; [unrolled: 1-line block ×4, first 2 shown]
	s_clause 0x1
	flat_load_b64 v[4:5], v3, s[4:5]
	flat_load_b64 v[6:7], v3, s[2:3]
	s_wait_loadcnt_dscnt 0x101
	v_cmp_neq_f32_e32 vcc_lo, 0, v4
	s_wait_xcnt 0x0
	v_cmp_neq_f32_e64 s2, 0, v5
	s_wait_loadcnt_dscnt 0x0
	v_cmp_neq_f32_e64 s3, 1.0, v6
	v_cmp_neq_f32_e64 s4, 0, v7
	s_or_b32 s2, vcc_lo, s2
	s_or_b32 s3, s3, s4
	s_delay_alu instid0(SALU_CYCLE_1) | instskip(NEXT) | instid1(SALU_CYCLE_1)
	s_or_b32 s2, s2, s3
	s_and_saveexec_b32 s3, s2
	s_cbranch_execz .LBB291_12
; %bb.1:
	s_bfe_u32 s2, ttmp6, 0x4000c
	s_and_b32 s3, ttmp6, 15
	s_add_co_i32 s2, s2, 1
	s_getreg_b32 s4, hwreg(HW_REG_IB_STS2, 6, 4)
	s_mul_i32 s2, ttmp9, s2
	s_delay_alu instid0(SALU_CYCLE_1) | instskip(SKIP_2) | instid1(SALU_CYCLE_1)
	s_add_co_i32 s3, s3, s2
	s_cmp_eq_u32 s4, 0
	s_cselect_b32 s2, ttmp9, s3
	v_lshl_or_b32 v1, s2, 8, v0
	s_delay_alu instid0(VALU_DEP_1) | instskip(NEXT) | instid1(VALU_DEP_1)
	v_lshrrev_b32_e32 v2, 6, v1
	v_cmp_gt_i64_e32 vcc_lo, s[8:9], v[2:3]
	s_and_b32 exec_lo, exec_lo, vcc_lo
	s_cbranch_execz .LBB291_12
; %bb.2:
	v_mov_b64_e32 v[8:9], 0x8000000000000000
	v_mbcnt_lo_u32_b32 v14, -1, 0
	v_dual_mov_b32 v11, 0 :: v_dual_bitop2_b32 v10, 63, v0 bitop3:0x40
	s_mov_b32 s11, 0
	s_clause 0x3
	s_load_b32 s10, s[0:1], 0x58
	s_load_b64 s[2:3], s[0:1], 0x48
	s_load_b128 s[4:7], s[0:1], 0x28
	s_load_b64 s[18:19], s[0:1], 0x38
	s_mov_b32 s17, s11
	v_pk_mul_f32 v[12:13], v[4:5], v[8:9]
	v_or_b32_e32 v15, 32, v14
	v_sub_nc_u64_e64 v[0:1], v[10:11], s[16:17]
	s_wait_xcnt 0x0
	s_ashr_i32 s1, s16, 31
	s_mov_b32 s0, s16
	v_mov_b32_e32 v8, v13
	v_cmp_gt_i32_e32 vcc_lo, 32, v15
	v_xor_b32_e32 v11, 16, v14
	s_lshl_b64 s[20:21], s[0:1], 3
	v_cmp_neq_f32_e64 s0, 0, v6
	v_cmp_neq_f32_e64 s1, 0, v7
	v_dual_cndmask_b32 v15, v14, v15, vcc_lo :: v_dual_mov_b32 v9, v12
	v_cmp_gt_i32_e32 vcc_lo, 32, v11
	v_xor_b32_e32 v12, 8, v14
	s_wait_kmcnt 0x0
	s_lshl_b32 s10, s10, 2
	v_lshlrev_b32_e32 v22, 2, v15
	s_or_b32 s1, s0, s1
	v_cndmask_b32_e32 v11, v14, v11, vcc_lo
	v_cmp_gt_i32_e32 vcc_lo, 32, v12
	v_xor_b32_e32 v13, 4, v14
	s_sub_nc_u64 s[18:19], s[18:19], s[20:21]
	s_mov_b32 s20, s11
	v_dual_cndmask_b32 v12, v14, v12 :: v_dual_lshlrev_b32 v23, 2, v11
	s_delay_alu instid0(VALU_DEP_2) | instskip(SKIP_2) | instid1(VALU_DEP_2)
	v_cmp_gt_i32_e32 vcc_lo, 32, v13
	v_dual_mov_b32 v11, v6 :: v_dual_bitop2_b32 v15, 2, v14 bitop3:0x14
	v_cndmask_b32_e32 v13, v14, v13, vcc_lo
	v_cmp_gt_i32_e32 vcc_lo, 32, v15
	v_dual_lshlrev_b32 v24, 2, v12 :: v_dual_bitop2_b32 v16, 1, v14 bitop3:0x14
	s_delay_alu instid0(VALU_DEP_3) | instskip(NEXT) | instid1(VALU_DEP_2)
	v_dual_lshlrev_b32 v25, 2, v13 :: v_dual_cndmask_b32 v15, v14, v15, vcc_lo
	v_cmp_gt_i32_e32 vcc_lo, 32, v16
	s_delay_alu instid0(VALU_DEP_2) | instskip(SKIP_2) | instid1(VALU_DEP_3)
	v_dual_cndmask_b32 v14, v14, v16, vcc_lo :: v_dual_lshlrev_b32 v26, 2, v15
	v_cmp_eq_u32_e32 vcc_lo, 63, v10
	v_xor_b32_e32 v10, 0x80000000, v7
	v_lshlrev_b32_e32 v27, 2, v14
	s_branch .LBB291_5
.LBB291_3:                              ;   in Loop: Header=BB291_5 Depth=1
	s_wait_xcnt 0x0
	s_or_b32 exec_lo, exec_lo, s21
	global_store_b64 v[12:13], v[14:15], off
.LBB291_4:                              ;   in Loop: Header=BB291_5 Depth=1
	s_wait_xcnt 0x0
	s_or_b32 exec_lo, exec_lo, s0
	v_add_nc_u64_e32 v[2:3], s[10:11], v[2:3]
	s_delay_alu instid0(VALU_DEP_1) | instskip(SKIP_1) | instid1(SALU_CYCLE_1)
	v_cmp_le_i64_e64 s0, s[8:9], v[2:3]
	s_or_b32 s20, s0, s20
	s_and_not1_b32 exec_lo, exec_lo, s20
	s_cbranch_execz .LBB291_12
.LBB291_5:                              ; =>This Loop Header: Depth=1
                                        ;     Child Loop BB291_7 Depth 2
	v_lshlrev_b64_e32 v[12:13], 3, v[2:3]
	s_mov_b32 s21, exec_lo
	s_wait_dscnt 0x0
	s_delay_alu instid0(VALU_DEP_1)
	v_add_nc_u64_e32 v[14:15], s[14:15], v[12:13]
	v_add_nc_u64_e32 v[12:13], s[12:13], v[12:13]
	global_load_b64 v[16:17], v[14:15], off
	global_load_b64 v[18:19], v[12:13], off
	s_wait_xcnt 0x0
	v_dual_mov_b32 v13, 0 :: v_dual_mov_b32 v12, 0
	s_wait_loadcnt 0x1
	v_sub_nc_u64_e64 v[14:15], v[16:17], s[16:17]
	s_wait_loadcnt 0x0
	v_add_nc_u64_e32 v[16:17], v[18:19], v[0:1]
	s_delay_alu instid0(VALU_DEP_1)
	v_cmpx_lt_i64_e64 v[16:17], v[14:15]
	s_cbranch_execz .LBB291_9
; %bb.6:                                ;   in Loop: Header=BB291_5 Depth=1
	v_mov_b32_e32 v12, 0
	v_lshl_add_u64 v[18:19], v[16:17], 2, s[6:7]
	v_lshl_add_u64 v[20:21], v[16:17], 3, s[4:5]
	s_mov_b32 s22, 0
	s_delay_alu instid0(VALU_DEP_3)
	v_mov_b32_e32 v13, v12
.LBB291_7:                              ;   Parent Loop BB291_5 Depth=1
                                        ; =>  This Inner Loop Header: Depth=2
	global_load_b64 v[28:29], v[20:21], off
	global_load_b32 v30, v[18:19], off
	v_add_nc_u64_e32 v[16:17], 64, v[16:17]
	s_wait_xcnt 0x0
	v_add_nc_u64_e32 v[18:19], 0x100, v[18:19]
	v_add_nc_u64_e32 v[20:21], 0x200, v[20:21]
	s_delay_alu instid0(VALU_DEP_3)
	v_cmp_ge_i64_e64 s0, v[16:17], v[14:15]
	s_or_b32 s22, s0, s22
	s_wait_loadcnt 0x1
	v_lshl_add_u64 v[28:29], v[28:29], 3, s[18:19]
	s_wait_loadcnt 0x0
	v_pk_fma_f32 v[30:31], v[4:5], v[30:31], v[8:9] op_sel_hi:[1,0,1]
	global_load_b64 v[28:29], v[28:29], off
	s_wait_loadcnt 0x0
	v_pk_fma_f32 v[12:13], v[30:31], v[28:29], v[12:13] op_sel_hi:[1,0,1]
	s_delay_alu instid0(VALU_DEP_1)
	v_pk_fma_f32 v[12:13], v[30:31], v[28:29], v[12:13] op_sel:[1,1,0] op_sel_hi:[0,1,1] neg_lo:[1,0,0]
	s_wait_xcnt 0x0
	s_and_not1_b32 exec_lo, exec_lo, s22
	s_cbranch_execnz .LBB291_7
; %bb.8:                                ;   in Loop: Header=BB291_5 Depth=1
	s_or_b32 exec_lo, exec_lo, s22
.LBB291_9:                              ;   in Loop: Header=BB291_5 Depth=1
	s_delay_alu instid0(SALU_CYCLE_1)
	s_or_b32 exec_lo, exec_lo, s21
	ds_bpermute_b32 v14, v22, v12
	ds_bpermute_b32 v15, v22, v13
	s_wait_dscnt 0x0
	v_pk_add_f32 v[12:13], v[12:13], v[14:15]
	ds_bpermute_b32 v14, v23, v12
	ds_bpermute_b32 v15, v23, v13
	s_wait_dscnt 0x0
	v_pk_add_f32 v[12:13], v[12:13], v[14:15]
	ds_bpermute_b32 v14, v24, v12
	ds_bpermute_b32 v15, v24, v13
	s_wait_dscnt 0x0
	v_pk_add_f32 v[12:13], v[12:13], v[14:15]
	ds_bpermute_b32 v14, v25, v12
	ds_bpermute_b32 v15, v25, v13
	s_wait_dscnt 0x0
	v_pk_add_f32 v[12:13], v[12:13], v[14:15]
	ds_bpermute_b32 v14, v26, v12
	ds_bpermute_b32 v15, v26, v13
	s_wait_dscnt 0x0
	v_pk_add_f32 v[12:13], v[12:13], v[14:15]
	ds_bpermute_b32 v14, v27, v12
	ds_bpermute_b32 v15, v27, v13
	s_and_saveexec_b32 s0, vcc_lo
	s_cbranch_execz .LBB291_4
; %bb.10:                               ;   in Loop: Header=BB291_5 Depth=1
	s_wait_dscnt 0x0
	v_pk_add_f32 v[14:15], v[12:13], v[14:15]
	v_lshl_add_u64 v[12:13], v[2:3], 3, s[2:3]
	s_and_saveexec_b32 s21, s1
	s_cbranch_execz .LBB291_3
; %bb.11:                               ;   in Loop: Header=BB291_5 Depth=1
	global_load_b64 v[16:17], v[12:13], off
	s_wait_loadcnt 0x0
	v_pk_fma_f32 v[14:15], v[6:7], v[16:17], v[14:15] op_sel_hi:[1,0,1]
	s_delay_alu instid0(VALU_DEP_1)
	v_pk_fma_f32 v[14:15], v[10:11], v[16:17], v[14:15] op_sel:[0,1,0]
	s_branch .LBB291_3
.LBB291_12:
	s_endpgm
	.section	.rodata,"a",@progbits
	.p2align	6, 0x0
	.amdhsa_kernel _ZN9rocsparseL21csrmvn_general_kernelILj256ELj64Ellf21rocsparse_complex_numIfES2_S2_EEvbT2_NS_24const_host_device_scalarIT6_EEPKT1_S9_PKS3_PKT3_PKT4_S6_PT5_21rocsparse_index_base_b
		.amdhsa_group_segment_fixed_size 0
		.amdhsa_private_segment_fixed_size 0
		.amdhsa_kernarg_size 344
		.amdhsa_user_sgpr_count 2
		.amdhsa_user_sgpr_dispatch_ptr 0
		.amdhsa_user_sgpr_queue_ptr 0
		.amdhsa_user_sgpr_kernarg_segment_ptr 1
		.amdhsa_user_sgpr_dispatch_id 0
		.amdhsa_user_sgpr_kernarg_preload_length 0
		.amdhsa_user_sgpr_kernarg_preload_offset 0
		.amdhsa_user_sgpr_private_segment_size 0
		.amdhsa_wavefront_size32 1
		.amdhsa_uses_dynamic_stack 0
		.amdhsa_enable_private_segment 0
		.amdhsa_system_sgpr_workgroup_id_x 1
		.amdhsa_system_sgpr_workgroup_id_y 0
		.amdhsa_system_sgpr_workgroup_id_z 0
		.amdhsa_system_sgpr_workgroup_info 0
		.amdhsa_system_vgpr_workitem_id 0
		.amdhsa_next_free_vgpr 32
		.amdhsa_next_free_sgpr 23
		.amdhsa_named_barrier_count 0
		.amdhsa_reserve_vcc 1
		.amdhsa_float_round_mode_32 0
		.amdhsa_float_round_mode_16_64 0
		.amdhsa_float_denorm_mode_32 3
		.amdhsa_float_denorm_mode_16_64 3
		.amdhsa_fp16_overflow 0
		.amdhsa_memory_ordered 1
		.amdhsa_forward_progress 1
		.amdhsa_inst_pref_size 9
		.amdhsa_round_robin_scheduling 0
		.amdhsa_exception_fp_ieee_invalid_op 0
		.amdhsa_exception_fp_denorm_src 0
		.amdhsa_exception_fp_ieee_div_zero 0
		.amdhsa_exception_fp_ieee_overflow 0
		.amdhsa_exception_fp_ieee_underflow 0
		.amdhsa_exception_fp_ieee_inexact 0
		.amdhsa_exception_int_div_zero 0
	.end_amdhsa_kernel
	.section	.text._ZN9rocsparseL21csrmvn_general_kernelILj256ELj64Ellf21rocsparse_complex_numIfES2_S2_EEvbT2_NS_24const_host_device_scalarIT6_EEPKT1_S9_PKS3_PKT3_PKT4_S6_PT5_21rocsparse_index_base_b,"axG",@progbits,_ZN9rocsparseL21csrmvn_general_kernelILj256ELj64Ellf21rocsparse_complex_numIfES2_S2_EEvbT2_NS_24const_host_device_scalarIT6_EEPKT1_S9_PKS3_PKT3_PKT4_S6_PT5_21rocsparse_index_base_b,comdat
.Lfunc_end291:
	.size	_ZN9rocsparseL21csrmvn_general_kernelILj256ELj64Ellf21rocsparse_complex_numIfES2_S2_EEvbT2_NS_24const_host_device_scalarIT6_EEPKT1_S9_PKS3_PKT3_PKT4_S6_PT5_21rocsparse_index_base_b, .Lfunc_end291-_ZN9rocsparseL21csrmvn_general_kernelILj256ELj64Ellf21rocsparse_complex_numIfES2_S2_EEvbT2_NS_24const_host_device_scalarIT6_EEPKT1_S9_PKS3_PKT3_PKT4_S6_PT5_21rocsparse_index_base_b
                                        ; -- End function
	.set _ZN9rocsparseL21csrmvn_general_kernelILj256ELj64Ellf21rocsparse_complex_numIfES2_S2_EEvbT2_NS_24const_host_device_scalarIT6_EEPKT1_S9_PKS3_PKT3_PKT4_S6_PT5_21rocsparse_index_base_b.num_vgpr, 32
	.set _ZN9rocsparseL21csrmvn_general_kernelILj256ELj64Ellf21rocsparse_complex_numIfES2_S2_EEvbT2_NS_24const_host_device_scalarIT6_EEPKT1_S9_PKS3_PKT3_PKT4_S6_PT5_21rocsparse_index_base_b.num_agpr, 0
	.set _ZN9rocsparseL21csrmvn_general_kernelILj256ELj64Ellf21rocsparse_complex_numIfES2_S2_EEvbT2_NS_24const_host_device_scalarIT6_EEPKT1_S9_PKS3_PKT3_PKT4_S6_PT5_21rocsparse_index_base_b.numbered_sgpr, 23
	.set _ZN9rocsparseL21csrmvn_general_kernelILj256ELj64Ellf21rocsparse_complex_numIfES2_S2_EEvbT2_NS_24const_host_device_scalarIT6_EEPKT1_S9_PKS3_PKT3_PKT4_S6_PT5_21rocsparse_index_base_b.num_named_barrier, 0
	.set _ZN9rocsparseL21csrmvn_general_kernelILj256ELj64Ellf21rocsparse_complex_numIfES2_S2_EEvbT2_NS_24const_host_device_scalarIT6_EEPKT1_S9_PKS3_PKT3_PKT4_S6_PT5_21rocsparse_index_base_b.private_seg_size, 0
	.set _ZN9rocsparseL21csrmvn_general_kernelILj256ELj64Ellf21rocsparse_complex_numIfES2_S2_EEvbT2_NS_24const_host_device_scalarIT6_EEPKT1_S9_PKS3_PKT3_PKT4_S6_PT5_21rocsparse_index_base_b.uses_vcc, 1
	.set _ZN9rocsparseL21csrmvn_general_kernelILj256ELj64Ellf21rocsparse_complex_numIfES2_S2_EEvbT2_NS_24const_host_device_scalarIT6_EEPKT1_S9_PKS3_PKT3_PKT4_S6_PT5_21rocsparse_index_base_b.uses_flat_scratch, 1
	.set _ZN9rocsparseL21csrmvn_general_kernelILj256ELj64Ellf21rocsparse_complex_numIfES2_S2_EEvbT2_NS_24const_host_device_scalarIT6_EEPKT1_S9_PKS3_PKT3_PKT4_S6_PT5_21rocsparse_index_base_b.has_dyn_sized_stack, 0
	.set _ZN9rocsparseL21csrmvn_general_kernelILj256ELj64Ellf21rocsparse_complex_numIfES2_S2_EEvbT2_NS_24const_host_device_scalarIT6_EEPKT1_S9_PKS3_PKT3_PKT4_S6_PT5_21rocsparse_index_base_b.has_recursion, 0
	.set _ZN9rocsparseL21csrmvn_general_kernelILj256ELj64Ellf21rocsparse_complex_numIfES2_S2_EEvbT2_NS_24const_host_device_scalarIT6_EEPKT1_S9_PKS3_PKT3_PKT4_S6_PT5_21rocsparse_index_base_b.has_indirect_call, 0
	.section	.AMDGPU.csdata,"",@progbits
; Kernel info:
; codeLenInByte = 1092
; TotalNumSgprs: 25
; NumVgprs: 32
; ScratchSize: 0
; MemoryBound: 0
; FloatMode: 240
; IeeeMode: 1
; LDSByteSize: 0 bytes/workgroup (compile time only)
; SGPRBlocks: 0
; VGPRBlocks: 1
; NumSGPRsForWavesPerEU: 25
; NumVGPRsForWavesPerEU: 32
; NamedBarCnt: 0
; Occupancy: 16
; WaveLimiterHint : 1
; COMPUTE_PGM_RSRC2:SCRATCH_EN: 0
; COMPUTE_PGM_RSRC2:USER_SGPR: 2
; COMPUTE_PGM_RSRC2:TRAP_HANDLER: 0
; COMPUTE_PGM_RSRC2:TGID_X_EN: 1
; COMPUTE_PGM_RSRC2:TGID_Y_EN: 0
; COMPUTE_PGM_RSRC2:TGID_Z_EN: 0
; COMPUTE_PGM_RSRC2:TIDIG_COMP_CNT: 0
	.section	.text._ZN9rocsparseL21csrmvt_general_kernelILj256ELj4Ellf21rocsparse_complex_numIfES2_S2_EEvbbT2_NS_24const_host_device_scalarIT6_EEPKT1_S9_PKS3_PKT3_PKT4_PT5_21rocsparse_index_base_b,"axG",@progbits,_ZN9rocsparseL21csrmvt_general_kernelILj256ELj4Ellf21rocsparse_complex_numIfES2_S2_EEvbbT2_NS_24const_host_device_scalarIT6_EEPKT1_S9_PKS3_PKT3_PKT4_PT5_21rocsparse_index_base_b,comdat
	.globl	_ZN9rocsparseL21csrmvt_general_kernelILj256ELj4Ellf21rocsparse_complex_numIfES2_S2_EEvbbT2_NS_24const_host_device_scalarIT6_EEPKT1_S9_PKS3_PKT3_PKT4_PT5_21rocsparse_index_base_b ; -- Begin function _ZN9rocsparseL21csrmvt_general_kernelILj256ELj4Ellf21rocsparse_complex_numIfES2_S2_EEvbbT2_NS_24const_host_device_scalarIT6_EEPKT1_S9_PKS3_PKT3_PKT4_PT5_21rocsparse_index_base_b
	.p2align	8
	.type	_ZN9rocsparseL21csrmvt_general_kernelILj256ELj4Ellf21rocsparse_complex_numIfES2_S2_EEvbbT2_NS_24const_host_device_scalarIT6_EEPKT1_S9_PKS3_PKT3_PKT4_PT5_21rocsparse_index_base_b,@function
_ZN9rocsparseL21csrmvt_general_kernelILj256ELj4Ellf21rocsparse_complex_numIfES2_S2_EEvbbT2_NS_24const_host_device_scalarIT6_EEPKT1_S9_PKS3_PKT3_PKT4_PT5_21rocsparse_index_base_b: ; @_ZN9rocsparseL21csrmvt_general_kernelILj256ELj4Ellf21rocsparse_complex_numIfES2_S2_EEvbbT2_NS_24const_host_device_scalarIT6_EEPKT1_S9_PKS3_PKT3_PKT4_PT5_21rocsparse_index_base_b
; %bb.0:
	s_clause 0x1
	s_load_b64 s[20:21], s[0:1], 0x48
	s_load_b256 s[4:11], s[0:1], 0x8
	v_mov_b32_e32 v3, 0
	s_add_nc_u64 s[2:3], s[0:1], 16
	s_wait_kmcnt 0x0
	s_bitcmp1_b32 s21, 0
	s_cselect_b32 s3, s3, s7
	s_cselect_b32 s2, s2, s6
	flat_load_b64 v[4:5], v3, s[2:3]
	s_wait_xcnt 0x0
	s_mov_b32 s3, 0
	s_wait_loadcnt_dscnt 0x0
	v_cmp_neq_f32_e32 vcc_lo, 0, v4
	v_cmp_neq_f32_e64 s2, 0, v5
	s_or_b32 s2, vcc_lo, s2
	s_delay_alu instid0(SALU_CYCLE_1)
	s_and_saveexec_b32 s6, s2
	s_cbranch_execz .LBB292_18
; %bb.1:
	s_clause 0x1
	s_load_b32 s2, s[0:1], 0x0
	s_load_b32 s6, s[0:1], 0x50
	s_bfe_u32 s7, ttmp6, 0x4000c
	s_and_b32 s12, ttmp6, 15
	s_add_co_i32 s7, s7, 1
	s_getreg_b32 s13, hwreg(HW_REG_IB_STS2, 6, 4)
	s_mul_i32 s7, ttmp9, s7
	s_wait_kmcnt 0x0
	s_and_b32 s21, s2, 1
	s_lshl_b32 s2, s6, 6
	s_add_co_i32 s6, s12, s7
	s_cmp_eq_u32 s13, 0
	s_load_b256 s[12:19], s[0:1], 0x28
	s_wait_xcnt 0x0
	s_cselect_b32 s0, ttmp9, s6
	s_cmp_eq_u32 s21, 0
	v_lshl_or_b32 v1, s0, 8, v0
	s_mov_b32 s1, -1
	s_delay_alu instid0(VALU_DEP_1) | instskip(NEXT) | instid1(VALU_DEP_1)
	v_dual_lshrrev_b32 v2, 2, v1 :: v_dual_bitop2_b32 v0, 3, v0 bitop3:0x40
	v_cmp_gt_i64_e64 s0, s[4:5], v[2:3]
	s_cbranch_scc0 .LBB292_9
; %bb.2:
	s_and_saveexec_b32 s1, s0
	s_cbranch_execz .LBB292_8
; %bb.3:
	v_mov_b32_e32 v1, 0
	s_mov_b32 s21, 0
	v_mov_b64_e32 v[8:9], v[2:3]
	s_mov_b32 s6, s21
	s_delay_alu instid0(VALU_DEP_2)
	v_sub_nc_u64_e64 v[6:7], v[0:1], s[20:21]
	s_branch .LBB292_5
.LBB292_4:                              ;   in Loop: Header=BB292_5 Depth=1
	s_or_b32 exec_lo, exec_lo, s7
	v_add_nc_u64_e32 v[8:9], s[2:3], v[8:9]
	s_delay_alu instid0(VALU_DEP_1) | instskip(SKIP_1) | instid1(SALU_CYCLE_1)
	v_cmp_le_i64_e32 vcc_lo, s[4:5], v[8:9]
	s_or_b32 s6, vcc_lo, s6
	s_and_not1_b32 exec_lo, exec_lo, s6
	s_cbranch_execz .LBB292_8
.LBB292_5:                              ; =>This Loop Header: Depth=1
                                        ;     Child Loop BB292_7 Depth 2
	s_delay_alu instid0(VALU_DEP_2) | instskip(SKIP_1) | instid1(VALU_DEP_1)
	v_lshlrev_b64_e32 v[10:11], 3, v[8:9]
	s_mov_b32 s7, exec_lo
	v_add_nc_u64_e32 v[12:13], s[10:11], v[10:11]
	v_add_nc_u64_e32 v[10:11], s[8:9], v[10:11]
	global_load_b64 v[14:15], v[12:13], off
	global_load_b64 v[16:17], v[10:11], off
	s_wait_loadcnt 0x1
	s_wait_xcnt 0x0
	v_sub_nc_u64_e64 v[10:11], v[14:15], s[20:21]
	s_wait_loadcnt 0x0
	v_add_nc_u64_e32 v[12:13], v[16:17], v[6:7]
	s_delay_alu instid0(VALU_DEP_1)
	v_cmpx_lt_i64_e64 v[12:13], v[10:11]
	s_cbranch_execz .LBB292_4
; %bb.6:                                ;   in Loop: Header=BB292_5 Depth=1
	s_wait_kmcnt 0x0
	v_lshl_add_u64 v[14:15], v[8:9], 3, s[16:17]
	v_lshl_add_u64 v[16:17], v[12:13], 2, s[14:15]
	s_mov_b32 s22, 0
	global_load_b64 v[14:15], v[14:15], off
	s_wait_loadcnt 0x0
	v_dual_mul_f32 v1, v4, v15 :: v_dual_mul_f32 v18, v15, -v5
	s_delay_alu instid0(VALU_DEP_1) | instskip(SKIP_2) | instid1(VALU_DEP_2)
	v_dual_fmac_f32 v1, v5, v14 :: v_dual_fmac_f32 v18, v4, v14
	s_wait_xcnt 0x0
	v_lshl_add_u64 v[14:15], v[12:13], 3, s[12:13]
	v_dual_mul_f32 v19, 0x80000000, v1 :: v_dual_mul_f32 v20, 0, v18
.LBB292_7:                              ;   Parent Loop BB292_5 Depth=1
                                        ; =>  This Inner Loop Header: Depth=2
	global_load_b64 v[22:23], v[14:15], off
	global_load_b32 v21, v[16:17], off
	v_add_nc_u64_e32 v[12:13], 4, v[12:13]
	s_wait_xcnt 0x1
	v_add_nc_u64_e32 v[14:15], 32, v[14:15]
	s_wait_xcnt 0x0
	v_add_nc_u64_e32 v[16:17], 16, v[16:17]
	s_delay_alu instid0(VALU_DEP_3)
	v_cmp_ge_i64_e32 vcc_lo, v[12:13], v[10:11]
	s_or_b32 s22, vcc_lo, s22
	s_wait_loadcnt 0x1
	v_sub_nc_u64_e64 v[22:23], v[22:23], s[20:21]
	s_wait_loadcnt 0x0
	v_dual_fma_f32 v24, v18, v21, v19 :: v_dual_fma_f32 v21, v1, v21, v20
	s_delay_alu instid0(VALU_DEP_2)
	v_lshl_add_u64 v[22:23], v[22:23], 3, s[18:19]
	global_atomic_add_f32 v[22:23], v24, off scope:SCOPE_DEV
	s_wait_xcnt 0x0
	global_atomic_add_f32 v[22:23], v21, off offset:4 scope:SCOPE_DEV
	s_wait_xcnt 0x0
	s_and_not1_b32 exec_lo, exec_lo, s22
	s_cbranch_execnz .LBB292_7
	s_branch .LBB292_4
.LBB292_8:
	s_or_b32 exec_lo, exec_lo, s1
	s_mov_b32 s1, 0
.LBB292_9:
	s_delay_alu instid0(SALU_CYCLE_1)
	s_and_not1_b32 vcc_lo, exec_lo, s1
	s_cbranch_vccnz .LBB292_18
; %bb.10:
	s_and_b32 exec_lo, exec_lo, s0
	s_cbranch_execz .LBB292_18
; %bb.11:
	v_mov_b32_e32 v1, 0
	s_mov_b32 s21, 0
	s_delay_alu instid0(SALU_CYCLE_1) | instskip(NEXT) | instid1(VALU_DEP_1)
	s_mov_b32 s0, s21
	v_sub_nc_u64_e64 v[0:1], v[0:1], s[20:21]
	s_branch .LBB292_13
.LBB292_12:                             ;   in Loop: Header=BB292_13 Depth=1
	s_or_b32 exec_lo, exec_lo, s1
	v_add_nc_u64_e32 v[2:3], s[2:3], v[2:3]
	s_delay_alu instid0(VALU_DEP_1) | instskip(SKIP_1) | instid1(SALU_CYCLE_1)
	v_cmp_le_i64_e32 vcc_lo, s[4:5], v[2:3]
	s_or_b32 s0, vcc_lo, s0
	s_and_not1_b32 exec_lo, exec_lo, s0
	s_cbranch_execz .LBB292_18
.LBB292_13:                             ; =>This Loop Header: Depth=1
                                        ;     Child Loop BB292_16 Depth 2
	v_lshlrev_b64_e32 v[6:7], 3, v[2:3]
	s_mov_b32 s1, exec_lo
	s_delay_alu instid0(VALU_DEP_1)
	v_add_nc_u64_e32 v[8:9], s[10:11], v[6:7]
	v_add_nc_u64_e32 v[6:7], s[8:9], v[6:7]
	global_load_b64 v[10:11], v[8:9], off
	global_load_b64 v[12:13], v[6:7], off
	s_wait_loadcnt 0x1
	s_wait_xcnt 0x0
	v_sub_nc_u64_e64 v[6:7], v[10:11], s[20:21]
	s_wait_loadcnt 0x0
	v_add_nc_u64_e32 v[8:9], v[12:13], v[0:1]
	s_delay_alu instid0(VALU_DEP_1)
	v_cmpx_lt_i64_e64 v[8:9], v[6:7]
	s_cbranch_execz .LBB292_12
; %bb.14:                               ;   in Loop: Header=BB292_13 Depth=1
	s_wait_kmcnt 0x0
	v_lshl_add_u64 v[10:11], v[2:3], 3, s[16:17]
	v_lshl_add_u64 v[12:13], v[8:9], 2, s[14:15]
	s_mov_b32 s6, 0
	global_load_b64 v[10:11], v[10:11], off
	s_wait_loadcnt 0x0
	v_dual_mul_f32 v16, v4, v11 :: v_dual_mul_f32 v17, v11, -v5
	s_delay_alu instid0(VALU_DEP_1) | instskip(SKIP_2) | instid1(VALU_DEP_2)
	v_dual_fmac_f32 v16, v5, v10 :: v_dual_fmac_f32 v17, v4, v10
	s_wait_xcnt 0x0
	v_lshl_add_u64 v[10:11], v[8:9], 3, s[12:13]
	v_dual_mul_f32 v18, 0x80000000, v16 :: v_dual_mul_f32 v19, 0, v17
	s_branch .LBB292_16
.LBB292_15:                             ;   in Loop: Header=BB292_16 Depth=2
	s_wait_xcnt 0x0
	s_or_b32 exec_lo, exec_lo, s7
	v_add_nc_u64_e32 v[8:9], 4, v[8:9]
	v_add_nc_u64_e32 v[10:11], 32, v[10:11]
	;; [unrolled: 1-line block ×3, first 2 shown]
	s_delay_alu instid0(VALU_DEP_3) | instskip(SKIP_1) | instid1(SALU_CYCLE_1)
	v_cmp_ge_i64_e32 vcc_lo, v[8:9], v[6:7]
	s_or_b32 s6, vcc_lo, s6
	s_and_not1_b32 exec_lo, exec_lo, s6
	s_cbranch_execz .LBB292_12
.LBB292_16:                             ;   Parent Loop BB292_13 Depth=1
                                        ; =>  This Inner Loop Header: Depth=2
	global_load_b64 v[14:15], v[10:11], off
	s_mov_b32 s7, exec_lo
	s_wait_loadcnt 0x0
	v_sub_nc_u64_e64 v[14:15], v[14:15], s[20:21]
	s_wait_xcnt 0x0
	s_delay_alu instid0(VALU_DEP_1)
	v_cmpx_ne_u64_e64 v[14:15], v[2:3]
	s_cbranch_execz .LBB292_15
; %bb.17:                               ;   in Loop: Header=BB292_16 Depth=2
	global_load_b32 v20, v[12:13], off
	v_lshl_add_u64 v[14:15], v[14:15], 3, s[18:19]
	s_wait_loadcnt 0x0
	v_dual_fma_f32 v21, v17, v20, v18 :: v_dual_fma_f32 v20, v16, v20, v19
	s_wait_xcnt 0x0
	global_atomic_add_f32 v[14:15], v21, off scope:SCOPE_DEV
	s_wait_xcnt 0x0
	global_atomic_add_f32 v[14:15], v20, off offset:4 scope:SCOPE_DEV
	s_branch .LBB292_15
.LBB292_18:
	s_endpgm
	.section	.rodata,"a",@progbits
	.p2align	6, 0x0
	.amdhsa_kernel _ZN9rocsparseL21csrmvt_general_kernelILj256ELj4Ellf21rocsparse_complex_numIfES2_S2_EEvbbT2_NS_24const_host_device_scalarIT6_EEPKT1_S9_PKS3_PKT3_PKT4_PT5_21rocsparse_index_base_b
		.amdhsa_group_segment_fixed_size 0
		.amdhsa_private_segment_fixed_size 0
		.amdhsa_kernarg_size 336
		.amdhsa_user_sgpr_count 2
		.amdhsa_user_sgpr_dispatch_ptr 0
		.amdhsa_user_sgpr_queue_ptr 0
		.amdhsa_user_sgpr_kernarg_segment_ptr 1
		.amdhsa_user_sgpr_dispatch_id 0
		.amdhsa_user_sgpr_kernarg_preload_length 0
		.amdhsa_user_sgpr_kernarg_preload_offset 0
		.amdhsa_user_sgpr_private_segment_size 0
		.amdhsa_wavefront_size32 1
		.amdhsa_uses_dynamic_stack 0
		.amdhsa_enable_private_segment 0
		.amdhsa_system_sgpr_workgroup_id_x 1
		.amdhsa_system_sgpr_workgroup_id_y 0
		.amdhsa_system_sgpr_workgroup_id_z 0
		.amdhsa_system_sgpr_workgroup_info 0
		.amdhsa_system_vgpr_workitem_id 0
		.amdhsa_next_free_vgpr 25
		.amdhsa_next_free_sgpr 23
		.amdhsa_named_barrier_count 0
		.amdhsa_reserve_vcc 1
		.amdhsa_float_round_mode_32 0
		.amdhsa_float_round_mode_16_64 0
		.amdhsa_float_denorm_mode_32 3
		.amdhsa_float_denorm_mode_16_64 3
		.amdhsa_fp16_overflow 0
		.amdhsa_memory_ordered 1
		.amdhsa_forward_progress 1
		.amdhsa_inst_pref_size 8
		.amdhsa_round_robin_scheduling 0
		.amdhsa_exception_fp_ieee_invalid_op 0
		.amdhsa_exception_fp_denorm_src 0
		.amdhsa_exception_fp_ieee_div_zero 0
		.amdhsa_exception_fp_ieee_overflow 0
		.amdhsa_exception_fp_ieee_underflow 0
		.amdhsa_exception_fp_ieee_inexact 0
		.amdhsa_exception_int_div_zero 0
	.end_amdhsa_kernel
	.section	.text._ZN9rocsparseL21csrmvt_general_kernelILj256ELj4Ellf21rocsparse_complex_numIfES2_S2_EEvbbT2_NS_24const_host_device_scalarIT6_EEPKT1_S9_PKS3_PKT3_PKT4_PT5_21rocsparse_index_base_b,"axG",@progbits,_ZN9rocsparseL21csrmvt_general_kernelILj256ELj4Ellf21rocsparse_complex_numIfES2_S2_EEvbbT2_NS_24const_host_device_scalarIT6_EEPKT1_S9_PKS3_PKT3_PKT4_PT5_21rocsparse_index_base_b,comdat
.Lfunc_end292:
	.size	_ZN9rocsparseL21csrmvt_general_kernelILj256ELj4Ellf21rocsparse_complex_numIfES2_S2_EEvbbT2_NS_24const_host_device_scalarIT6_EEPKT1_S9_PKS3_PKT3_PKT4_PT5_21rocsparse_index_base_b, .Lfunc_end292-_ZN9rocsparseL21csrmvt_general_kernelILj256ELj4Ellf21rocsparse_complex_numIfES2_S2_EEvbbT2_NS_24const_host_device_scalarIT6_EEPKT1_S9_PKS3_PKT3_PKT4_PT5_21rocsparse_index_base_b
                                        ; -- End function
	.set _ZN9rocsparseL21csrmvt_general_kernelILj256ELj4Ellf21rocsparse_complex_numIfES2_S2_EEvbbT2_NS_24const_host_device_scalarIT6_EEPKT1_S9_PKS3_PKT3_PKT4_PT5_21rocsparse_index_base_b.num_vgpr, 25
	.set _ZN9rocsparseL21csrmvt_general_kernelILj256ELj4Ellf21rocsparse_complex_numIfES2_S2_EEvbbT2_NS_24const_host_device_scalarIT6_EEPKT1_S9_PKS3_PKT3_PKT4_PT5_21rocsparse_index_base_b.num_agpr, 0
	.set _ZN9rocsparseL21csrmvt_general_kernelILj256ELj4Ellf21rocsparse_complex_numIfES2_S2_EEvbbT2_NS_24const_host_device_scalarIT6_EEPKT1_S9_PKS3_PKT3_PKT4_PT5_21rocsparse_index_base_b.numbered_sgpr, 23
	.set _ZN9rocsparseL21csrmvt_general_kernelILj256ELj4Ellf21rocsparse_complex_numIfES2_S2_EEvbbT2_NS_24const_host_device_scalarIT6_EEPKT1_S9_PKS3_PKT3_PKT4_PT5_21rocsparse_index_base_b.num_named_barrier, 0
	.set _ZN9rocsparseL21csrmvt_general_kernelILj256ELj4Ellf21rocsparse_complex_numIfES2_S2_EEvbbT2_NS_24const_host_device_scalarIT6_EEPKT1_S9_PKS3_PKT3_PKT4_PT5_21rocsparse_index_base_b.private_seg_size, 0
	.set _ZN9rocsparseL21csrmvt_general_kernelILj256ELj4Ellf21rocsparse_complex_numIfES2_S2_EEvbbT2_NS_24const_host_device_scalarIT6_EEPKT1_S9_PKS3_PKT3_PKT4_PT5_21rocsparse_index_base_b.uses_vcc, 1
	.set _ZN9rocsparseL21csrmvt_general_kernelILj256ELj4Ellf21rocsparse_complex_numIfES2_S2_EEvbbT2_NS_24const_host_device_scalarIT6_EEPKT1_S9_PKS3_PKT3_PKT4_PT5_21rocsparse_index_base_b.uses_flat_scratch, 0
	.set _ZN9rocsparseL21csrmvt_general_kernelILj256ELj4Ellf21rocsparse_complex_numIfES2_S2_EEvbbT2_NS_24const_host_device_scalarIT6_EEPKT1_S9_PKS3_PKT3_PKT4_PT5_21rocsparse_index_base_b.has_dyn_sized_stack, 0
	.set _ZN9rocsparseL21csrmvt_general_kernelILj256ELj4Ellf21rocsparse_complex_numIfES2_S2_EEvbbT2_NS_24const_host_device_scalarIT6_EEPKT1_S9_PKS3_PKT3_PKT4_PT5_21rocsparse_index_base_b.has_recursion, 0
	.set _ZN9rocsparseL21csrmvt_general_kernelILj256ELj4Ellf21rocsparse_complex_numIfES2_S2_EEvbbT2_NS_24const_host_device_scalarIT6_EEPKT1_S9_PKS3_PKT3_PKT4_PT5_21rocsparse_index_base_b.has_indirect_call, 0
	.section	.AMDGPU.csdata,"",@progbits
; Kernel info:
; codeLenInByte = 1024
; TotalNumSgprs: 25
; NumVgprs: 25
; ScratchSize: 0
; MemoryBound: 0
; FloatMode: 240
; IeeeMode: 1
; LDSByteSize: 0 bytes/workgroup (compile time only)
; SGPRBlocks: 0
; VGPRBlocks: 1
; NumSGPRsForWavesPerEU: 25
; NumVGPRsForWavesPerEU: 25
; NamedBarCnt: 0
; Occupancy: 16
; WaveLimiterHint : 1
; COMPUTE_PGM_RSRC2:SCRATCH_EN: 0
; COMPUTE_PGM_RSRC2:USER_SGPR: 2
; COMPUTE_PGM_RSRC2:TRAP_HANDLER: 0
; COMPUTE_PGM_RSRC2:TGID_X_EN: 1
; COMPUTE_PGM_RSRC2:TGID_Y_EN: 0
; COMPUTE_PGM_RSRC2:TGID_Z_EN: 0
; COMPUTE_PGM_RSRC2:TIDIG_COMP_CNT: 0
	.section	.text._ZN9rocsparseL21csrmvt_general_kernelILj256ELj8Ellf21rocsparse_complex_numIfES2_S2_EEvbbT2_NS_24const_host_device_scalarIT6_EEPKT1_S9_PKS3_PKT3_PKT4_PT5_21rocsparse_index_base_b,"axG",@progbits,_ZN9rocsparseL21csrmvt_general_kernelILj256ELj8Ellf21rocsparse_complex_numIfES2_S2_EEvbbT2_NS_24const_host_device_scalarIT6_EEPKT1_S9_PKS3_PKT3_PKT4_PT5_21rocsparse_index_base_b,comdat
	.globl	_ZN9rocsparseL21csrmvt_general_kernelILj256ELj8Ellf21rocsparse_complex_numIfES2_S2_EEvbbT2_NS_24const_host_device_scalarIT6_EEPKT1_S9_PKS3_PKT3_PKT4_PT5_21rocsparse_index_base_b ; -- Begin function _ZN9rocsparseL21csrmvt_general_kernelILj256ELj8Ellf21rocsparse_complex_numIfES2_S2_EEvbbT2_NS_24const_host_device_scalarIT6_EEPKT1_S9_PKS3_PKT3_PKT4_PT5_21rocsparse_index_base_b
	.p2align	8
	.type	_ZN9rocsparseL21csrmvt_general_kernelILj256ELj8Ellf21rocsparse_complex_numIfES2_S2_EEvbbT2_NS_24const_host_device_scalarIT6_EEPKT1_S9_PKS3_PKT3_PKT4_PT5_21rocsparse_index_base_b,@function
_ZN9rocsparseL21csrmvt_general_kernelILj256ELj8Ellf21rocsparse_complex_numIfES2_S2_EEvbbT2_NS_24const_host_device_scalarIT6_EEPKT1_S9_PKS3_PKT3_PKT4_PT5_21rocsparse_index_base_b: ; @_ZN9rocsparseL21csrmvt_general_kernelILj256ELj8Ellf21rocsparse_complex_numIfES2_S2_EEvbbT2_NS_24const_host_device_scalarIT6_EEPKT1_S9_PKS3_PKT3_PKT4_PT5_21rocsparse_index_base_b
; %bb.0:
	s_clause 0x1
	s_load_b64 s[20:21], s[0:1], 0x48
	s_load_b256 s[4:11], s[0:1], 0x8
	v_mov_b32_e32 v3, 0
	s_add_nc_u64 s[2:3], s[0:1], 16
	s_wait_kmcnt 0x0
	s_bitcmp1_b32 s21, 0
	s_cselect_b32 s3, s3, s7
	s_cselect_b32 s2, s2, s6
	flat_load_b64 v[4:5], v3, s[2:3]
	s_wait_xcnt 0x0
	s_mov_b32 s3, 0
	s_wait_loadcnt_dscnt 0x0
	v_cmp_neq_f32_e32 vcc_lo, 0, v4
	v_cmp_neq_f32_e64 s2, 0, v5
	s_or_b32 s2, vcc_lo, s2
	s_delay_alu instid0(SALU_CYCLE_1)
	s_and_saveexec_b32 s6, s2
	s_cbranch_execz .LBB293_18
; %bb.1:
	s_clause 0x1
	s_load_b32 s2, s[0:1], 0x0
	s_load_b32 s6, s[0:1], 0x50
	s_bfe_u32 s7, ttmp6, 0x4000c
	s_and_b32 s12, ttmp6, 15
	s_add_co_i32 s7, s7, 1
	s_getreg_b32 s13, hwreg(HW_REG_IB_STS2, 6, 4)
	s_mul_i32 s7, ttmp9, s7
	s_wait_kmcnt 0x0
	s_and_b32 s21, s2, 1
	s_lshl_b32 s2, s6, 5
	s_add_co_i32 s6, s12, s7
	s_cmp_eq_u32 s13, 0
	s_load_b256 s[12:19], s[0:1], 0x28
	s_wait_xcnt 0x0
	s_cselect_b32 s0, ttmp9, s6
	s_cmp_eq_u32 s21, 0
	v_lshl_or_b32 v1, s0, 8, v0
	s_mov_b32 s1, -1
	s_delay_alu instid0(VALU_DEP_1) | instskip(NEXT) | instid1(VALU_DEP_1)
	v_dual_lshrrev_b32 v2, 3, v1 :: v_dual_bitop2_b32 v0, 7, v0 bitop3:0x40
	v_cmp_gt_i64_e64 s0, s[4:5], v[2:3]
	s_cbranch_scc0 .LBB293_9
; %bb.2:
	s_and_saveexec_b32 s1, s0
	s_cbranch_execz .LBB293_8
; %bb.3:
	v_mov_b32_e32 v1, 0
	s_mov_b32 s21, 0
	v_mov_b64_e32 v[8:9], v[2:3]
	s_mov_b32 s6, s21
	s_delay_alu instid0(VALU_DEP_2)
	v_sub_nc_u64_e64 v[6:7], v[0:1], s[20:21]
	s_branch .LBB293_5
.LBB293_4:                              ;   in Loop: Header=BB293_5 Depth=1
	s_or_b32 exec_lo, exec_lo, s7
	v_add_nc_u64_e32 v[8:9], s[2:3], v[8:9]
	s_delay_alu instid0(VALU_DEP_1) | instskip(SKIP_1) | instid1(SALU_CYCLE_1)
	v_cmp_le_i64_e32 vcc_lo, s[4:5], v[8:9]
	s_or_b32 s6, vcc_lo, s6
	s_and_not1_b32 exec_lo, exec_lo, s6
	s_cbranch_execz .LBB293_8
.LBB293_5:                              ; =>This Loop Header: Depth=1
                                        ;     Child Loop BB293_7 Depth 2
	s_delay_alu instid0(VALU_DEP_2) | instskip(SKIP_1) | instid1(VALU_DEP_1)
	v_lshlrev_b64_e32 v[10:11], 3, v[8:9]
	s_mov_b32 s7, exec_lo
	v_add_nc_u64_e32 v[12:13], s[10:11], v[10:11]
	v_add_nc_u64_e32 v[10:11], s[8:9], v[10:11]
	global_load_b64 v[14:15], v[12:13], off
	global_load_b64 v[16:17], v[10:11], off
	s_wait_loadcnt 0x1
	s_wait_xcnt 0x0
	v_sub_nc_u64_e64 v[10:11], v[14:15], s[20:21]
	s_wait_loadcnt 0x0
	v_add_nc_u64_e32 v[12:13], v[16:17], v[6:7]
	s_delay_alu instid0(VALU_DEP_1)
	v_cmpx_lt_i64_e64 v[12:13], v[10:11]
	s_cbranch_execz .LBB293_4
; %bb.6:                                ;   in Loop: Header=BB293_5 Depth=1
	s_wait_kmcnt 0x0
	v_lshl_add_u64 v[14:15], v[8:9], 3, s[16:17]
	v_lshl_add_u64 v[16:17], v[12:13], 2, s[14:15]
	s_mov_b32 s22, 0
	global_load_b64 v[14:15], v[14:15], off
	s_wait_loadcnt 0x0
	v_dual_mul_f32 v1, v4, v15 :: v_dual_mul_f32 v18, v15, -v5
	s_delay_alu instid0(VALU_DEP_1) | instskip(SKIP_2) | instid1(VALU_DEP_2)
	v_dual_fmac_f32 v1, v5, v14 :: v_dual_fmac_f32 v18, v4, v14
	s_wait_xcnt 0x0
	v_lshl_add_u64 v[14:15], v[12:13], 3, s[12:13]
	v_dual_mul_f32 v19, 0x80000000, v1 :: v_dual_mul_f32 v20, 0, v18
.LBB293_7:                              ;   Parent Loop BB293_5 Depth=1
                                        ; =>  This Inner Loop Header: Depth=2
	global_load_b64 v[22:23], v[14:15], off
	global_load_b32 v21, v[16:17], off
	v_add_nc_u64_e32 v[12:13], 8, v[12:13]
	s_wait_xcnt 0x1
	v_add_nc_u64_e32 v[14:15], 64, v[14:15]
	s_wait_xcnt 0x0
	v_add_nc_u64_e32 v[16:17], 32, v[16:17]
	s_delay_alu instid0(VALU_DEP_3)
	v_cmp_ge_i64_e32 vcc_lo, v[12:13], v[10:11]
	s_or_b32 s22, vcc_lo, s22
	s_wait_loadcnt 0x1
	v_sub_nc_u64_e64 v[22:23], v[22:23], s[20:21]
	s_wait_loadcnt 0x0
	v_dual_fma_f32 v24, v18, v21, v19 :: v_dual_fma_f32 v21, v1, v21, v20
	s_delay_alu instid0(VALU_DEP_2)
	v_lshl_add_u64 v[22:23], v[22:23], 3, s[18:19]
	global_atomic_add_f32 v[22:23], v24, off scope:SCOPE_DEV
	s_wait_xcnt 0x0
	global_atomic_add_f32 v[22:23], v21, off offset:4 scope:SCOPE_DEV
	s_wait_xcnt 0x0
	s_and_not1_b32 exec_lo, exec_lo, s22
	s_cbranch_execnz .LBB293_7
	s_branch .LBB293_4
.LBB293_8:
	s_or_b32 exec_lo, exec_lo, s1
	s_mov_b32 s1, 0
.LBB293_9:
	s_delay_alu instid0(SALU_CYCLE_1)
	s_and_not1_b32 vcc_lo, exec_lo, s1
	s_cbranch_vccnz .LBB293_18
; %bb.10:
	s_and_b32 exec_lo, exec_lo, s0
	s_cbranch_execz .LBB293_18
; %bb.11:
	v_mov_b32_e32 v1, 0
	s_mov_b32 s21, 0
	s_delay_alu instid0(SALU_CYCLE_1) | instskip(NEXT) | instid1(VALU_DEP_1)
	s_mov_b32 s0, s21
	v_sub_nc_u64_e64 v[0:1], v[0:1], s[20:21]
	s_branch .LBB293_13
.LBB293_12:                             ;   in Loop: Header=BB293_13 Depth=1
	s_or_b32 exec_lo, exec_lo, s1
	v_add_nc_u64_e32 v[2:3], s[2:3], v[2:3]
	s_delay_alu instid0(VALU_DEP_1) | instskip(SKIP_1) | instid1(SALU_CYCLE_1)
	v_cmp_le_i64_e32 vcc_lo, s[4:5], v[2:3]
	s_or_b32 s0, vcc_lo, s0
	s_and_not1_b32 exec_lo, exec_lo, s0
	s_cbranch_execz .LBB293_18
.LBB293_13:                             ; =>This Loop Header: Depth=1
                                        ;     Child Loop BB293_16 Depth 2
	v_lshlrev_b64_e32 v[6:7], 3, v[2:3]
	s_mov_b32 s1, exec_lo
	s_delay_alu instid0(VALU_DEP_1)
	v_add_nc_u64_e32 v[8:9], s[10:11], v[6:7]
	v_add_nc_u64_e32 v[6:7], s[8:9], v[6:7]
	global_load_b64 v[10:11], v[8:9], off
	global_load_b64 v[12:13], v[6:7], off
	s_wait_loadcnt 0x1
	s_wait_xcnt 0x0
	v_sub_nc_u64_e64 v[6:7], v[10:11], s[20:21]
	s_wait_loadcnt 0x0
	v_add_nc_u64_e32 v[8:9], v[12:13], v[0:1]
	s_delay_alu instid0(VALU_DEP_1)
	v_cmpx_lt_i64_e64 v[8:9], v[6:7]
	s_cbranch_execz .LBB293_12
; %bb.14:                               ;   in Loop: Header=BB293_13 Depth=1
	s_wait_kmcnt 0x0
	v_lshl_add_u64 v[10:11], v[2:3], 3, s[16:17]
	v_lshl_add_u64 v[12:13], v[8:9], 2, s[14:15]
	s_mov_b32 s6, 0
	global_load_b64 v[10:11], v[10:11], off
	s_wait_loadcnt 0x0
	v_dual_mul_f32 v16, v4, v11 :: v_dual_mul_f32 v17, v11, -v5
	s_delay_alu instid0(VALU_DEP_1) | instskip(SKIP_2) | instid1(VALU_DEP_2)
	v_dual_fmac_f32 v16, v5, v10 :: v_dual_fmac_f32 v17, v4, v10
	s_wait_xcnt 0x0
	v_lshl_add_u64 v[10:11], v[8:9], 3, s[12:13]
	v_dual_mul_f32 v18, 0x80000000, v16 :: v_dual_mul_f32 v19, 0, v17
	s_branch .LBB293_16
.LBB293_15:                             ;   in Loop: Header=BB293_16 Depth=2
	s_wait_xcnt 0x0
	s_or_b32 exec_lo, exec_lo, s7
	v_add_nc_u64_e32 v[8:9], 8, v[8:9]
	v_add_nc_u64_e32 v[10:11], 64, v[10:11]
	v_add_nc_u64_e32 v[12:13], 32, v[12:13]
	s_delay_alu instid0(VALU_DEP_3) | instskip(SKIP_1) | instid1(SALU_CYCLE_1)
	v_cmp_ge_i64_e32 vcc_lo, v[8:9], v[6:7]
	s_or_b32 s6, vcc_lo, s6
	s_and_not1_b32 exec_lo, exec_lo, s6
	s_cbranch_execz .LBB293_12
.LBB293_16:                             ;   Parent Loop BB293_13 Depth=1
                                        ; =>  This Inner Loop Header: Depth=2
	global_load_b64 v[14:15], v[10:11], off
	s_mov_b32 s7, exec_lo
	s_wait_loadcnt 0x0
	v_sub_nc_u64_e64 v[14:15], v[14:15], s[20:21]
	s_wait_xcnt 0x0
	s_delay_alu instid0(VALU_DEP_1)
	v_cmpx_ne_u64_e64 v[14:15], v[2:3]
	s_cbranch_execz .LBB293_15
; %bb.17:                               ;   in Loop: Header=BB293_16 Depth=2
	global_load_b32 v20, v[12:13], off
	v_lshl_add_u64 v[14:15], v[14:15], 3, s[18:19]
	s_wait_loadcnt 0x0
	v_dual_fma_f32 v21, v17, v20, v18 :: v_dual_fma_f32 v20, v16, v20, v19
	s_wait_xcnt 0x0
	global_atomic_add_f32 v[14:15], v21, off scope:SCOPE_DEV
	s_wait_xcnt 0x0
	global_atomic_add_f32 v[14:15], v20, off offset:4 scope:SCOPE_DEV
	s_branch .LBB293_15
.LBB293_18:
	s_endpgm
	.section	.rodata,"a",@progbits
	.p2align	6, 0x0
	.amdhsa_kernel _ZN9rocsparseL21csrmvt_general_kernelILj256ELj8Ellf21rocsparse_complex_numIfES2_S2_EEvbbT2_NS_24const_host_device_scalarIT6_EEPKT1_S9_PKS3_PKT3_PKT4_PT5_21rocsparse_index_base_b
		.amdhsa_group_segment_fixed_size 0
		.amdhsa_private_segment_fixed_size 0
		.amdhsa_kernarg_size 336
		.amdhsa_user_sgpr_count 2
		.amdhsa_user_sgpr_dispatch_ptr 0
		.amdhsa_user_sgpr_queue_ptr 0
		.amdhsa_user_sgpr_kernarg_segment_ptr 1
		.amdhsa_user_sgpr_dispatch_id 0
		.amdhsa_user_sgpr_kernarg_preload_length 0
		.amdhsa_user_sgpr_kernarg_preload_offset 0
		.amdhsa_user_sgpr_private_segment_size 0
		.amdhsa_wavefront_size32 1
		.amdhsa_uses_dynamic_stack 0
		.amdhsa_enable_private_segment 0
		.amdhsa_system_sgpr_workgroup_id_x 1
		.amdhsa_system_sgpr_workgroup_id_y 0
		.amdhsa_system_sgpr_workgroup_id_z 0
		.amdhsa_system_sgpr_workgroup_info 0
		.amdhsa_system_vgpr_workitem_id 0
		.amdhsa_next_free_vgpr 25
		.amdhsa_next_free_sgpr 23
		.amdhsa_named_barrier_count 0
		.amdhsa_reserve_vcc 1
		.amdhsa_float_round_mode_32 0
		.amdhsa_float_round_mode_16_64 0
		.amdhsa_float_denorm_mode_32 3
		.amdhsa_float_denorm_mode_16_64 3
		.amdhsa_fp16_overflow 0
		.amdhsa_memory_ordered 1
		.amdhsa_forward_progress 1
		.amdhsa_inst_pref_size 8
		.amdhsa_round_robin_scheduling 0
		.amdhsa_exception_fp_ieee_invalid_op 0
		.amdhsa_exception_fp_denorm_src 0
		.amdhsa_exception_fp_ieee_div_zero 0
		.amdhsa_exception_fp_ieee_overflow 0
		.amdhsa_exception_fp_ieee_underflow 0
		.amdhsa_exception_fp_ieee_inexact 0
		.amdhsa_exception_int_div_zero 0
	.end_amdhsa_kernel
	.section	.text._ZN9rocsparseL21csrmvt_general_kernelILj256ELj8Ellf21rocsparse_complex_numIfES2_S2_EEvbbT2_NS_24const_host_device_scalarIT6_EEPKT1_S9_PKS3_PKT3_PKT4_PT5_21rocsparse_index_base_b,"axG",@progbits,_ZN9rocsparseL21csrmvt_general_kernelILj256ELj8Ellf21rocsparse_complex_numIfES2_S2_EEvbbT2_NS_24const_host_device_scalarIT6_EEPKT1_S9_PKS3_PKT3_PKT4_PT5_21rocsparse_index_base_b,comdat
.Lfunc_end293:
	.size	_ZN9rocsparseL21csrmvt_general_kernelILj256ELj8Ellf21rocsparse_complex_numIfES2_S2_EEvbbT2_NS_24const_host_device_scalarIT6_EEPKT1_S9_PKS3_PKT3_PKT4_PT5_21rocsparse_index_base_b, .Lfunc_end293-_ZN9rocsparseL21csrmvt_general_kernelILj256ELj8Ellf21rocsparse_complex_numIfES2_S2_EEvbbT2_NS_24const_host_device_scalarIT6_EEPKT1_S9_PKS3_PKT3_PKT4_PT5_21rocsparse_index_base_b
                                        ; -- End function
	.set _ZN9rocsparseL21csrmvt_general_kernelILj256ELj8Ellf21rocsparse_complex_numIfES2_S2_EEvbbT2_NS_24const_host_device_scalarIT6_EEPKT1_S9_PKS3_PKT3_PKT4_PT5_21rocsparse_index_base_b.num_vgpr, 25
	.set _ZN9rocsparseL21csrmvt_general_kernelILj256ELj8Ellf21rocsparse_complex_numIfES2_S2_EEvbbT2_NS_24const_host_device_scalarIT6_EEPKT1_S9_PKS3_PKT3_PKT4_PT5_21rocsparse_index_base_b.num_agpr, 0
	.set _ZN9rocsparseL21csrmvt_general_kernelILj256ELj8Ellf21rocsparse_complex_numIfES2_S2_EEvbbT2_NS_24const_host_device_scalarIT6_EEPKT1_S9_PKS3_PKT3_PKT4_PT5_21rocsparse_index_base_b.numbered_sgpr, 23
	.set _ZN9rocsparseL21csrmvt_general_kernelILj256ELj8Ellf21rocsparse_complex_numIfES2_S2_EEvbbT2_NS_24const_host_device_scalarIT6_EEPKT1_S9_PKS3_PKT3_PKT4_PT5_21rocsparse_index_base_b.num_named_barrier, 0
	.set _ZN9rocsparseL21csrmvt_general_kernelILj256ELj8Ellf21rocsparse_complex_numIfES2_S2_EEvbbT2_NS_24const_host_device_scalarIT6_EEPKT1_S9_PKS3_PKT3_PKT4_PT5_21rocsparse_index_base_b.private_seg_size, 0
	.set _ZN9rocsparseL21csrmvt_general_kernelILj256ELj8Ellf21rocsparse_complex_numIfES2_S2_EEvbbT2_NS_24const_host_device_scalarIT6_EEPKT1_S9_PKS3_PKT3_PKT4_PT5_21rocsparse_index_base_b.uses_vcc, 1
	.set _ZN9rocsparseL21csrmvt_general_kernelILj256ELj8Ellf21rocsparse_complex_numIfES2_S2_EEvbbT2_NS_24const_host_device_scalarIT6_EEPKT1_S9_PKS3_PKT3_PKT4_PT5_21rocsparse_index_base_b.uses_flat_scratch, 0
	.set _ZN9rocsparseL21csrmvt_general_kernelILj256ELj8Ellf21rocsparse_complex_numIfES2_S2_EEvbbT2_NS_24const_host_device_scalarIT6_EEPKT1_S9_PKS3_PKT3_PKT4_PT5_21rocsparse_index_base_b.has_dyn_sized_stack, 0
	.set _ZN9rocsparseL21csrmvt_general_kernelILj256ELj8Ellf21rocsparse_complex_numIfES2_S2_EEvbbT2_NS_24const_host_device_scalarIT6_EEPKT1_S9_PKS3_PKT3_PKT4_PT5_21rocsparse_index_base_b.has_recursion, 0
	.set _ZN9rocsparseL21csrmvt_general_kernelILj256ELj8Ellf21rocsparse_complex_numIfES2_S2_EEvbbT2_NS_24const_host_device_scalarIT6_EEPKT1_S9_PKS3_PKT3_PKT4_PT5_21rocsparse_index_base_b.has_indirect_call, 0
	.section	.AMDGPU.csdata,"",@progbits
; Kernel info:
; codeLenInByte = 1024
; TotalNumSgprs: 25
; NumVgprs: 25
; ScratchSize: 0
; MemoryBound: 0
; FloatMode: 240
; IeeeMode: 1
; LDSByteSize: 0 bytes/workgroup (compile time only)
; SGPRBlocks: 0
; VGPRBlocks: 1
; NumSGPRsForWavesPerEU: 25
; NumVGPRsForWavesPerEU: 25
; NamedBarCnt: 0
; Occupancy: 16
; WaveLimiterHint : 1
; COMPUTE_PGM_RSRC2:SCRATCH_EN: 0
; COMPUTE_PGM_RSRC2:USER_SGPR: 2
; COMPUTE_PGM_RSRC2:TRAP_HANDLER: 0
; COMPUTE_PGM_RSRC2:TGID_X_EN: 1
; COMPUTE_PGM_RSRC2:TGID_Y_EN: 0
; COMPUTE_PGM_RSRC2:TGID_Z_EN: 0
; COMPUTE_PGM_RSRC2:TIDIG_COMP_CNT: 0
	.section	.text._ZN9rocsparseL21csrmvt_general_kernelILj256ELj16Ellf21rocsparse_complex_numIfES2_S2_EEvbbT2_NS_24const_host_device_scalarIT6_EEPKT1_S9_PKS3_PKT3_PKT4_PT5_21rocsparse_index_base_b,"axG",@progbits,_ZN9rocsparseL21csrmvt_general_kernelILj256ELj16Ellf21rocsparse_complex_numIfES2_S2_EEvbbT2_NS_24const_host_device_scalarIT6_EEPKT1_S9_PKS3_PKT3_PKT4_PT5_21rocsparse_index_base_b,comdat
	.globl	_ZN9rocsparseL21csrmvt_general_kernelILj256ELj16Ellf21rocsparse_complex_numIfES2_S2_EEvbbT2_NS_24const_host_device_scalarIT6_EEPKT1_S9_PKS3_PKT3_PKT4_PT5_21rocsparse_index_base_b ; -- Begin function _ZN9rocsparseL21csrmvt_general_kernelILj256ELj16Ellf21rocsparse_complex_numIfES2_S2_EEvbbT2_NS_24const_host_device_scalarIT6_EEPKT1_S9_PKS3_PKT3_PKT4_PT5_21rocsparse_index_base_b
	.p2align	8
	.type	_ZN9rocsparseL21csrmvt_general_kernelILj256ELj16Ellf21rocsparse_complex_numIfES2_S2_EEvbbT2_NS_24const_host_device_scalarIT6_EEPKT1_S9_PKS3_PKT3_PKT4_PT5_21rocsparse_index_base_b,@function
_ZN9rocsparseL21csrmvt_general_kernelILj256ELj16Ellf21rocsparse_complex_numIfES2_S2_EEvbbT2_NS_24const_host_device_scalarIT6_EEPKT1_S9_PKS3_PKT3_PKT4_PT5_21rocsparse_index_base_b: ; @_ZN9rocsparseL21csrmvt_general_kernelILj256ELj16Ellf21rocsparse_complex_numIfES2_S2_EEvbbT2_NS_24const_host_device_scalarIT6_EEPKT1_S9_PKS3_PKT3_PKT4_PT5_21rocsparse_index_base_b
; %bb.0:
	s_clause 0x1
	s_load_b64 s[20:21], s[0:1], 0x48
	s_load_b256 s[4:11], s[0:1], 0x8
	v_mov_b32_e32 v3, 0
	s_add_nc_u64 s[2:3], s[0:1], 16
	s_wait_kmcnt 0x0
	s_bitcmp1_b32 s21, 0
	s_cselect_b32 s3, s3, s7
	s_cselect_b32 s2, s2, s6
	flat_load_b64 v[4:5], v3, s[2:3]
	s_wait_xcnt 0x0
	s_mov_b32 s3, 0
	s_wait_loadcnt_dscnt 0x0
	v_cmp_neq_f32_e32 vcc_lo, 0, v4
	v_cmp_neq_f32_e64 s2, 0, v5
	s_or_b32 s2, vcc_lo, s2
	s_delay_alu instid0(SALU_CYCLE_1)
	s_and_saveexec_b32 s6, s2
	s_cbranch_execz .LBB294_18
; %bb.1:
	s_clause 0x1
	s_load_b32 s2, s[0:1], 0x0
	s_load_b32 s6, s[0:1], 0x50
	s_bfe_u32 s7, ttmp6, 0x4000c
	s_and_b32 s12, ttmp6, 15
	s_add_co_i32 s7, s7, 1
	s_getreg_b32 s13, hwreg(HW_REG_IB_STS2, 6, 4)
	s_mul_i32 s7, ttmp9, s7
	s_wait_kmcnt 0x0
	s_and_b32 s21, s2, 1
	s_lshl_b32 s2, s6, 4
	s_add_co_i32 s6, s12, s7
	s_cmp_eq_u32 s13, 0
	s_load_b256 s[12:19], s[0:1], 0x28
	s_wait_xcnt 0x0
	s_cselect_b32 s0, ttmp9, s6
	s_cmp_eq_u32 s21, 0
	v_lshl_or_b32 v1, s0, 8, v0
	s_mov_b32 s1, -1
	s_delay_alu instid0(VALU_DEP_1) | instskip(NEXT) | instid1(VALU_DEP_1)
	v_dual_lshrrev_b32 v2, 4, v1 :: v_dual_bitop2_b32 v0, 15, v0 bitop3:0x40
	v_cmp_gt_i64_e64 s0, s[4:5], v[2:3]
	s_cbranch_scc0 .LBB294_9
; %bb.2:
	s_and_saveexec_b32 s1, s0
	s_cbranch_execz .LBB294_8
; %bb.3:
	v_mov_b32_e32 v1, 0
	s_mov_b32 s21, 0
	v_mov_b64_e32 v[8:9], v[2:3]
	s_mov_b32 s6, s21
	s_delay_alu instid0(VALU_DEP_2)
	v_sub_nc_u64_e64 v[6:7], v[0:1], s[20:21]
	s_branch .LBB294_5
.LBB294_4:                              ;   in Loop: Header=BB294_5 Depth=1
	s_or_b32 exec_lo, exec_lo, s7
	v_add_nc_u64_e32 v[8:9], s[2:3], v[8:9]
	s_delay_alu instid0(VALU_DEP_1) | instskip(SKIP_1) | instid1(SALU_CYCLE_1)
	v_cmp_le_i64_e32 vcc_lo, s[4:5], v[8:9]
	s_or_b32 s6, vcc_lo, s6
	s_and_not1_b32 exec_lo, exec_lo, s6
	s_cbranch_execz .LBB294_8
.LBB294_5:                              ; =>This Loop Header: Depth=1
                                        ;     Child Loop BB294_7 Depth 2
	s_delay_alu instid0(VALU_DEP_2) | instskip(SKIP_1) | instid1(VALU_DEP_1)
	v_lshlrev_b64_e32 v[10:11], 3, v[8:9]
	s_mov_b32 s7, exec_lo
	v_add_nc_u64_e32 v[12:13], s[10:11], v[10:11]
	v_add_nc_u64_e32 v[10:11], s[8:9], v[10:11]
	global_load_b64 v[14:15], v[12:13], off
	global_load_b64 v[16:17], v[10:11], off
	s_wait_loadcnt 0x1
	s_wait_xcnt 0x0
	v_sub_nc_u64_e64 v[10:11], v[14:15], s[20:21]
	s_wait_loadcnt 0x0
	v_add_nc_u64_e32 v[12:13], v[16:17], v[6:7]
	s_delay_alu instid0(VALU_DEP_1)
	v_cmpx_lt_i64_e64 v[12:13], v[10:11]
	s_cbranch_execz .LBB294_4
; %bb.6:                                ;   in Loop: Header=BB294_5 Depth=1
	s_wait_kmcnt 0x0
	v_lshl_add_u64 v[14:15], v[8:9], 3, s[16:17]
	v_lshl_add_u64 v[16:17], v[12:13], 2, s[14:15]
	s_mov_b32 s22, 0
	global_load_b64 v[14:15], v[14:15], off
	s_wait_loadcnt 0x0
	v_dual_mul_f32 v1, v4, v15 :: v_dual_mul_f32 v18, v15, -v5
	s_delay_alu instid0(VALU_DEP_1) | instskip(SKIP_2) | instid1(VALU_DEP_2)
	v_dual_fmac_f32 v1, v5, v14 :: v_dual_fmac_f32 v18, v4, v14
	s_wait_xcnt 0x0
	v_lshl_add_u64 v[14:15], v[12:13], 3, s[12:13]
	v_dual_mul_f32 v19, 0x80000000, v1 :: v_dual_mul_f32 v20, 0, v18
.LBB294_7:                              ;   Parent Loop BB294_5 Depth=1
                                        ; =>  This Inner Loop Header: Depth=2
	global_load_b64 v[22:23], v[14:15], off
	global_load_b32 v21, v[16:17], off
	v_add_nc_u64_e32 v[12:13], 16, v[12:13]
	s_wait_xcnt 0x1
	v_add_nc_u64_e32 v[14:15], 0x80, v[14:15]
	s_wait_xcnt 0x0
	v_add_nc_u64_e32 v[16:17], 64, v[16:17]
	s_delay_alu instid0(VALU_DEP_3)
	v_cmp_ge_i64_e32 vcc_lo, v[12:13], v[10:11]
	s_or_b32 s22, vcc_lo, s22
	s_wait_loadcnt 0x1
	v_sub_nc_u64_e64 v[22:23], v[22:23], s[20:21]
	s_wait_loadcnt 0x0
	v_dual_fma_f32 v24, v18, v21, v19 :: v_dual_fma_f32 v21, v1, v21, v20
	s_delay_alu instid0(VALU_DEP_2)
	v_lshl_add_u64 v[22:23], v[22:23], 3, s[18:19]
	global_atomic_add_f32 v[22:23], v24, off scope:SCOPE_DEV
	s_wait_xcnt 0x0
	global_atomic_add_f32 v[22:23], v21, off offset:4 scope:SCOPE_DEV
	s_wait_xcnt 0x0
	s_and_not1_b32 exec_lo, exec_lo, s22
	s_cbranch_execnz .LBB294_7
	s_branch .LBB294_4
.LBB294_8:
	s_or_b32 exec_lo, exec_lo, s1
	s_mov_b32 s1, 0
.LBB294_9:
	s_delay_alu instid0(SALU_CYCLE_1)
	s_and_not1_b32 vcc_lo, exec_lo, s1
	s_cbranch_vccnz .LBB294_18
; %bb.10:
	s_and_b32 exec_lo, exec_lo, s0
	s_cbranch_execz .LBB294_18
; %bb.11:
	v_mov_b32_e32 v1, 0
	s_mov_b32 s21, 0
	s_delay_alu instid0(SALU_CYCLE_1) | instskip(NEXT) | instid1(VALU_DEP_1)
	s_mov_b32 s0, s21
	v_sub_nc_u64_e64 v[0:1], v[0:1], s[20:21]
	s_branch .LBB294_13
.LBB294_12:                             ;   in Loop: Header=BB294_13 Depth=1
	s_or_b32 exec_lo, exec_lo, s1
	v_add_nc_u64_e32 v[2:3], s[2:3], v[2:3]
	s_delay_alu instid0(VALU_DEP_1) | instskip(SKIP_1) | instid1(SALU_CYCLE_1)
	v_cmp_le_i64_e32 vcc_lo, s[4:5], v[2:3]
	s_or_b32 s0, vcc_lo, s0
	s_and_not1_b32 exec_lo, exec_lo, s0
	s_cbranch_execz .LBB294_18
.LBB294_13:                             ; =>This Loop Header: Depth=1
                                        ;     Child Loop BB294_16 Depth 2
	v_lshlrev_b64_e32 v[6:7], 3, v[2:3]
	s_mov_b32 s1, exec_lo
	s_delay_alu instid0(VALU_DEP_1)
	v_add_nc_u64_e32 v[8:9], s[10:11], v[6:7]
	v_add_nc_u64_e32 v[6:7], s[8:9], v[6:7]
	global_load_b64 v[10:11], v[8:9], off
	global_load_b64 v[12:13], v[6:7], off
	s_wait_loadcnt 0x1
	s_wait_xcnt 0x0
	v_sub_nc_u64_e64 v[6:7], v[10:11], s[20:21]
	s_wait_loadcnt 0x0
	v_add_nc_u64_e32 v[8:9], v[12:13], v[0:1]
	s_delay_alu instid0(VALU_DEP_1)
	v_cmpx_lt_i64_e64 v[8:9], v[6:7]
	s_cbranch_execz .LBB294_12
; %bb.14:                               ;   in Loop: Header=BB294_13 Depth=1
	s_wait_kmcnt 0x0
	v_lshl_add_u64 v[10:11], v[2:3], 3, s[16:17]
	v_lshl_add_u64 v[12:13], v[8:9], 2, s[14:15]
	s_mov_b32 s6, 0
	global_load_b64 v[10:11], v[10:11], off
	s_wait_loadcnt 0x0
	v_dual_mul_f32 v16, v4, v11 :: v_dual_mul_f32 v17, v11, -v5
	s_delay_alu instid0(VALU_DEP_1) | instskip(SKIP_2) | instid1(VALU_DEP_2)
	v_dual_fmac_f32 v16, v5, v10 :: v_dual_fmac_f32 v17, v4, v10
	s_wait_xcnt 0x0
	v_lshl_add_u64 v[10:11], v[8:9], 3, s[12:13]
	v_dual_mul_f32 v18, 0x80000000, v16 :: v_dual_mul_f32 v19, 0, v17
	s_branch .LBB294_16
.LBB294_15:                             ;   in Loop: Header=BB294_16 Depth=2
	s_wait_xcnt 0x0
	s_or_b32 exec_lo, exec_lo, s7
	v_add_nc_u64_e32 v[8:9], 16, v[8:9]
	v_add_nc_u64_e32 v[10:11], 0x80, v[10:11]
	;; [unrolled: 1-line block ×3, first 2 shown]
	s_delay_alu instid0(VALU_DEP_3) | instskip(SKIP_1) | instid1(SALU_CYCLE_1)
	v_cmp_ge_i64_e32 vcc_lo, v[8:9], v[6:7]
	s_or_b32 s6, vcc_lo, s6
	s_and_not1_b32 exec_lo, exec_lo, s6
	s_cbranch_execz .LBB294_12
.LBB294_16:                             ;   Parent Loop BB294_13 Depth=1
                                        ; =>  This Inner Loop Header: Depth=2
	global_load_b64 v[14:15], v[10:11], off
	s_mov_b32 s7, exec_lo
	s_wait_loadcnt 0x0
	v_sub_nc_u64_e64 v[14:15], v[14:15], s[20:21]
	s_wait_xcnt 0x0
	s_delay_alu instid0(VALU_DEP_1)
	v_cmpx_ne_u64_e64 v[14:15], v[2:3]
	s_cbranch_execz .LBB294_15
; %bb.17:                               ;   in Loop: Header=BB294_16 Depth=2
	global_load_b32 v20, v[12:13], off
	v_lshl_add_u64 v[14:15], v[14:15], 3, s[18:19]
	s_wait_loadcnt 0x0
	v_dual_fma_f32 v21, v17, v20, v18 :: v_dual_fma_f32 v20, v16, v20, v19
	s_wait_xcnt 0x0
	global_atomic_add_f32 v[14:15], v21, off scope:SCOPE_DEV
	s_wait_xcnt 0x0
	global_atomic_add_f32 v[14:15], v20, off offset:4 scope:SCOPE_DEV
	s_branch .LBB294_15
.LBB294_18:
	s_endpgm
	.section	.rodata,"a",@progbits
	.p2align	6, 0x0
	.amdhsa_kernel _ZN9rocsparseL21csrmvt_general_kernelILj256ELj16Ellf21rocsparse_complex_numIfES2_S2_EEvbbT2_NS_24const_host_device_scalarIT6_EEPKT1_S9_PKS3_PKT3_PKT4_PT5_21rocsparse_index_base_b
		.amdhsa_group_segment_fixed_size 0
		.amdhsa_private_segment_fixed_size 0
		.amdhsa_kernarg_size 336
		.amdhsa_user_sgpr_count 2
		.amdhsa_user_sgpr_dispatch_ptr 0
		.amdhsa_user_sgpr_queue_ptr 0
		.amdhsa_user_sgpr_kernarg_segment_ptr 1
		.amdhsa_user_sgpr_dispatch_id 0
		.amdhsa_user_sgpr_kernarg_preload_length 0
		.amdhsa_user_sgpr_kernarg_preload_offset 0
		.amdhsa_user_sgpr_private_segment_size 0
		.amdhsa_wavefront_size32 1
		.amdhsa_uses_dynamic_stack 0
		.amdhsa_enable_private_segment 0
		.amdhsa_system_sgpr_workgroup_id_x 1
		.amdhsa_system_sgpr_workgroup_id_y 0
		.amdhsa_system_sgpr_workgroup_id_z 0
		.amdhsa_system_sgpr_workgroup_info 0
		.amdhsa_system_vgpr_workitem_id 0
		.amdhsa_next_free_vgpr 25
		.amdhsa_next_free_sgpr 23
		.amdhsa_named_barrier_count 0
		.amdhsa_reserve_vcc 1
		.amdhsa_float_round_mode_32 0
		.amdhsa_float_round_mode_16_64 0
		.amdhsa_float_denorm_mode_32 3
		.amdhsa_float_denorm_mode_16_64 3
		.amdhsa_fp16_overflow 0
		.amdhsa_memory_ordered 1
		.amdhsa_forward_progress 1
		.amdhsa_inst_pref_size 9
		.amdhsa_round_robin_scheduling 0
		.amdhsa_exception_fp_ieee_invalid_op 0
		.amdhsa_exception_fp_denorm_src 0
		.amdhsa_exception_fp_ieee_div_zero 0
		.amdhsa_exception_fp_ieee_overflow 0
		.amdhsa_exception_fp_ieee_underflow 0
		.amdhsa_exception_fp_ieee_inexact 0
		.amdhsa_exception_int_div_zero 0
	.end_amdhsa_kernel
	.section	.text._ZN9rocsparseL21csrmvt_general_kernelILj256ELj16Ellf21rocsparse_complex_numIfES2_S2_EEvbbT2_NS_24const_host_device_scalarIT6_EEPKT1_S9_PKS3_PKT3_PKT4_PT5_21rocsparse_index_base_b,"axG",@progbits,_ZN9rocsparseL21csrmvt_general_kernelILj256ELj16Ellf21rocsparse_complex_numIfES2_S2_EEvbbT2_NS_24const_host_device_scalarIT6_EEPKT1_S9_PKS3_PKT3_PKT4_PT5_21rocsparse_index_base_b,comdat
.Lfunc_end294:
	.size	_ZN9rocsparseL21csrmvt_general_kernelILj256ELj16Ellf21rocsparse_complex_numIfES2_S2_EEvbbT2_NS_24const_host_device_scalarIT6_EEPKT1_S9_PKS3_PKT3_PKT4_PT5_21rocsparse_index_base_b, .Lfunc_end294-_ZN9rocsparseL21csrmvt_general_kernelILj256ELj16Ellf21rocsparse_complex_numIfES2_S2_EEvbbT2_NS_24const_host_device_scalarIT6_EEPKT1_S9_PKS3_PKT3_PKT4_PT5_21rocsparse_index_base_b
                                        ; -- End function
	.set _ZN9rocsparseL21csrmvt_general_kernelILj256ELj16Ellf21rocsparse_complex_numIfES2_S2_EEvbbT2_NS_24const_host_device_scalarIT6_EEPKT1_S9_PKS3_PKT3_PKT4_PT5_21rocsparse_index_base_b.num_vgpr, 25
	.set _ZN9rocsparseL21csrmvt_general_kernelILj256ELj16Ellf21rocsparse_complex_numIfES2_S2_EEvbbT2_NS_24const_host_device_scalarIT6_EEPKT1_S9_PKS3_PKT3_PKT4_PT5_21rocsparse_index_base_b.num_agpr, 0
	.set _ZN9rocsparseL21csrmvt_general_kernelILj256ELj16Ellf21rocsparse_complex_numIfES2_S2_EEvbbT2_NS_24const_host_device_scalarIT6_EEPKT1_S9_PKS3_PKT3_PKT4_PT5_21rocsparse_index_base_b.numbered_sgpr, 23
	.set _ZN9rocsparseL21csrmvt_general_kernelILj256ELj16Ellf21rocsparse_complex_numIfES2_S2_EEvbbT2_NS_24const_host_device_scalarIT6_EEPKT1_S9_PKS3_PKT3_PKT4_PT5_21rocsparse_index_base_b.num_named_barrier, 0
	.set _ZN9rocsparseL21csrmvt_general_kernelILj256ELj16Ellf21rocsparse_complex_numIfES2_S2_EEvbbT2_NS_24const_host_device_scalarIT6_EEPKT1_S9_PKS3_PKT3_PKT4_PT5_21rocsparse_index_base_b.private_seg_size, 0
	.set _ZN9rocsparseL21csrmvt_general_kernelILj256ELj16Ellf21rocsparse_complex_numIfES2_S2_EEvbbT2_NS_24const_host_device_scalarIT6_EEPKT1_S9_PKS3_PKT3_PKT4_PT5_21rocsparse_index_base_b.uses_vcc, 1
	.set _ZN9rocsparseL21csrmvt_general_kernelILj256ELj16Ellf21rocsparse_complex_numIfES2_S2_EEvbbT2_NS_24const_host_device_scalarIT6_EEPKT1_S9_PKS3_PKT3_PKT4_PT5_21rocsparse_index_base_b.uses_flat_scratch, 0
	.set _ZN9rocsparseL21csrmvt_general_kernelILj256ELj16Ellf21rocsparse_complex_numIfES2_S2_EEvbbT2_NS_24const_host_device_scalarIT6_EEPKT1_S9_PKS3_PKT3_PKT4_PT5_21rocsparse_index_base_b.has_dyn_sized_stack, 0
	.set _ZN9rocsparseL21csrmvt_general_kernelILj256ELj16Ellf21rocsparse_complex_numIfES2_S2_EEvbbT2_NS_24const_host_device_scalarIT6_EEPKT1_S9_PKS3_PKT3_PKT4_PT5_21rocsparse_index_base_b.has_recursion, 0
	.set _ZN9rocsparseL21csrmvt_general_kernelILj256ELj16Ellf21rocsparse_complex_numIfES2_S2_EEvbbT2_NS_24const_host_device_scalarIT6_EEPKT1_S9_PKS3_PKT3_PKT4_PT5_21rocsparse_index_base_b.has_indirect_call, 0
	.section	.AMDGPU.csdata,"",@progbits
; Kernel info:
; codeLenInByte = 1032
; TotalNumSgprs: 25
; NumVgprs: 25
; ScratchSize: 0
; MemoryBound: 0
; FloatMode: 240
; IeeeMode: 1
; LDSByteSize: 0 bytes/workgroup (compile time only)
; SGPRBlocks: 0
; VGPRBlocks: 1
; NumSGPRsForWavesPerEU: 25
; NumVGPRsForWavesPerEU: 25
; NamedBarCnt: 0
; Occupancy: 16
; WaveLimiterHint : 1
; COMPUTE_PGM_RSRC2:SCRATCH_EN: 0
; COMPUTE_PGM_RSRC2:USER_SGPR: 2
; COMPUTE_PGM_RSRC2:TRAP_HANDLER: 0
; COMPUTE_PGM_RSRC2:TGID_X_EN: 1
; COMPUTE_PGM_RSRC2:TGID_Y_EN: 0
; COMPUTE_PGM_RSRC2:TGID_Z_EN: 0
; COMPUTE_PGM_RSRC2:TIDIG_COMP_CNT: 0
	.section	.text._ZN9rocsparseL21csrmvt_general_kernelILj256ELj32Ellf21rocsparse_complex_numIfES2_S2_EEvbbT2_NS_24const_host_device_scalarIT6_EEPKT1_S9_PKS3_PKT3_PKT4_PT5_21rocsparse_index_base_b,"axG",@progbits,_ZN9rocsparseL21csrmvt_general_kernelILj256ELj32Ellf21rocsparse_complex_numIfES2_S2_EEvbbT2_NS_24const_host_device_scalarIT6_EEPKT1_S9_PKS3_PKT3_PKT4_PT5_21rocsparse_index_base_b,comdat
	.globl	_ZN9rocsparseL21csrmvt_general_kernelILj256ELj32Ellf21rocsparse_complex_numIfES2_S2_EEvbbT2_NS_24const_host_device_scalarIT6_EEPKT1_S9_PKS3_PKT3_PKT4_PT5_21rocsparse_index_base_b ; -- Begin function _ZN9rocsparseL21csrmvt_general_kernelILj256ELj32Ellf21rocsparse_complex_numIfES2_S2_EEvbbT2_NS_24const_host_device_scalarIT6_EEPKT1_S9_PKS3_PKT3_PKT4_PT5_21rocsparse_index_base_b
	.p2align	8
	.type	_ZN9rocsparseL21csrmvt_general_kernelILj256ELj32Ellf21rocsparse_complex_numIfES2_S2_EEvbbT2_NS_24const_host_device_scalarIT6_EEPKT1_S9_PKS3_PKT3_PKT4_PT5_21rocsparse_index_base_b,@function
_ZN9rocsparseL21csrmvt_general_kernelILj256ELj32Ellf21rocsparse_complex_numIfES2_S2_EEvbbT2_NS_24const_host_device_scalarIT6_EEPKT1_S9_PKS3_PKT3_PKT4_PT5_21rocsparse_index_base_b: ; @_ZN9rocsparseL21csrmvt_general_kernelILj256ELj32Ellf21rocsparse_complex_numIfES2_S2_EEvbbT2_NS_24const_host_device_scalarIT6_EEPKT1_S9_PKS3_PKT3_PKT4_PT5_21rocsparse_index_base_b
; %bb.0:
	s_clause 0x1
	s_load_b64 s[20:21], s[0:1], 0x48
	s_load_b256 s[4:11], s[0:1], 0x8
	v_mov_b32_e32 v3, 0
	s_add_nc_u64 s[2:3], s[0:1], 16
	s_wait_kmcnt 0x0
	s_bitcmp1_b32 s21, 0
	s_cselect_b32 s3, s3, s7
	s_cselect_b32 s2, s2, s6
	flat_load_b64 v[4:5], v3, s[2:3]
	s_wait_xcnt 0x0
	s_mov_b32 s3, 0
	s_wait_loadcnt_dscnt 0x0
	v_cmp_neq_f32_e32 vcc_lo, 0, v4
	v_cmp_neq_f32_e64 s2, 0, v5
	s_or_b32 s2, vcc_lo, s2
	s_delay_alu instid0(SALU_CYCLE_1)
	s_and_saveexec_b32 s6, s2
	s_cbranch_execz .LBB295_18
; %bb.1:
	s_clause 0x1
	s_load_b32 s2, s[0:1], 0x0
	s_load_b32 s6, s[0:1], 0x50
	s_bfe_u32 s7, ttmp6, 0x4000c
	s_and_b32 s12, ttmp6, 15
	s_add_co_i32 s7, s7, 1
	s_getreg_b32 s13, hwreg(HW_REG_IB_STS2, 6, 4)
	s_mul_i32 s7, ttmp9, s7
	s_wait_kmcnt 0x0
	s_and_b32 s21, s2, 1
	s_lshl_b32 s2, s6, 3
	s_add_co_i32 s6, s12, s7
	s_cmp_eq_u32 s13, 0
	s_load_b256 s[12:19], s[0:1], 0x28
	s_wait_xcnt 0x0
	s_cselect_b32 s0, ttmp9, s6
	s_cmp_eq_u32 s21, 0
	v_lshl_or_b32 v1, s0, 8, v0
	s_mov_b32 s1, -1
	s_delay_alu instid0(VALU_DEP_1) | instskip(NEXT) | instid1(VALU_DEP_1)
	v_dual_lshrrev_b32 v2, 5, v1 :: v_dual_bitop2_b32 v0, 31, v0 bitop3:0x40
	v_cmp_gt_i64_e64 s0, s[4:5], v[2:3]
	s_cbranch_scc0 .LBB295_9
; %bb.2:
	s_and_saveexec_b32 s1, s0
	s_cbranch_execz .LBB295_8
; %bb.3:
	v_mov_b32_e32 v1, 0
	s_mov_b32 s21, 0
	v_mov_b64_e32 v[8:9], v[2:3]
	s_mov_b32 s6, s21
	s_delay_alu instid0(VALU_DEP_2)
	v_sub_nc_u64_e64 v[6:7], v[0:1], s[20:21]
	s_branch .LBB295_5
.LBB295_4:                              ;   in Loop: Header=BB295_5 Depth=1
	s_or_b32 exec_lo, exec_lo, s7
	v_add_nc_u64_e32 v[8:9], s[2:3], v[8:9]
	s_delay_alu instid0(VALU_DEP_1) | instskip(SKIP_1) | instid1(SALU_CYCLE_1)
	v_cmp_le_i64_e32 vcc_lo, s[4:5], v[8:9]
	s_or_b32 s6, vcc_lo, s6
	s_and_not1_b32 exec_lo, exec_lo, s6
	s_cbranch_execz .LBB295_8
.LBB295_5:                              ; =>This Loop Header: Depth=1
                                        ;     Child Loop BB295_7 Depth 2
	s_delay_alu instid0(VALU_DEP_2) | instskip(SKIP_1) | instid1(VALU_DEP_1)
	v_lshlrev_b64_e32 v[10:11], 3, v[8:9]
	s_mov_b32 s7, exec_lo
	v_add_nc_u64_e32 v[12:13], s[10:11], v[10:11]
	v_add_nc_u64_e32 v[10:11], s[8:9], v[10:11]
	global_load_b64 v[14:15], v[12:13], off
	global_load_b64 v[16:17], v[10:11], off
	s_wait_loadcnt 0x1
	s_wait_xcnt 0x0
	v_sub_nc_u64_e64 v[10:11], v[14:15], s[20:21]
	s_wait_loadcnt 0x0
	v_add_nc_u64_e32 v[12:13], v[16:17], v[6:7]
	s_delay_alu instid0(VALU_DEP_1)
	v_cmpx_lt_i64_e64 v[12:13], v[10:11]
	s_cbranch_execz .LBB295_4
; %bb.6:                                ;   in Loop: Header=BB295_5 Depth=1
	s_wait_kmcnt 0x0
	v_lshl_add_u64 v[14:15], v[8:9], 3, s[16:17]
	v_lshl_add_u64 v[16:17], v[12:13], 2, s[14:15]
	s_mov_b32 s22, 0
	global_load_b64 v[14:15], v[14:15], off
	s_wait_loadcnt 0x0
	v_dual_mul_f32 v1, v4, v15 :: v_dual_mul_f32 v18, v15, -v5
	s_delay_alu instid0(VALU_DEP_1) | instskip(SKIP_2) | instid1(VALU_DEP_2)
	v_dual_fmac_f32 v1, v5, v14 :: v_dual_fmac_f32 v18, v4, v14
	s_wait_xcnt 0x0
	v_lshl_add_u64 v[14:15], v[12:13], 3, s[12:13]
	v_dual_mul_f32 v19, 0x80000000, v1 :: v_dual_mul_f32 v20, 0, v18
.LBB295_7:                              ;   Parent Loop BB295_5 Depth=1
                                        ; =>  This Inner Loop Header: Depth=2
	global_load_b64 v[22:23], v[14:15], off
	global_load_b32 v21, v[16:17], off
	v_add_nc_u64_e32 v[12:13], 32, v[12:13]
	s_wait_xcnt 0x1
	v_add_nc_u64_e32 v[14:15], 0x100, v[14:15]
	s_wait_xcnt 0x0
	v_add_nc_u64_e32 v[16:17], 0x80, v[16:17]
	s_delay_alu instid0(VALU_DEP_3)
	v_cmp_ge_i64_e32 vcc_lo, v[12:13], v[10:11]
	s_or_b32 s22, vcc_lo, s22
	s_wait_loadcnt 0x1
	v_sub_nc_u64_e64 v[22:23], v[22:23], s[20:21]
	s_wait_loadcnt 0x0
	v_dual_fma_f32 v24, v18, v21, v19 :: v_dual_fma_f32 v21, v1, v21, v20
	s_delay_alu instid0(VALU_DEP_2)
	v_lshl_add_u64 v[22:23], v[22:23], 3, s[18:19]
	global_atomic_add_f32 v[22:23], v24, off scope:SCOPE_DEV
	s_wait_xcnt 0x0
	global_atomic_add_f32 v[22:23], v21, off offset:4 scope:SCOPE_DEV
	s_wait_xcnt 0x0
	s_and_not1_b32 exec_lo, exec_lo, s22
	s_cbranch_execnz .LBB295_7
	s_branch .LBB295_4
.LBB295_8:
	s_or_b32 exec_lo, exec_lo, s1
	s_mov_b32 s1, 0
.LBB295_9:
	s_delay_alu instid0(SALU_CYCLE_1)
	s_and_not1_b32 vcc_lo, exec_lo, s1
	s_cbranch_vccnz .LBB295_18
; %bb.10:
	s_and_b32 exec_lo, exec_lo, s0
	s_cbranch_execz .LBB295_18
; %bb.11:
	v_mov_b32_e32 v1, 0
	s_mov_b32 s21, 0
	s_delay_alu instid0(SALU_CYCLE_1) | instskip(NEXT) | instid1(VALU_DEP_1)
	s_mov_b32 s0, s21
	v_sub_nc_u64_e64 v[0:1], v[0:1], s[20:21]
	s_branch .LBB295_13
.LBB295_12:                             ;   in Loop: Header=BB295_13 Depth=1
	s_or_b32 exec_lo, exec_lo, s1
	v_add_nc_u64_e32 v[2:3], s[2:3], v[2:3]
	s_delay_alu instid0(VALU_DEP_1) | instskip(SKIP_1) | instid1(SALU_CYCLE_1)
	v_cmp_le_i64_e32 vcc_lo, s[4:5], v[2:3]
	s_or_b32 s0, vcc_lo, s0
	s_and_not1_b32 exec_lo, exec_lo, s0
	s_cbranch_execz .LBB295_18
.LBB295_13:                             ; =>This Loop Header: Depth=1
                                        ;     Child Loop BB295_16 Depth 2
	v_lshlrev_b64_e32 v[6:7], 3, v[2:3]
	s_mov_b32 s1, exec_lo
	s_delay_alu instid0(VALU_DEP_1)
	v_add_nc_u64_e32 v[8:9], s[10:11], v[6:7]
	v_add_nc_u64_e32 v[6:7], s[8:9], v[6:7]
	global_load_b64 v[10:11], v[8:9], off
	global_load_b64 v[12:13], v[6:7], off
	s_wait_loadcnt 0x1
	s_wait_xcnt 0x0
	v_sub_nc_u64_e64 v[6:7], v[10:11], s[20:21]
	s_wait_loadcnt 0x0
	v_add_nc_u64_e32 v[8:9], v[12:13], v[0:1]
	s_delay_alu instid0(VALU_DEP_1)
	v_cmpx_lt_i64_e64 v[8:9], v[6:7]
	s_cbranch_execz .LBB295_12
; %bb.14:                               ;   in Loop: Header=BB295_13 Depth=1
	s_wait_kmcnt 0x0
	v_lshl_add_u64 v[10:11], v[2:3], 3, s[16:17]
	v_lshl_add_u64 v[12:13], v[8:9], 2, s[14:15]
	s_mov_b32 s6, 0
	global_load_b64 v[10:11], v[10:11], off
	s_wait_loadcnt 0x0
	v_dual_mul_f32 v16, v4, v11 :: v_dual_mul_f32 v17, v11, -v5
	s_delay_alu instid0(VALU_DEP_1) | instskip(SKIP_2) | instid1(VALU_DEP_2)
	v_dual_fmac_f32 v16, v5, v10 :: v_dual_fmac_f32 v17, v4, v10
	s_wait_xcnt 0x0
	v_lshl_add_u64 v[10:11], v[8:9], 3, s[12:13]
	v_dual_mul_f32 v18, 0x80000000, v16 :: v_dual_mul_f32 v19, 0, v17
	s_branch .LBB295_16
.LBB295_15:                             ;   in Loop: Header=BB295_16 Depth=2
	s_wait_xcnt 0x0
	s_or_b32 exec_lo, exec_lo, s7
	v_add_nc_u64_e32 v[8:9], 32, v[8:9]
	v_add_nc_u64_e32 v[10:11], 0x100, v[10:11]
	;; [unrolled: 1-line block ×3, first 2 shown]
	s_delay_alu instid0(VALU_DEP_3) | instskip(SKIP_1) | instid1(SALU_CYCLE_1)
	v_cmp_ge_i64_e32 vcc_lo, v[8:9], v[6:7]
	s_or_b32 s6, vcc_lo, s6
	s_and_not1_b32 exec_lo, exec_lo, s6
	s_cbranch_execz .LBB295_12
.LBB295_16:                             ;   Parent Loop BB295_13 Depth=1
                                        ; =>  This Inner Loop Header: Depth=2
	global_load_b64 v[14:15], v[10:11], off
	s_mov_b32 s7, exec_lo
	s_wait_loadcnt 0x0
	v_sub_nc_u64_e64 v[14:15], v[14:15], s[20:21]
	s_wait_xcnt 0x0
	s_delay_alu instid0(VALU_DEP_1)
	v_cmpx_ne_u64_e64 v[14:15], v[2:3]
	s_cbranch_execz .LBB295_15
; %bb.17:                               ;   in Loop: Header=BB295_16 Depth=2
	global_load_b32 v20, v[12:13], off
	v_lshl_add_u64 v[14:15], v[14:15], 3, s[18:19]
	s_wait_loadcnt 0x0
	v_dual_fma_f32 v21, v17, v20, v18 :: v_dual_fma_f32 v20, v16, v20, v19
	s_wait_xcnt 0x0
	global_atomic_add_f32 v[14:15], v21, off scope:SCOPE_DEV
	s_wait_xcnt 0x0
	global_atomic_add_f32 v[14:15], v20, off offset:4 scope:SCOPE_DEV
	s_branch .LBB295_15
.LBB295_18:
	s_endpgm
	.section	.rodata,"a",@progbits
	.p2align	6, 0x0
	.amdhsa_kernel _ZN9rocsparseL21csrmvt_general_kernelILj256ELj32Ellf21rocsparse_complex_numIfES2_S2_EEvbbT2_NS_24const_host_device_scalarIT6_EEPKT1_S9_PKS3_PKT3_PKT4_PT5_21rocsparse_index_base_b
		.amdhsa_group_segment_fixed_size 0
		.amdhsa_private_segment_fixed_size 0
		.amdhsa_kernarg_size 336
		.amdhsa_user_sgpr_count 2
		.amdhsa_user_sgpr_dispatch_ptr 0
		.amdhsa_user_sgpr_queue_ptr 0
		.amdhsa_user_sgpr_kernarg_segment_ptr 1
		.amdhsa_user_sgpr_dispatch_id 0
		.amdhsa_user_sgpr_kernarg_preload_length 0
		.amdhsa_user_sgpr_kernarg_preload_offset 0
		.amdhsa_user_sgpr_private_segment_size 0
		.amdhsa_wavefront_size32 1
		.amdhsa_uses_dynamic_stack 0
		.amdhsa_enable_private_segment 0
		.amdhsa_system_sgpr_workgroup_id_x 1
		.amdhsa_system_sgpr_workgroup_id_y 0
		.amdhsa_system_sgpr_workgroup_id_z 0
		.amdhsa_system_sgpr_workgroup_info 0
		.amdhsa_system_vgpr_workitem_id 0
		.amdhsa_next_free_vgpr 25
		.amdhsa_next_free_sgpr 23
		.amdhsa_named_barrier_count 0
		.amdhsa_reserve_vcc 1
		.amdhsa_float_round_mode_32 0
		.amdhsa_float_round_mode_16_64 0
		.amdhsa_float_denorm_mode_32 3
		.amdhsa_float_denorm_mode_16_64 3
		.amdhsa_fp16_overflow 0
		.amdhsa_memory_ordered 1
		.amdhsa_forward_progress 1
		.amdhsa_inst_pref_size 9
		.amdhsa_round_robin_scheduling 0
		.amdhsa_exception_fp_ieee_invalid_op 0
		.amdhsa_exception_fp_denorm_src 0
		.amdhsa_exception_fp_ieee_div_zero 0
		.amdhsa_exception_fp_ieee_overflow 0
		.amdhsa_exception_fp_ieee_underflow 0
		.amdhsa_exception_fp_ieee_inexact 0
		.amdhsa_exception_int_div_zero 0
	.end_amdhsa_kernel
	.section	.text._ZN9rocsparseL21csrmvt_general_kernelILj256ELj32Ellf21rocsparse_complex_numIfES2_S2_EEvbbT2_NS_24const_host_device_scalarIT6_EEPKT1_S9_PKS3_PKT3_PKT4_PT5_21rocsparse_index_base_b,"axG",@progbits,_ZN9rocsparseL21csrmvt_general_kernelILj256ELj32Ellf21rocsparse_complex_numIfES2_S2_EEvbbT2_NS_24const_host_device_scalarIT6_EEPKT1_S9_PKS3_PKT3_PKT4_PT5_21rocsparse_index_base_b,comdat
.Lfunc_end295:
	.size	_ZN9rocsparseL21csrmvt_general_kernelILj256ELj32Ellf21rocsparse_complex_numIfES2_S2_EEvbbT2_NS_24const_host_device_scalarIT6_EEPKT1_S9_PKS3_PKT3_PKT4_PT5_21rocsparse_index_base_b, .Lfunc_end295-_ZN9rocsparseL21csrmvt_general_kernelILj256ELj32Ellf21rocsparse_complex_numIfES2_S2_EEvbbT2_NS_24const_host_device_scalarIT6_EEPKT1_S9_PKS3_PKT3_PKT4_PT5_21rocsparse_index_base_b
                                        ; -- End function
	.set _ZN9rocsparseL21csrmvt_general_kernelILj256ELj32Ellf21rocsparse_complex_numIfES2_S2_EEvbbT2_NS_24const_host_device_scalarIT6_EEPKT1_S9_PKS3_PKT3_PKT4_PT5_21rocsparse_index_base_b.num_vgpr, 25
	.set _ZN9rocsparseL21csrmvt_general_kernelILj256ELj32Ellf21rocsparse_complex_numIfES2_S2_EEvbbT2_NS_24const_host_device_scalarIT6_EEPKT1_S9_PKS3_PKT3_PKT4_PT5_21rocsparse_index_base_b.num_agpr, 0
	.set _ZN9rocsparseL21csrmvt_general_kernelILj256ELj32Ellf21rocsparse_complex_numIfES2_S2_EEvbbT2_NS_24const_host_device_scalarIT6_EEPKT1_S9_PKS3_PKT3_PKT4_PT5_21rocsparse_index_base_b.numbered_sgpr, 23
	.set _ZN9rocsparseL21csrmvt_general_kernelILj256ELj32Ellf21rocsparse_complex_numIfES2_S2_EEvbbT2_NS_24const_host_device_scalarIT6_EEPKT1_S9_PKS3_PKT3_PKT4_PT5_21rocsparse_index_base_b.num_named_barrier, 0
	.set _ZN9rocsparseL21csrmvt_general_kernelILj256ELj32Ellf21rocsparse_complex_numIfES2_S2_EEvbbT2_NS_24const_host_device_scalarIT6_EEPKT1_S9_PKS3_PKT3_PKT4_PT5_21rocsparse_index_base_b.private_seg_size, 0
	.set _ZN9rocsparseL21csrmvt_general_kernelILj256ELj32Ellf21rocsparse_complex_numIfES2_S2_EEvbbT2_NS_24const_host_device_scalarIT6_EEPKT1_S9_PKS3_PKT3_PKT4_PT5_21rocsparse_index_base_b.uses_vcc, 1
	.set _ZN9rocsparseL21csrmvt_general_kernelILj256ELj32Ellf21rocsparse_complex_numIfES2_S2_EEvbbT2_NS_24const_host_device_scalarIT6_EEPKT1_S9_PKS3_PKT3_PKT4_PT5_21rocsparse_index_base_b.uses_flat_scratch, 0
	.set _ZN9rocsparseL21csrmvt_general_kernelILj256ELj32Ellf21rocsparse_complex_numIfES2_S2_EEvbbT2_NS_24const_host_device_scalarIT6_EEPKT1_S9_PKS3_PKT3_PKT4_PT5_21rocsparse_index_base_b.has_dyn_sized_stack, 0
	.set _ZN9rocsparseL21csrmvt_general_kernelILj256ELj32Ellf21rocsparse_complex_numIfES2_S2_EEvbbT2_NS_24const_host_device_scalarIT6_EEPKT1_S9_PKS3_PKT3_PKT4_PT5_21rocsparse_index_base_b.has_recursion, 0
	.set _ZN9rocsparseL21csrmvt_general_kernelILj256ELj32Ellf21rocsparse_complex_numIfES2_S2_EEvbbT2_NS_24const_host_device_scalarIT6_EEPKT1_S9_PKS3_PKT3_PKT4_PT5_21rocsparse_index_base_b.has_indirect_call, 0
	.section	.AMDGPU.csdata,"",@progbits
; Kernel info:
; codeLenInByte = 1040
; TotalNumSgprs: 25
; NumVgprs: 25
; ScratchSize: 0
; MemoryBound: 0
; FloatMode: 240
; IeeeMode: 1
; LDSByteSize: 0 bytes/workgroup (compile time only)
; SGPRBlocks: 0
; VGPRBlocks: 1
; NumSGPRsForWavesPerEU: 25
; NumVGPRsForWavesPerEU: 25
; NamedBarCnt: 0
; Occupancy: 16
; WaveLimiterHint : 1
; COMPUTE_PGM_RSRC2:SCRATCH_EN: 0
; COMPUTE_PGM_RSRC2:USER_SGPR: 2
; COMPUTE_PGM_RSRC2:TRAP_HANDLER: 0
; COMPUTE_PGM_RSRC2:TGID_X_EN: 1
; COMPUTE_PGM_RSRC2:TGID_Y_EN: 0
; COMPUTE_PGM_RSRC2:TGID_Z_EN: 0
; COMPUTE_PGM_RSRC2:TIDIG_COMP_CNT: 0
	.section	.text._ZN9rocsparseL21csrmvt_general_kernelILj256ELj64Ellf21rocsparse_complex_numIfES2_S2_EEvbbT2_NS_24const_host_device_scalarIT6_EEPKT1_S9_PKS3_PKT3_PKT4_PT5_21rocsparse_index_base_b,"axG",@progbits,_ZN9rocsparseL21csrmvt_general_kernelILj256ELj64Ellf21rocsparse_complex_numIfES2_S2_EEvbbT2_NS_24const_host_device_scalarIT6_EEPKT1_S9_PKS3_PKT3_PKT4_PT5_21rocsparse_index_base_b,comdat
	.globl	_ZN9rocsparseL21csrmvt_general_kernelILj256ELj64Ellf21rocsparse_complex_numIfES2_S2_EEvbbT2_NS_24const_host_device_scalarIT6_EEPKT1_S9_PKS3_PKT3_PKT4_PT5_21rocsparse_index_base_b ; -- Begin function _ZN9rocsparseL21csrmvt_general_kernelILj256ELj64Ellf21rocsparse_complex_numIfES2_S2_EEvbbT2_NS_24const_host_device_scalarIT6_EEPKT1_S9_PKS3_PKT3_PKT4_PT5_21rocsparse_index_base_b
	.p2align	8
	.type	_ZN9rocsparseL21csrmvt_general_kernelILj256ELj64Ellf21rocsparse_complex_numIfES2_S2_EEvbbT2_NS_24const_host_device_scalarIT6_EEPKT1_S9_PKS3_PKT3_PKT4_PT5_21rocsparse_index_base_b,@function
_ZN9rocsparseL21csrmvt_general_kernelILj256ELj64Ellf21rocsparse_complex_numIfES2_S2_EEvbbT2_NS_24const_host_device_scalarIT6_EEPKT1_S9_PKS3_PKT3_PKT4_PT5_21rocsparse_index_base_b: ; @_ZN9rocsparseL21csrmvt_general_kernelILj256ELj64Ellf21rocsparse_complex_numIfES2_S2_EEvbbT2_NS_24const_host_device_scalarIT6_EEPKT1_S9_PKS3_PKT3_PKT4_PT5_21rocsparse_index_base_b
; %bb.0:
	s_clause 0x1
	s_load_b64 s[20:21], s[0:1], 0x48
	s_load_b256 s[4:11], s[0:1], 0x8
	v_mov_b32_e32 v3, 0
	s_add_nc_u64 s[2:3], s[0:1], 16
	s_wait_kmcnt 0x0
	s_bitcmp1_b32 s21, 0
	s_cselect_b32 s3, s3, s7
	s_cselect_b32 s2, s2, s6
	flat_load_b64 v[4:5], v3, s[2:3]
	s_wait_xcnt 0x0
	s_mov_b32 s3, 0
	s_wait_loadcnt_dscnt 0x0
	v_cmp_neq_f32_e32 vcc_lo, 0, v4
	v_cmp_neq_f32_e64 s2, 0, v5
	s_or_b32 s2, vcc_lo, s2
	s_delay_alu instid0(SALU_CYCLE_1)
	s_and_saveexec_b32 s6, s2
	s_cbranch_execz .LBB296_18
; %bb.1:
	s_clause 0x1
	s_load_b32 s2, s[0:1], 0x0
	s_load_b32 s6, s[0:1], 0x50
	s_bfe_u32 s7, ttmp6, 0x4000c
	s_and_b32 s12, ttmp6, 15
	s_add_co_i32 s7, s7, 1
	s_getreg_b32 s13, hwreg(HW_REG_IB_STS2, 6, 4)
	s_mul_i32 s7, ttmp9, s7
	s_wait_kmcnt 0x0
	s_and_b32 s21, s2, 1
	s_lshl_b32 s2, s6, 2
	s_add_co_i32 s6, s12, s7
	s_cmp_eq_u32 s13, 0
	s_load_b256 s[12:19], s[0:1], 0x28
	s_wait_xcnt 0x0
	s_cselect_b32 s0, ttmp9, s6
	s_cmp_eq_u32 s21, 0
	v_lshl_or_b32 v1, s0, 8, v0
	s_mov_b32 s1, -1
	s_delay_alu instid0(VALU_DEP_1) | instskip(NEXT) | instid1(VALU_DEP_1)
	v_dual_lshrrev_b32 v2, 6, v1 :: v_dual_bitop2_b32 v0, 63, v0 bitop3:0x40
	v_cmp_gt_i64_e64 s0, s[4:5], v[2:3]
	s_cbranch_scc0 .LBB296_9
; %bb.2:
	s_and_saveexec_b32 s1, s0
	s_cbranch_execz .LBB296_8
; %bb.3:
	v_mov_b32_e32 v1, 0
	s_mov_b32 s21, 0
	v_mov_b64_e32 v[8:9], v[2:3]
	s_mov_b32 s6, s21
	s_delay_alu instid0(VALU_DEP_2)
	v_sub_nc_u64_e64 v[6:7], v[0:1], s[20:21]
	s_branch .LBB296_5
.LBB296_4:                              ;   in Loop: Header=BB296_5 Depth=1
	s_or_b32 exec_lo, exec_lo, s7
	v_add_nc_u64_e32 v[8:9], s[2:3], v[8:9]
	s_delay_alu instid0(VALU_DEP_1) | instskip(SKIP_1) | instid1(SALU_CYCLE_1)
	v_cmp_le_i64_e32 vcc_lo, s[4:5], v[8:9]
	s_or_b32 s6, vcc_lo, s6
	s_and_not1_b32 exec_lo, exec_lo, s6
	s_cbranch_execz .LBB296_8
.LBB296_5:                              ; =>This Loop Header: Depth=1
                                        ;     Child Loop BB296_7 Depth 2
	s_delay_alu instid0(VALU_DEP_2) | instskip(SKIP_1) | instid1(VALU_DEP_1)
	v_lshlrev_b64_e32 v[10:11], 3, v[8:9]
	s_mov_b32 s7, exec_lo
	v_add_nc_u64_e32 v[12:13], s[10:11], v[10:11]
	v_add_nc_u64_e32 v[10:11], s[8:9], v[10:11]
	global_load_b64 v[14:15], v[12:13], off
	global_load_b64 v[16:17], v[10:11], off
	s_wait_loadcnt 0x1
	s_wait_xcnt 0x0
	v_sub_nc_u64_e64 v[10:11], v[14:15], s[20:21]
	s_wait_loadcnt 0x0
	v_add_nc_u64_e32 v[12:13], v[16:17], v[6:7]
	s_delay_alu instid0(VALU_DEP_1)
	v_cmpx_lt_i64_e64 v[12:13], v[10:11]
	s_cbranch_execz .LBB296_4
; %bb.6:                                ;   in Loop: Header=BB296_5 Depth=1
	s_wait_kmcnt 0x0
	v_lshl_add_u64 v[14:15], v[8:9], 3, s[16:17]
	v_lshl_add_u64 v[16:17], v[12:13], 2, s[14:15]
	s_mov_b32 s22, 0
	global_load_b64 v[14:15], v[14:15], off
	s_wait_loadcnt 0x0
	v_dual_mul_f32 v1, v4, v15 :: v_dual_mul_f32 v18, v15, -v5
	s_delay_alu instid0(VALU_DEP_1) | instskip(SKIP_2) | instid1(VALU_DEP_2)
	v_dual_fmac_f32 v1, v5, v14 :: v_dual_fmac_f32 v18, v4, v14
	s_wait_xcnt 0x0
	v_lshl_add_u64 v[14:15], v[12:13], 3, s[12:13]
	v_dual_mul_f32 v19, 0x80000000, v1 :: v_dual_mul_f32 v20, 0, v18
.LBB296_7:                              ;   Parent Loop BB296_5 Depth=1
                                        ; =>  This Inner Loop Header: Depth=2
	global_load_b64 v[22:23], v[14:15], off
	global_load_b32 v21, v[16:17], off
	v_add_nc_u64_e32 v[12:13], 64, v[12:13]
	s_wait_xcnt 0x1
	v_add_nc_u64_e32 v[14:15], 0x200, v[14:15]
	s_wait_xcnt 0x0
	v_add_nc_u64_e32 v[16:17], 0x100, v[16:17]
	s_delay_alu instid0(VALU_DEP_3)
	v_cmp_ge_i64_e32 vcc_lo, v[12:13], v[10:11]
	s_or_b32 s22, vcc_lo, s22
	s_wait_loadcnt 0x1
	v_sub_nc_u64_e64 v[22:23], v[22:23], s[20:21]
	s_wait_loadcnt 0x0
	v_dual_fma_f32 v24, v18, v21, v19 :: v_dual_fma_f32 v21, v1, v21, v20
	s_delay_alu instid0(VALU_DEP_2)
	v_lshl_add_u64 v[22:23], v[22:23], 3, s[18:19]
	global_atomic_add_f32 v[22:23], v24, off scope:SCOPE_DEV
	s_wait_xcnt 0x0
	global_atomic_add_f32 v[22:23], v21, off offset:4 scope:SCOPE_DEV
	s_wait_xcnt 0x0
	s_and_not1_b32 exec_lo, exec_lo, s22
	s_cbranch_execnz .LBB296_7
	s_branch .LBB296_4
.LBB296_8:
	s_or_b32 exec_lo, exec_lo, s1
	s_mov_b32 s1, 0
.LBB296_9:
	s_delay_alu instid0(SALU_CYCLE_1)
	s_and_not1_b32 vcc_lo, exec_lo, s1
	s_cbranch_vccnz .LBB296_18
; %bb.10:
	s_and_b32 exec_lo, exec_lo, s0
	s_cbranch_execz .LBB296_18
; %bb.11:
	v_mov_b32_e32 v1, 0
	s_mov_b32 s21, 0
	s_delay_alu instid0(SALU_CYCLE_1) | instskip(NEXT) | instid1(VALU_DEP_1)
	s_mov_b32 s0, s21
	v_sub_nc_u64_e64 v[0:1], v[0:1], s[20:21]
	s_branch .LBB296_13
.LBB296_12:                             ;   in Loop: Header=BB296_13 Depth=1
	s_or_b32 exec_lo, exec_lo, s1
	v_add_nc_u64_e32 v[2:3], s[2:3], v[2:3]
	s_delay_alu instid0(VALU_DEP_1) | instskip(SKIP_1) | instid1(SALU_CYCLE_1)
	v_cmp_le_i64_e32 vcc_lo, s[4:5], v[2:3]
	s_or_b32 s0, vcc_lo, s0
	s_and_not1_b32 exec_lo, exec_lo, s0
	s_cbranch_execz .LBB296_18
.LBB296_13:                             ; =>This Loop Header: Depth=1
                                        ;     Child Loop BB296_16 Depth 2
	v_lshlrev_b64_e32 v[6:7], 3, v[2:3]
	s_mov_b32 s1, exec_lo
	s_delay_alu instid0(VALU_DEP_1)
	v_add_nc_u64_e32 v[8:9], s[10:11], v[6:7]
	v_add_nc_u64_e32 v[6:7], s[8:9], v[6:7]
	global_load_b64 v[10:11], v[8:9], off
	global_load_b64 v[12:13], v[6:7], off
	s_wait_loadcnt 0x1
	s_wait_xcnt 0x0
	v_sub_nc_u64_e64 v[6:7], v[10:11], s[20:21]
	s_wait_loadcnt 0x0
	v_add_nc_u64_e32 v[8:9], v[12:13], v[0:1]
	s_delay_alu instid0(VALU_DEP_1)
	v_cmpx_lt_i64_e64 v[8:9], v[6:7]
	s_cbranch_execz .LBB296_12
; %bb.14:                               ;   in Loop: Header=BB296_13 Depth=1
	s_wait_kmcnt 0x0
	v_lshl_add_u64 v[10:11], v[2:3], 3, s[16:17]
	v_lshl_add_u64 v[12:13], v[8:9], 2, s[14:15]
	s_mov_b32 s6, 0
	global_load_b64 v[10:11], v[10:11], off
	s_wait_loadcnt 0x0
	v_dual_mul_f32 v16, v4, v11 :: v_dual_mul_f32 v17, v11, -v5
	s_delay_alu instid0(VALU_DEP_1) | instskip(SKIP_2) | instid1(VALU_DEP_2)
	v_dual_fmac_f32 v16, v5, v10 :: v_dual_fmac_f32 v17, v4, v10
	s_wait_xcnt 0x0
	v_lshl_add_u64 v[10:11], v[8:9], 3, s[12:13]
	v_dual_mul_f32 v18, 0x80000000, v16 :: v_dual_mul_f32 v19, 0, v17
	s_branch .LBB296_16
.LBB296_15:                             ;   in Loop: Header=BB296_16 Depth=2
	s_wait_xcnt 0x0
	s_or_b32 exec_lo, exec_lo, s7
	v_add_nc_u64_e32 v[8:9], 64, v[8:9]
	v_add_nc_u64_e32 v[10:11], 0x200, v[10:11]
	;; [unrolled: 1-line block ×3, first 2 shown]
	s_delay_alu instid0(VALU_DEP_3) | instskip(SKIP_1) | instid1(SALU_CYCLE_1)
	v_cmp_ge_i64_e32 vcc_lo, v[8:9], v[6:7]
	s_or_b32 s6, vcc_lo, s6
	s_and_not1_b32 exec_lo, exec_lo, s6
	s_cbranch_execz .LBB296_12
.LBB296_16:                             ;   Parent Loop BB296_13 Depth=1
                                        ; =>  This Inner Loop Header: Depth=2
	global_load_b64 v[14:15], v[10:11], off
	s_mov_b32 s7, exec_lo
	s_wait_loadcnt 0x0
	v_sub_nc_u64_e64 v[14:15], v[14:15], s[20:21]
	s_wait_xcnt 0x0
	s_delay_alu instid0(VALU_DEP_1)
	v_cmpx_ne_u64_e64 v[14:15], v[2:3]
	s_cbranch_execz .LBB296_15
; %bb.17:                               ;   in Loop: Header=BB296_16 Depth=2
	global_load_b32 v20, v[12:13], off
	v_lshl_add_u64 v[14:15], v[14:15], 3, s[18:19]
	s_wait_loadcnt 0x0
	v_dual_fma_f32 v21, v17, v20, v18 :: v_dual_fma_f32 v20, v16, v20, v19
	s_wait_xcnt 0x0
	global_atomic_add_f32 v[14:15], v21, off scope:SCOPE_DEV
	s_wait_xcnt 0x0
	global_atomic_add_f32 v[14:15], v20, off offset:4 scope:SCOPE_DEV
	s_branch .LBB296_15
.LBB296_18:
	s_endpgm
	.section	.rodata,"a",@progbits
	.p2align	6, 0x0
	.amdhsa_kernel _ZN9rocsparseL21csrmvt_general_kernelILj256ELj64Ellf21rocsparse_complex_numIfES2_S2_EEvbbT2_NS_24const_host_device_scalarIT6_EEPKT1_S9_PKS3_PKT3_PKT4_PT5_21rocsparse_index_base_b
		.amdhsa_group_segment_fixed_size 0
		.amdhsa_private_segment_fixed_size 0
		.amdhsa_kernarg_size 336
		.amdhsa_user_sgpr_count 2
		.amdhsa_user_sgpr_dispatch_ptr 0
		.amdhsa_user_sgpr_queue_ptr 0
		.amdhsa_user_sgpr_kernarg_segment_ptr 1
		.amdhsa_user_sgpr_dispatch_id 0
		.amdhsa_user_sgpr_kernarg_preload_length 0
		.amdhsa_user_sgpr_kernarg_preload_offset 0
		.amdhsa_user_sgpr_private_segment_size 0
		.amdhsa_wavefront_size32 1
		.amdhsa_uses_dynamic_stack 0
		.amdhsa_enable_private_segment 0
		.amdhsa_system_sgpr_workgroup_id_x 1
		.amdhsa_system_sgpr_workgroup_id_y 0
		.amdhsa_system_sgpr_workgroup_id_z 0
		.amdhsa_system_sgpr_workgroup_info 0
		.amdhsa_system_vgpr_workitem_id 0
		.amdhsa_next_free_vgpr 25
		.amdhsa_next_free_sgpr 23
		.amdhsa_named_barrier_count 0
		.amdhsa_reserve_vcc 1
		.amdhsa_float_round_mode_32 0
		.amdhsa_float_round_mode_16_64 0
		.amdhsa_float_denorm_mode_32 3
		.amdhsa_float_denorm_mode_16_64 3
		.amdhsa_fp16_overflow 0
		.amdhsa_memory_ordered 1
		.amdhsa_forward_progress 1
		.amdhsa_inst_pref_size 9
		.amdhsa_round_robin_scheduling 0
		.amdhsa_exception_fp_ieee_invalid_op 0
		.amdhsa_exception_fp_denorm_src 0
		.amdhsa_exception_fp_ieee_div_zero 0
		.amdhsa_exception_fp_ieee_overflow 0
		.amdhsa_exception_fp_ieee_underflow 0
		.amdhsa_exception_fp_ieee_inexact 0
		.amdhsa_exception_int_div_zero 0
	.end_amdhsa_kernel
	.section	.text._ZN9rocsparseL21csrmvt_general_kernelILj256ELj64Ellf21rocsparse_complex_numIfES2_S2_EEvbbT2_NS_24const_host_device_scalarIT6_EEPKT1_S9_PKS3_PKT3_PKT4_PT5_21rocsparse_index_base_b,"axG",@progbits,_ZN9rocsparseL21csrmvt_general_kernelILj256ELj64Ellf21rocsparse_complex_numIfES2_S2_EEvbbT2_NS_24const_host_device_scalarIT6_EEPKT1_S9_PKS3_PKT3_PKT4_PT5_21rocsparse_index_base_b,comdat
.Lfunc_end296:
	.size	_ZN9rocsparseL21csrmvt_general_kernelILj256ELj64Ellf21rocsparse_complex_numIfES2_S2_EEvbbT2_NS_24const_host_device_scalarIT6_EEPKT1_S9_PKS3_PKT3_PKT4_PT5_21rocsparse_index_base_b, .Lfunc_end296-_ZN9rocsparseL21csrmvt_general_kernelILj256ELj64Ellf21rocsparse_complex_numIfES2_S2_EEvbbT2_NS_24const_host_device_scalarIT6_EEPKT1_S9_PKS3_PKT3_PKT4_PT5_21rocsparse_index_base_b
                                        ; -- End function
	.set _ZN9rocsparseL21csrmvt_general_kernelILj256ELj64Ellf21rocsparse_complex_numIfES2_S2_EEvbbT2_NS_24const_host_device_scalarIT6_EEPKT1_S9_PKS3_PKT3_PKT4_PT5_21rocsparse_index_base_b.num_vgpr, 25
	.set _ZN9rocsparseL21csrmvt_general_kernelILj256ELj64Ellf21rocsparse_complex_numIfES2_S2_EEvbbT2_NS_24const_host_device_scalarIT6_EEPKT1_S9_PKS3_PKT3_PKT4_PT5_21rocsparse_index_base_b.num_agpr, 0
	.set _ZN9rocsparseL21csrmvt_general_kernelILj256ELj64Ellf21rocsparse_complex_numIfES2_S2_EEvbbT2_NS_24const_host_device_scalarIT6_EEPKT1_S9_PKS3_PKT3_PKT4_PT5_21rocsparse_index_base_b.numbered_sgpr, 23
	.set _ZN9rocsparseL21csrmvt_general_kernelILj256ELj64Ellf21rocsparse_complex_numIfES2_S2_EEvbbT2_NS_24const_host_device_scalarIT6_EEPKT1_S9_PKS3_PKT3_PKT4_PT5_21rocsparse_index_base_b.num_named_barrier, 0
	.set _ZN9rocsparseL21csrmvt_general_kernelILj256ELj64Ellf21rocsparse_complex_numIfES2_S2_EEvbbT2_NS_24const_host_device_scalarIT6_EEPKT1_S9_PKS3_PKT3_PKT4_PT5_21rocsparse_index_base_b.private_seg_size, 0
	.set _ZN9rocsparseL21csrmvt_general_kernelILj256ELj64Ellf21rocsparse_complex_numIfES2_S2_EEvbbT2_NS_24const_host_device_scalarIT6_EEPKT1_S9_PKS3_PKT3_PKT4_PT5_21rocsparse_index_base_b.uses_vcc, 1
	.set _ZN9rocsparseL21csrmvt_general_kernelILj256ELj64Ellf21rocsparse_complex_numIfES2_S2_EEvbbT2_NS_24const_host_device_scalarIT6_EEPKT1_S9_PKS3_PKT3_PKT4_PT5_21rocsparse_index_base_b.uses_flat_scratch, 0
	.set _ZN9rocsparseL21csrmvt_general_kernelILj256ELj64Ellf21rocsparse_complex_numIfES2_S2_EEvbbT2_NS_24const_host_device_scalarIT6_EEPKT1_S9_PKS3_PKT3_PKT4_PT5_21rocsparse_index_base_b.has_dyn_sized_stack, 0
	.set _ZN9rocsparseL21csrmvt_general_kernelILj256ELj64Ellf21rocsparse_complex_numIfES2_S2_EEvbbT2_NS_24const_host_device_scalarIT6_EEPKT1_S9_PKS3_PKT3_PKT4_PT5_21rocsparse_index_base_b.has_recursion, 0
	.set _ZN9rocsparseL21csrmvt_general_kernelILj256ELj64Ellf21rocsparse_complex_numIfES2_S2_EEvbbT2_NS_24const_host_device_scalarIT6_EEPKT1_S9_PKS3_PKT3_PKT4_PT5_21rocsparse_index_base_b.has_indirect_call, 0
	.section	.AMDGPU.csdata,"",@progbits
; Kernel info:
; codeLenInByte = 1040
; TotalNumSgprs: 25
; NumVgprs: 25
; ScratchSize: 0
; MemoryBound: 0
; FloatMode: 240
; IeeeMode: 1
; LDSByteSize: 0 bytes/workgroup (compile time only)
; SGPRBlocks: 0
; VGPRBlocks: 1
; NumSGPRsForWavesPerEU: 25
; NumVGPRsForWavesPerEU: 25
; NamedBarCnt: 0
; Occupancy: 16
; WaveLimiterHint : 1
; COMPUTE_PGM_RSRC2:SCRATCH_EN: 0
; COMPUTE_PGM_RSRC2:USER_SGPR: 2
; COMPUTE_PGM_RSRC2:TRAP_HANDLER: 0
; COMPUTE_PGM_RSRC2:TGID_X_EN: 1
; COMPUTE_PGM_RSRC2:TGID_Y_EN: 0
; COMPUTE_PGM_RSRC2:TGID_Z_EN: 0
; COMPUTE_PGM_RSRC2:TIDIG_COMP_CNT: 0
	.section	.text._ZN9rocsparseL21csrmvn_general_kernelILj256ELj2EiifdddEEvbT2_NS_24const_host_device_scalarIT6_EEPKT1_S7_PKS1_PKT3_PKT4_S4_PT5_21rocsparse_index_base_b,"axG",@progbits,_ZN9rocsparseL21csrmvn_general_kernelILj256ELj2EiifdddEEvbT2_NS_24const_host_device_scalarIT6_EEPKT1_S7_PKS1_PKT3_PKT4_S4_PT5_21rocsparse_index_base_b,comdat
	.globl	_ZN9rocsparseL21csrmvn_general_kernelILj256ELj2EiifdddEEvbT2_NS_24const_host_device_scalarIT6_EEPKT1_S7_PKS1_PKT3_PKT4_S4_PT5_21rocsparse_index_base_b ; -- Begin function _ZN9rocsparseL21csrmvn_general_kernelILj256ELj2EiifdddEEvbT2_NS_24const_host_device_scalarIT6_EEPKT1_S7_PKS1_PKT3_PKT4_S4_PT5_21rocsparse_index_base_b
	.p2align	8
	.type	_ZN9rocsparseL21csrmvn_general_kernelILj256ELj2EiifdddEEvbT2_NS_24const_host_device_scalarIT6_EEPKT1_S7_PKS1_PKT3_PKT4_S4_PT5_21rocsparse_index_base_b,@function
_ZN9rocsparseL21csrmvn_general_kernelILj256ELj2EiifdddEEvbT2_NS_24const_host_device_scalarIT6_EEPKT1_S7_PKS1_PKT3_PKT4_S4_PT5_21rocsparse_index_base_b: ; @_ZN9rocsparseL21csrmvn_general_kernelILj256ELj2EiifdddEEvbT2_NS_24const_host_device_scalarIT6_EEPKT1_S7_PKS1_PKT3_PKT4_S4_PT5_21rocsparse_index_base_b
; %bb.0:
	s_clause 0x2
	s_load_b64 s[16:17], s[0:1], 0x48
	s_load_b128 s[12:15], s[0:1], 0x8
	s_load_b64 s[2:3], s[0:1], 0x38
	s_wait_kmcnt 0x0
	s_bitcmp1_b32 s17, 0
	v_mov_b64_e32 v[2:3], s[12:13]
	s_cselect_b32 s4, -1, 0
	s_delay_alu instid0(SALU_CYCLE_1)
	s_and_b32 vcc_lo, exec_lo, s4
	s_xor_b32 s4, s4, -1
	s_cbranch_vccnz .LBB297_2
; %bb.1:
	v_mov_b32_e32 v1, 0
	flat_load_b64 v[2:3], v1, s[12:13]
.LBB297_2:
	v_mov_b64_e32 v[4:5], s[2:3]
	s_and_not1_b32 vcc_lo, exec_lo, s4
	s_cbranch_vccnz .LBB297_4
; %bb.3:
	s_wait_xcnt 0x0
	v_mov_b32_e32 v1, 0
	flat_load_b64 v[4:5], v1, s[2:3]
.LBB297_4:
	s_wait_loadcnt_dscnt 0x0
	v_cmp_neq_f64_e32 vcc_lo, 0, v[2:3]
	s_delay_alu instid0(VALU_DEP_2) | instskip(SKIP_1) | instid1(SALU_CYCLE_1)
	v_cmp_neq_f64_e64 s2, 1.0, v[4:5]
	s_or_b32 s2, vcc_lo, s2
	s_and_saveexec_b32 s3, s2
	s_cbranch_execz .LBB297_16
; %bb.5:
	s_bfe_u32 s2, ttmp6, 0x4000c
	s_load_b32 s12, s[0:1], 0x4
	s_add_co_i32 s2, s2, 1
	s_and_b32 s3, ttmp6, 15
	s_mul_i32 s2, ttmp9, s2
	s_getreg_b32 s4, hwreg(HW_REG_IB_STS2, 6, 4)
	s_add_co_i32 s3, s3, s2
	s_cmp_eq_u32 s4, 0
	s_mov_b32 s13, 0
	s_cselect_b32 s2, ttmp9, s3
	s_delay_alu instid0(SALU_CYCLE_1) | instskip(NEXT) | instid1(VALU_DEP_1)
	v_lshl_or_b32 v1, s2, 8, v0
	v_lshrrev_b32_e32 v6, 1, v1
	s_wait_kmcnt 0x0
	s_delay_alu instid0(VALU_DEP_1)
	v_cmp_gt_i32_e32 vcc_lo, s12, v6
	s_and_b32 exec_lo, exec_lo, vcc_lo
	s_cbranch_execz .LBB297_16
; %bb.6:
	v_mbcnt_lo_u32_b32 v1, -1, 0
	s_clause 0x2
	s_load_b256 s[4:11], s[0:1], 0x18
	s_load_b32 s20, s[0:1], 0x50
	s_load_b64 s[2:3], s[0:1], 0x40
	s_ashr_i32 s17, s16, 31
	v_cmp_neq_f64_e32 vcc_lo, 0, v[4:5]
	v_xor_b32_e32 v7, 1, v1
	s_lshl_b64 s[18:19], s[16:17], 3
	s_wait_xcnt 0x0
	s_delay_alu instid0(VALU_DEP_1) | instskip(NEXT) | instid1(VALU_DEP_1)
	v_cmp_gt_i32_e64 s0, 32, v7
	v_dual_cndmask_b32 v1, v1, v7, s0 :: v_dual_bitop2_b32 v0, 1, v0 bitop3:0x40
	s_delay_alu instid0(VALU_DEP_1)
	v_subrev_nc_u32_e32 v10, s16, v0
	v_cmp_eq_u32_e64 s0, 1, v0
	s_wait_kmcnt 0x0
	s_sub_nc_u64 s[10:11], s[10:11], s[18:19]
	v_lshlrev_b32_e32 v11, 2, v1
	s_lshl_b32 s17, s20, 7
	s_branch .LBB297_9
.LBB297_7:                              ;   in Loop: Header=BB297_9 Depth=1
	s_wait_xcnt 0x0
	s_or_b32 exec_lo, exec_lo, s18
	global_store_b64 v[8:9], v[0:1], off
.LBB297_8:                              ;   in Loop: Header=BB297_9 Depth=1
	s_wait_xcnt 0x0
	s_or_b32 exec_lo, exec_lo, s1
	v_add_nc_u32_e32 v6, s17, v6
	s_delay_alu instid0(VALU_DEP_1) | instskip(SKIP_1) | instid1(SALU_CYCLE_1)
	v_cmp_le_i32_e64 s1, s12, v6
	s_or_b32 s13, s1, s13
	s_and_not1_b32 exec_lo, exec_lo, s13
	s_cbranch_execz .LBB297_16
.LBB297_9:                              ; =>This Loop Header: Depth=1
                                        ;     Child Loop BB297_11 Depth 2
	s_clause 0x1
	global_load_b32 v0, v6, s[4:5] scale_offset
	global_load_b32 v1, v6, s[14:15] scale_offset
	s_mov_b32 s18, exec_lo
	s_wait_loadcnt 0x1
	v_subrev_nc_u32_e32 v7, s16, v0
	s_wait_loadcnt_dscnt 0x1
	v_add_nc_u32_e32 v8, v1, v10
	v_mov_b64_e32 v[0:1], 0
	s_wait_xcnt 0x0
	s_delay_alu instid0(VALU_DEP_2)
	v_cmpx_lt_i32_e64 v8, v7
	s_cbranch_execz .LBB297_13
; %bb.10:                               ;   in Loop: Header=BB297_9 Depth=1
	v_mov_b64_e32 v[0:1], 0
	s_mov_b32 s19, 0
.LBB297_11:                             ;   Parent Loop BB297_9 Depth=1
                                        ; =>  This Inner Loop Header: Depth=2
	s_wait_dscnt 0x0
	s_clause 0x1
	global_load_b32 v9, v8, s[6:7] scale_offset
	global_load_b32 v14, v8, s[8:9] scale_offset
	s_wait_xcnt 0x0
	v_add_nc_u32_e32 v8, 2, v8
	s_delay_alu instid0(VALU_DEP_1)
	v_cmp_ge_i32_e64 s1, v8, v7
	s_or_b32 s19, s1, s19
	s_wait_loadcnt 0x1
	global_load_b64 v[12:13], v9, s[10:11] scale_offset
	s_wait_loadcnt 0x1
	v_cvt_f64_f32_e32 v[14:15], v14
	s_delay_alu instid0(VALU_DEP_1) | instskip(SKIP_1) | instid1(VALU_DEP_1)
	v_mul_f64_e32 v[14:15], v[2:3], v[14:15]
	s_wait_loadcnt 0x0
	v_fmac_f64_e32 v[0:1], v[14:15], v[12:13]
	s_wait_xcnt 0x0
	s_and_not1_b32 exec_lo, exec_lo, s19
	s_cbranch_execnz .LBB297_11
; %bb.12:                               ;   in Loop: Header=BB297_9 Depth=1
	s_or_b32 exec_lo, exec_lo, s19
.LBB297_13:                             ;   in Loop: Header=BB297_9 Depth=1
	s_delay_alu instid0(SALU_CYCLE_1)
	s_or_b32 exec_lo, exec_lo, s18
	ds_bpermute_b32 v8, v11, v0
	s_wait_dscnt 0x1
	ds_bpermute_b32 v9, v11, v1
	v_ashrrev_i32_e32 v7, 31, v6
	s_and_saveexec_b32 s1, s0
	s_cbranch_execz .LBB297_8
; %bb.14:                               ;   in Loop: Header=BB297_9 Depth=1
	s_wait_dscnt 0x0
	v_add_f64_e32 v[0:1], v[0:1], v[8:9]
	v_lshl_add_u64 v[8:9], v[6:7], 3, s[2:3]
	s_and_saveexec_b32 s18, vcc_lo
	s_cbranch_execz .LBB297_7
; %bb.15:                               ;   in Loop: Header=BB297_9 Depth=1
	global_load_b64 v[12:13], v[8:9], off
	s_wait_loadcnt 0x0
	v_fmac_f64_e32 v[0:1], v[4:5], v[12:13]
	s_branch .LBB297_7
.LBB297_16:
	s_endpgm
	.section	.rodata,"a",@progbits
	.p2align	6, 0x0
	.amdhsa_kernel _ZN9rocsparseL21csrmvn_general_kernelILj256ELj2EiifdddEEvbT2_NS_24const_host_device_scalarIT6_EEPKT1_S7_PKS1_PKT3_PKT4_S4_PT5_21rocsparse_index_base_b
		.amdhsa_group_segment_fixed_size 0
		.amdhsa_private_segment_fixed_size 0
		.amdhsa_kernarg_size 336
		.amdhsa_user_sgpr_count 2
		.amdhsa_user_sgpr_dispatch_ptr 0
		.amdhsa_user_sgpr_queue_ptr 0
		.amdhsa_user_sgpr_kernarg_segment_ptr 1
		.amdhsa_user_sgpr_dispatch_id 0
		.amdhsa_user_sgpr_kernarg_preload_length 0
		.amdhsa_user_sgpr_kernarg_preload_offset 0
		.amdhsa_user_sgpr_private_segment_size 0
		.amdhsa_wavefront_size32 1
		.amdhsa_uses_dynamic_stack 0
		.amdhsa_enable_private_segment 0
		.amdhsa_system_sgpr_workgroup_id_x 1
		.amdhsa_system_sgpr_workgroup_id_y 0
		.amdhsa_system_sgpr_workgroup_id_z 0
		.amdhsa_system_sgpr_workgroup_info 0
		.amdhsa_system_vgpr_workitem_id 0
		.amdhsa_next_free_vgpr 16
		.amdhsa_next_free_sgpr 21
		.amdhsa_named_barrier_count 0
		.amdhsa_reserve_vcc 1
		.amdhsa_float_round_mode_32 0
		.amdhsa_float_round_mode_16_64 0
		.amdhsa_float_denorm_mode_32 3
		.amdhsa_float_denorm_mode_16_64 3
		.amdhsa_fp16_overflow 0
		.amdhsa_memory_ordered 1
		.amdhsa_forward_progress 1
		.amdhsa_inst_pref_size 6
		.amdhsa_round_robin_scheduling 0
		.amdhsa_exception_fp_ieee_invalid_op 0
		.amdhsa_exception_fp_denorm_src 0
		.amdhsa_exception_fp_ieee_div_zero 0
		.amdhsa_exception_fp_ieee_overflow 0
		.amdhsa_exception_fp_ieee_underflow 0
		.amdhsa_exception_fp_ieee_inexact 0
		.amdhsa_exception_int_div_zero 0
	.end_amdhsa_kernel
	.section	.text._ZN9rocsparseL21csrmvn_general_kernelILj256ELj2EiifdddEEvbT2_NS_24const_host_device_scalarIT6_EEPKT1_S7_PKS1_PKT3_PKT4_S4_PT5_21rocsparse_index_base_b,"axG",@progbits,_ZN9rocsparseL21csrmvn_general_kernelILj256ELj2EiifdddEEvbT2_NS_24const_host_device_scalarIT6_EEPKT1_S7_PKS1_PKT3_PKT4_S4_PT5_21rocsparse_index_base_b,comdat
.Lfunc_end297:
	.size	_ZN9rocsparseL21csrmvn_general_kernelILj256ELj2EiifdddEEvbT2_NS_24const_host_device_scalarIT6_EEPKT1_S7_PKS1_PKT3_PKT4_S4_PT5_21rocsparse_index_base_b, .Lfunc_end297-_ZN9rocsparseL21csrmvn_general_kernelILj256ELj2EiifdddEEvbT2_NS_24const_host_device_scalarIT6_EEPKT1_S7_PKS1_PKT3_PKT4_S4_PT5_21rocsparse_index_base_b
                                        ; -- End function
	.set _ZN9rocsparseL21csrmvn_general_kernelILj256ELj2EiifdddEEvbT2_NS_24const_host_device_scalarIT6_EEPKT1_S7_PKS1_PKT3_PKT4_S4_PT5_21rocsparse_index_base_b.num_vgpr, 16
	.set _ZN9rocsparseL21csrmvn_general_kernelILj256ELj2EiifdddEEvbT2_NS_24const_host_device_scalarIT6_EEPKT1_S7_PKS1_PKT3_PKT4_S4_PT5_21rocsparse_index_base_b.num_agpr, 0
	.set _ZN9rocsparseL21csrmvn_general_kernelILj256ELj2EiifdddEEvbT2_NS_24const_host_device_scalarIT6_EEPKT1_S7_PKS1_PKT3_PKT4_S4_PT5_21rocsparse_index_base_b.numbered_sgpr, 21
	.set _ZN9rocsparseL21csrmvn_general_kernelILj256ELj2EiifdddEEvbT2_NS_24const_host_device_scalarIT6_EEPKT1_S7_PKS1_PKT3_PKT4_S4_PT5_21rocsparse_index_base_b.num_named_barrier, 0
	.set _ZN9rocsparseL21csrmvn_general_kernelILj256ELj2EiifdddEEvbT2_NS_24const_host_device_scalarIT6_EEPKT1_S7_PKS1_PKT3_PKT4_S4_PT5_21rocsparse_index_base_b.private_seg_size, 0
	.set _ZN9rocsparseL21csrmvn_general_kernelILj256ELj2EiifdddEEvbT2_NS_24const_host_device_scalarIT6_EEPKT1_S7_PKS1_PKT3_PKT4_S4_PT5_21rocsparse_index_base_b.uses_vcc, 1
	.set _ZN9rocsparseL21csrmvn_general_kernelILj256ELj2EiifdddEEvbT2_NS_24const_host_device_scalarIT6_EEPKT1_S7_PKS1_PKT3_PKT4_S4_PT5_21rocsparse_index_base_b.uses_flat_scratch, 0
	.set _ZN9rocsparseL21csrmvn_general_kernelILj256ELj2EiifdddEEvbT2_NS_24const_host_device_scalarIT6_EEPKT1_S7_PKS1_PKT3_PKT4_S4_PT5_21rocsparse_index_base_b.has_dyn_sized_stack, 0
	.set _ZN9rocsparseL21csrmvn_general_kernelILj256ELj2EiifdddEEvbT2_NS_24const_host_device_scalarIT6_EEPKT1_S7_PKS1_PKT3_PKT4_S4_PT5_21rocsparse_index_base_b.has_recursion, 0
	.set _ZN9rocsparseL21csrmvn_general_kernelILj256ELj2EiifdddEEvbT2_NS_24const_host_device_scalarIT6_EEPKT1_S7_PKS1_PKT3_PKT4_S4_PT5_21rocsparse_index_base_b.has_indirect_call, 0
	.section	.AMDGPU.csdata,"",@progbits
; Kernel info:
; codeLenInByte = 680
; TotalNumSgprs: 23
; NumVgprs: 16
; ScratchSize: 0
; MemoryBound: 1
; FloatMode: 240
; IeeeMode: 1
; LDSByteSize: 0 bytes/workgroup (compile time only)
; SGPRBlocks: 0
; VGPRBlocks: 0
; NumSGPRsForWavesPerEU: 23
; NumVGPRsForWavesPerEU: 16
; NamedBarCnt: 0
; Occupancy: 16
; WaveLimiterHint : 1
; COMPUTE_PGM_RSRC2:SCRATCH_EN: 0
; COMPUTE_PGM_RSRC2:USER_SGPR: 2
; COMPUTE_PGM_RSRC2:TRAP_HANDLER: 0
; COMPUTE_PGM_RSRC2:TGID_X_EN: 1
; COMPUTE_PGM_RSRC2:TGID_Y_EN: 0
; COMPUTE_PGM_RSRC2:TGID_Z_EN: 0
; COMPUTE_PGM_RSRC2:TIDIG_COMP_CNT: 0
	.section	.text._ZN9rocsparseL21csrmvn_general_kernelILj256ELj4EiifdddEEvbT2_NS_24const_host_device_scalarIT6_EEPKT1_S7_PKS1_PKT3_PKT4_S4_PT5_21rocsparse_index_base_b,"axG",@progbits,_ZN9rocsparseL21csrmvn_general_kernelILj256ELj4EiifdddEEvbT2_NS_24const_host_device_scalarIT6_EEPKT1_S7_PKS1_PKT3_PKT4_S4_PT5_21rocsparse_index_base_b,comdat
	.globl	_ZN9rocsparseL21csrmvn_general_kernelILj256ELj4EiifdddEEvbT2_NS_24const_host_device_scalarIT6_EEPKT1_S7_PKS1_PKT3_PKT4_S4_PT5_21rocsparse_index_base_b ; -- Begin function _ZN9rocsparseL21csrmvn_general_kernelILj256ELj4EiifdddEEvbT2_NS_24const_host_device_scalarIT6_EEPKT1_S7_PKS1_PKT3_PKT4_S4_PT5_21rocsparse_index_base_b
	.p2align	8
	.type	_ZN9rocsparseL21csrmvn_general_kernelILj256ELj4EiifdddEEvbT2_NS_24const_host_device_scalarIT6_EEPKT1_S7_PKS1_PKT3_PKT4_S4_PT5_21rocsparse_index_base_b,@function
_ZN9rocsparseL21csrmvn_general_kernelILj256ELj4EiifdddEEvbT2_NS_24const_host_device_scalarIT6_EEPKT1_S7_PKS1_PKT3_PKT4_S4_PT5_21rocsparse_index_base_b: ; @_ZN9rocsparseL21csrmvn_general_kernelILj256ELj4EiifdddEEvbT2_NS_24const_host_device_scalarIT6_EEPKT1_S7_PKS1_PKT3_PKT4_S4_PT5_21rocsparse_index_base_b
; %bb.0:
	s_clause 0x2
	s_load_b64 s[16:17], s[0:1], 0x48
	s_load_b128 s[12:15], s[0:1], 0x8
	s_load_b64 s[2:3], s[0:1], 0x38
	s_wait_kmcnt 0x0
	s_bitcmp1_b32 s17, 0
	v_mov_b64_e32 v[2:3], s[12:13]
	s_cselect_b32 s4, -1, 0
	s_delay_alu instid0(SALU_CYCLE_1)
	s_and_b32 vcc_lo, exec_lo, s4
	s_xor_b32 s4, s4, -1
	s_cbranch_vccnz .LBB298_2
; %bb.1:
	v_mov_b32_e32 v1, 0
	flat_load_b64 v[2:3], v1, s[12:13]
.LBB298_2:
	v_mov_b64_e32 v[4:5], s[2:3]
	s_and_not1_b32 vcc_lo, exec_lo, s4
	s_cbranch_vccnz .LBB298_4
; %bb.3:
	s_wait_xcnt 0x0
	v_mov_b32_e32 v1, 0
	flat_load_b64 v[4:5], v1, s[2:3]
.LBB298_4:
	s_wait_loadcnt_dscnt 0x0
	v_cmp_neq_f64_e32 vcc_lo, 0, v[2:3]
	s_delay_alu instid0(VALU_DEP_2) | instskip(SKIP_1) | instid1(SALU_CYCLE_1)
	v_cmp_neq_f64_e64 s2, 1.0, v[4:5]
	s_or_b32 s2, vcc_lo, s2
	s_and_saveexec_b32 s3, s2
	s_cbranch_execz .LBB298_16
; %bb.5:
	s_bfe_u32 s2, ttmp6, 0x4000c
	s_load_b32 s12, s[0:1], 0x4
	s_add_co_i32 s2, s2, 1
	s_and_b32 s3, ttmp6, 15
	s_mul_i32 s2, ttmp9, s2
	s_getreg_b32 s4, hwreg(HW_REG_IB_STS2, 6, 4)
	s_add_co_i32 s3, s3, s2
	s_cmp_eq_u32 s4, 0
	s_mov_b32 s13, 0
	s_cselect_b32 s2, ttmp9, s3
	s_delay_alu instid0(SALU_CYCLE_1) | instskip(NEXT) | instid1(VALU_DEP_1)
	v_lshl_or_b32 v1, s2, 8, v0
	v_lshrrev_b32_e32 v6, 2, v1
	s_wait_kmcnt 0x0
	s_delay_alu instid0(VALU_DEP_1)
	v_cmp_gt_i32_e32 vcc_lo, s12, v6
	s_and_b32 exec_lo, exec_lo, vcc_lo
	s_cbranch_execz .LBB298_16
; %bb.6:
	v_mbcnt_lo_u32_b32 v1, -1, 0
	s_clause 0x2
	s_load_b32 s20, s[0:1], 0x50
	s_load_b256 s[4:11], s[0:1], 0x18
	s_load_b64 s[2:3], s[0:1], 0x40
	s_ashr_i32 s17, s16, 31
	v_cmp_neq_f64_e32 vcc_lo, 0, v[4:5]
	s_lshl_b64 s[18:19], s[16:17], 3
	v_xor_b32_e32 v8, 1, v1
	v_xor_b32_e32 v7, 2, v1
	s_wait_xcnt 0x0
	s_delay_alu instid0(VALU_DEP_1) | instskip(NEXT) | instid1(VALU_DEP_1)
	v_cmp_gt_i32_e64 s0, 32, v7
	v_cndmask_b32_e64 v7, v1, v7, s0
	v_cmp_gt_i32_e64 s0, 32, v8
	v_and_b32_e32 v0, 3, v0
	s_wait_kmcnt 0x0
	s_lshl_b32 s17, s20, 6
	s_sub_nc_u64 s[10:11], s[10:11], s[18:19]
	v_dual_lshlrev_b32 v11, 2, v7 :: v_dual_cndmask_b32 v1, v1, v8, s0
	v_subrev_nc_u32_e32 v10, s16, v0
	v_cmp_eq_u32_e64 s0, 3, v0
	s_delay_alu instid0(VALU_DEP_3)
	v_lshlrev_b32_e32 v12, 2, v1
	s_branch .LBB298_9
.LBB298_7:                              ;   in Loop: Header=BB298_9 Depth=1
	s_wait_xcnt 0x0
	s_or_b32 exec_lo, exec_lo, s18
	global_store_b64 v[8:9], v[0:1], off
.LBB298_8:                              ;   in Loop: Header=BB298_9 Depth=1
	s_wait_xcnt 0x0
	s_or_b32 exec_lo, exec_lo, s1
	v_add_nc_u32_e32 v6, s17, v6
	s_delay_alu instid0(VALU_DEP_1) | instskip(SKIP_1) | instid1(SALU_CYCLE_1)
	v_cmp_le_i32_e64 s1, s12, v6
	s_or_b32 s13, s1, s13
	s_and_not1_b32 exec_lo, exec_lo, s13
	s_cbranch_execz .LBB298_16
.LBB298_9:                              ; =>This Loop Header: Depth=1
                                        ;     Child Loop BB298_11 Depth 2
	s_clause 0x1
	global_load_b32 v0, v6, s[4:5] scale_offset
	global_load_b32 v1, v6, s[14:15] scale_offset
	s_mov_b32 s18, exec_lo
	s_wait_loadcnt 0x1
	v_subrev_nc_u32_e32 v7, s16, v0
	s_wait_loadcnt_dscnt 0x1
	v_add_nc_u32_e32 v8, v1, v10
	v_mov_b64_e32 v[0:1], 0
	s_wait_xcnt 0x0
	s_delay_alu instid0(VALU_DEP_2)
	v_cmpx_lt_i32_e64 v8, v7
	s_cbranch_execz .LBB298_13
; %bb.10:                               ;   in Loop: Header=BB298_9 Depth=1
	v_mov_b64_e32 v[0:1], 0
	s_mov_b32 s19, 0
.LBB298_11:                             ;   Parent Loop BB298_9 Depth=1
                                        ; =>  This Inner Loop Header: Depth=2
	s_wait_dscnt 0x0
	s_clause 0x1
	global_load_b32 v9, v8, s[6:7] scale_offset
	global_load_b32 v13, v8, s[8:9] scale_offset
	s_wait_xcnt 0x0
	v_add_nc_u32_e32 v8, 4, v8
	s_delay_alu instid0(VALU_DEP_1)
	v_cmp_ge_i32_e64 s1, v8, v7
	s_or_b32 s19, s1, s19
	s_wait_loadcnt 0x1
	global_load_b64 v[14:15], v9, s[10:11] scale_offset
	s_wait_loadcnt 0x1
	v_cvt_f64_f32_e32 v[16:17], v13
	s_delay_alu instid0(VALU_DEP_1) | instskip(SKIP_1) | instid1(VALU_DEP_1)
	v_mul_f64_e32 v[16:17], v[2:3], v[16:17]
	s_wait_loadcnt 0x0
	v_fmac_f64_e32 v[0:1], v[16:17], v[14:15]
	s_wait_xcnt 0x0
	s_and_not1_b32 exec_lo, exec_lo, s19
	s_cbranch_execnz .LBB298_11
; %bb.12:                               ;   in Loop: Header=BB298_9 Depth=1
	s_or_b32 exec_lo, exec_lo, s19
.LBB298_13:                             ;   in Loop: Header=BB298_9 Depth=1
	s_delay_alu instid0(SALU_CYCLE_1)
	s_or_b32 exec_lo, exec_lo, s18
	ds_bpermute_b32 v8, v11, v0
	s_wait_dscnt 0x1
	ds_bpermute_b32 v9, v11, v1
	s_wait_dscnt 0x0
	v_dual_add_f64 v[0:1], v[0:1], v[8:9] :: v_dual_ashrrev_i32 v7, 31, v6
	ds_bpermute_b32 v8, v12, v0
	ds_bpermute_b32 v9, v12, v1
	s_and_saveexec_b32 s1, s0
	s_cbranch_execz .LBB298_8
; %bb.14:                               ;   in Loop: Header=BB298_9 Depth=1
	s_wait_dscnt 0x0
	v_add_f64_e32 v[0:1], v[0:1], v[8:9]
	v_lshl_add_u64 v[8:9], v[6:7], 3, s[2:3]
	s_and_saveexec_b32 s18, vcc_lo
	s_cbranch_execz .LBB298_7
; %bb.15:                               ;   in Loop: Header=BB298_9 Depth=1
	global_load_b64 v[14:15], v[8:9], off
	s_wait_loadcnt 0x0
	v_fmac_f64_e32 v[0:1], v[4:5], v[14:15]
	s_branch .LBB298_7
.LBB298_16:
	s_endpgm
	.section	.rodata,"a",@progbits
	.p2align	6, 0x0
	.amdhsa_kernel _ZN9rocsparseL21csrmvn_general_kernelILj256ELj4EiifdddEEvbT2_NS_24const_host_device_scalarIT6_EEPKT1_S7_PKS1_PKT3_PKT4_S4_PT5_21rocsparse_index_base_b
		.amdhsa_group_segment_fixed_size 0
		.amdhsa_private_segment_fixed_size 0
		.amdhsa_kernarg_size 336
		.amdhsa_user_sgpr_count 2
		.amdhsa_user_sgpr_dispatch_ptr 0
		.amdhsa_user_sgpr_queue_ptr 0
		.amdhsa_user_sgpr_kernarg_segment_ptr 1
		.amdhsa_user_sgpr_dispatch_id 0
		.amdhsa_user_sgpr_kernarg_preload_length 0
		.amdhsa_user_sgpr_kernarg_preload_offset 0
		.amdhsa_user_sgpr_private_segment_size 0
		.amdhsa_wavefront_size32 1
		.amdhsa_uses_dynamic_stack 0
		.amdhsa_enable_private_segment 0
		.amdhsa_system_sgpr_workgroup_id_x 1
		.amdhsa_system_sgpr_workgroup_id_y 0
		.amdhsa_system_sgpr_workgroup_id_z 0
		.amdhsa_system_sgpr_workgroup_info 0
		.amdhsa_system_vgpr_workitem_id 0
		.amdhsa_next_free_vgpr 18
		.amdhsa_next_free_sgpr 21
		.amdhsa_named_barrier_count 0
		.amdhsa_reserve_vcc 1
		.amdhsa_float_round_mode_32 0
		.amdhsa_float_round_mode_16_64 0
		.amdhsa_float_denorm_mode_32 3
		.amdhsa_float_denorm_mode_16_64 3
		.amdhsa_fp16_overflow 0
		.amdhsa_memory_ordered 1
		.amdhsa_forward_progress 1
		.amdhsa_inst_pref_size 6
		.amdhsa_round_robin_scheduling 0
		.amdhsa_exception_fp_ieee_invalid_op 0
		.amdhsa_exception_fp_denorm_src 0
		.amdhsa_exception_fp_ieee_div_zero 0
		.amdhsa_exception_fp_ieee_overflow 0
		.amdhsa_exception_fp_ieee_underflow 0
		.amdhsa_exception_fp_ieee_inexact 0
		.amdhsa_exception_int_div_zero 0
	.end_amdhsa_kernel
	.section	.text._ZN9rocsparseL21csrmvn_general_kernelILj256ELj4EiifdddEEvbT2_NS_24const_host_device_scalarIT6_EEPKT1_S7_PKS1_PKT3_PKT4_S4_PT5_21rocsparse_index_base_b,"axG",@progbits,_ZN9rocsparseL21csrmvn_general_kernelILj256ELj4EiifdddEEvbT2_NS_24const_host_device_scalarIT6_EEPKT1_S7_PKS1_PKT3_PKT4_S4_PT5_21rocsparse_index_base_b,comdat
.Lfunc_end298:
	.size	_ZN9rocsparseL21csrmvn_general_kernelILj256ELj4EiifdddEEvbT2_NS_24const_host_device_scalarIT6_EEPKT1_S7_PKS1_PKT3_PKT4_S4_PT5_21rocsparse_index_base_b, .Lfunc_end298-_ZN9rocsparseL21csrmvn_general_kernelILj256ELj4EiifdddEEvbT2_NS_24const_host_device_scalarIT6_EEPKT1_S7_PKS1_PKT3_PKT4_S4_PT5_21rocsparse_index_base_b
                                        ; -- End function
	.set _ZN9rocsparseL21csrmvn_general_kernelILj256ELj4EiifdddEEvbT2_NS_24const_host_device_scalarIT6_EEPKT1_S7_PKS1_PKT3_PKT4_S4_PT5_21rocsparse_index_base_b.num_vgpr, 18
	.set _ZN9rocsparseL21csrmvn_general_kernelILj256ELj4EiifdddEEvbT2_NS_24const_host_device_scalarIT6_EEPKT1_S7_PKS1_PKT3_PKT4_S4_PT5_21rocsparse_index_base_b.num_agpr, 0
	.set _ZN9rocsparseL21csrmvn_general_kernelILj256ELj4EiifdddEEvbT2_NS_24const_host_device_scalarIT6_EEPKT1_S7_PKS1_PKT3_PKT4_S4_PT5_21rocsparse_index_base_b.numbered_sgpr, 21
	.set _ZN9rocsparseL21csrmvn_general_kernelILj256ELj4EiifdddEEvbT2_NS_24const_host_device_scalarIT6_EEPKT1_S7_PKS1_PKT3_PKT4_S4_PT5_21rocsparse_index_base_b.num_named_barrier, 0
	.set _ZN9rocsparseL21csrmvn_general_kernelILj256ELj4EiifdddEEvbT2_NS_24const_host_device_scalarIT6_EEPKT1_S7_PKS1_PKT3_PKT4_S4_PT5_21rocsparse_index_base_b.private_seg_size, 0
	.set _ZN9rocsparseL21csrmvn_general_kernelILj256ELj4EiifdddEEvbT2_NS_24const_host_device_scalarIT6_EEPKT1_S7_PKS1_PKT3_PKT4_S4_PT5_21rocsparse_index_base_b.uses_vcc, 1
	.set _ZN9rocsparseL21csrmvn_general_kernelILj256ELj4EiifdddEEvbT2_NS_24const_host_device_scalarIT6_EEPKT1_S7_PKS1_PKT3_PKT4_S4_PT5_21rocsparse_index_base_b.uses_flat_scratch, 0
	.set _ZN9rocsparseL21csrmvn_general_kernelILj256ELj4EiifdddEEvbT2_NS_24const_host_device_scalarIT6_EEPKT1_S7_PKS1_PKT3_PKT4_S4_PT5_21rocsparse_index_base_b.has_dyn_sized_stack, 0
	.set _ZN9rocsparseL21csrmvn_general_kernelILj256ELj4EiifdddEEvbT2_NS_24const_host_device_scalarIT6_EEPKT1_S7_PKS1_PKT3_PKT4_S4_PT5_21rocsparse_index_base_b.has_recursion, 0
	.set _ZN9rocsparseL21csrmvn_general_kernelILj256ELj4EiifdddEEvbT2_NS_24const_host_device_scalarIT6_EEPKT1_S7_PKS1_PKT3_PKT4_S4_PT5_21rocsparse_index_base_b.has_indirect_call, 0
	.section	.AMDGPU.csdata,"",@progbits
; Kernel info:
; codeLenInByte = 732
; TotalNumSgprs: 23
; NumVgprs: 18
; ScratchSize: 0
; MemoryBound: 1
; FloatMode: 240
; IeeeMode: 1
; LDSByteSize: 0 bytes/workgroup (compile time only)
; SGPRBlocks: 0
; VGPRBlocks: 1
; NumSGPRsForWavesPerEU: 23
; NumVGPRsForWavesPerEU: 18
; NamedBarCnt: 0
; Occupancy: 16
; WaveLimiterHint : 1
; COMPUTE_PGM_RSRC2:SCRATCH_EN: 0
; COMPUTE_PGM_RSRC2:USER_SGPR: 2
; COMPUTE_PGM_RSRC2:TRAP_HANDLER: 0
; COMPUTE_PGM_RSRC2:TGID_X_EN: 1
; COMPUTE_PGM_RSRC2:TGID_Y_EN: 0
; COMPUTE_PGM_RSRC2:TGID_Z_EN: 0
; COMPUTE_PGM_RSRC2:TIDIG_COMP_CNT: 0
	.section	.text._ZN9rocsparseL21csrmvn_general_kernelILj256ELj8EiifdddEEvbT2_NS_24const_host_device_scalarIT6_EEPKT1_S7_PKS1_PKT3_PKT4_S4_PT5_21rocsparse_index_base_b,"axG",@progbits,_ZN9rocsparseL21csrmvn_general_kernelILj256ELj8EiifdddEEvbT2_NS_24const_host_device_scalarIT6_EEPKT1_S7_PKS1_PKT3_PKT4_S4_PT5_21rocsparse_index_base_b,comdat
	.globl	_ZN9rocsparseL21csrmvn_general_kernelILj256ELj8EiifdddEEvbT2_NS_24const_host_device_scalarIT6_EEPKT1_S7_PKS1_PKT3_PKT4_S4_PT5_21rocsparse_index_base_b ; -- Begin function _ZN9rocsparseL21csrmvn_general_kernelILj256ELj8EiifdddEEvbT2_NS_24const_host_device_scalarIT6_EEPKT1_S7_PKS1_PKT3_PKT4_S4_PT5_21rocsparse_index_base_b
	.p2align	8
	.type	_ZN9rocsparseL21csrmvn_general_kernelILj256ELj8EiifdddEEvbT2_NS_24const_host_device_scalarIT6_EEPKT1_S7_PKS1_PKT3_PKT4_S4_PT5_21rocsparse_index_base_b,@function
_ZN9rocsparseL21csrmvn_general_kernelILj256ELj8EiifdddEEvbT2_NS_24const_host_device_scalarIT6_EEPKT1_S7_PKS1_PKT3_PKT4_S4_PT5_21rocsparse_index_base_b: ; @_ZN9rocsparseL21csrmvn_general_kernelILj256ELj8EiifdddEEvbT2_NS_24const_host_device_scalarIT6_EEPKT1_S7_PKS1_PKT3_PKT4_S4_PT5_21rocsparse_index_base_b
; %bb.0:
	s_clause 0x2
	s_load_b64 s[16:17], s[0:1], 0x48
	s_load_b128 s[12:15], s[0:1], 0x8
	s_load_b64 s[2:3], s[0:1], 0x38
	s_wait_kmcnt 0x0
	s_bitcmp1_b32 s17, 0
	v_mov_b64_e32 v[2:3], s[12:13]
	s_cselect_b32 s4, -1, 0
	s_delay_alu instid0(SALU_CYCLE_1)
	s_and_b32 vcc_lo, exec_lo, s4
	s_xor_b32 s4, s4, -1
	s_cbranch_vccnz .LBB299_2
; %bb.1:
	v_mov_b32_e32 v1, 0
	flat_load_b64 v[2:3], v1, s[12:13]
.LBB299_2:
	v_mov_b64_e32 v[4:5], s[2:3]
	s_and_not1_b32 vcc_lo, exec_lo, s4
	s_cbranch_vccnz .LBB299_4
; %bb.3:
	s_wait_xcnt 0x0
	v_mov_b32_e32 v1, 0
	flat_load_b64 v[4:5], v1, s[2:3]
.LBB299_4:
	s_wait_loadcnt_dscnt 0x0
	v_cmp_neq_f64_e32 vcc_lo, 0, v[2:3]
	s_delay_alu instid0(VALU_DEP_2) | instskip(SKIP_1) | instid1(SALU_CYCLE_1)
	v_cmp_neq_f64_e64 s2, 1.0, v[4:5]
	s_or_b32 s2, vcc_lo, s2
	s_and_saveexec_b32 s3, s2
	s_cbranch_execz .LBB299_16
; %bb.5:
	s_bfe_u32 s2, ttmp6, 0x4000c
	s_load_b32 s12, s[0:1], 0x4
	s_add_co_i32 s2, s2, 1
	s_and_b32 s3, ttmp6, 15
	s_mul_i32 s2, ttmp9, s2
	s_getreg_b32 s4, hwreg(HW_REG_IB_STS2, 6, 4)
	s_add_co_i32 s3, s3, s2
	s_cmp_eq_u32 s4, 0
	s_mov_b32 s13, 0
	s_cselect_b32 s2, ttmp9, s3
	s_delay_alu instid0(SALU_CYCLE_1) | instskip(NEXT) | instid1(VALU_DEP_1)
	v_lshl_or_b32 v1, s2, 8, v0
	v_lshrrev_b32_e32 v6, 3, v1
	s_wait_kmcnt 0x0
	s_delay_alu instid0(VALU_DEP_1)
	v_cmp_gt_i32_e32 vcc_lo, s12, v6
	s_and_b32 exec_lo, exec_lo, vcc_lo
	s_cbranch_execz .LBB299_16
; %bb.6:
	v_mbcnt_lo_u32_b32 v1, -1, 0
	s_clause 0x2
	s_load_b32 s20, s[0:1], 0x50
	s_load_b256 s[4:11], s[0:1], 0x18
	s_load_b64 s[2:3], s[0:1], 0x40
	s_ashr_i32 s17, s16, 31
	v_cmp_neq_f64_e32 vcc_lo, 0, v[4:5]
	v_xor_b32_e32 v8, 2, v1
	v_xor_b32_e32 v7, 4, v1
	s_lshl_b64 s[18:19], s[16:17], 3
	s_wait_xcnt 0x0
	s_delay_alu instid0(VALU_DEP_1) | instskip(NEXT) | instid1(VALU_DEP_1)
	v_cmp_gt_i32_e64 s0, 32, v7
	v_dual_cndmask_b32 v7, v1, v7, s0 :: v_dual_bitop2_b32 v9, 1, v1 bitop3:0x14
	v_cmp_gt_i32_e64 s0, 32, v8
	s_wait_kmcnt 0x0
	s_lshl_b32 s17, s20, 5
	v_lshlrev_b32_e32 v11, 2, v7
	s_sub_nc_u64 s[10:11], s[10:11], s[18:19]
	v_cndmask_b32_e64 v8, v1, v8, s0
	v_cmp_gt_i32_e64 s0, 32, v9
	s_delay_alu instid0(VALU_DEP_1) | instskip(NEXT) | instid1(VALU_DEP_1)
	v_dual_cndmask_b32 v1, v1, v9, s0 :: v_dual_bitop2_b32 v0, 7, v0 bitop3:0x40
	v_subrev_nc_u32_e32 v10, s16, v0
	s_delay_alu instid0(VALU_DEP_4) | instskip(SKIP_1) | instid1(VALU_DEP_4)
	v_lshlrev_b32_e32 v12, 2, v8
	v_cmp_eq_u32_e64 s0, 7, v0
	v_lshlrev_b32_e32 v13, 2, v1
	s_branch .LBB299_9
.LBB299_7:                              ;   in Loop: Header=BB299_9 Depth=1
	s_wait_xcnt 0x0
	s_or_b32 exec_lo, exec_lo, s18
	global_store_b64 v[8:9], v[0:1], off
.LBB299_8:                              ;   in Loop: Header=BB299_9 Depth=1
	s_wait_xcnt 0x0
	s_or_b32 exec_lo, exec_lo, s1
	v_add_nc_u32_e32 v6, s17, v6
	s_delay_alu instid0(VALU_DEP_1) | instskip(SKIP_1) | instid1(SALU_CYCLE_1)
	v_cmp_le_i32_e64 s1, s12, v6
	s_or_b32 s13, s1, s13
	s_and_not1_b32 exec_lo, exec_lo, s13
	s_cbranch_execz .LBB299_16
.LBB299_9:                              ; =>This Loop Header: Depth=1
                                        ;     Child Loop BB299_11 Depth 2
	s_clause 0x1
	global_load_b32 v0, v6, s[4:5] scale_offset
	global_load_b32 v1, v6, s[14:15] scale_offset
	s_mov_b32 s18, exec_lo
	s_wait_loadcnt 0x1
	v_subrev_nc_u32_e32 v7, s16, v0
	s_wait_loadcnt_dscnt 0x1
	v_add_nc_u32_e32 v8, v1, v10
	v_mov_b64_e32 v[0:1], 0
	s_wait_xcnt 0x0
	s_delay_alu instid0(VALU_DEP_2)
	v_cmpx_lt_i32_e64 v8, v7
	s_cbranch_execz .LBB299_13
; %bb.10:                               ;   in Loop: Header=BB299_9 Depth=1
	v_mov_b64_e32 v[0:1], 0
	s_mov_b32 s19, 0
.LBB299_11:                             ;   Parent Loop BB299_9 Depth=1
                                        ; =>  This Inner Loop Header: Depth=2
	s_wait_dscnt 0x0
	s_clause 0x1
	global_load_b32 v9, v8, s[6:7] scale_offset
	global_load_b32 v16, v8, s[8:9] scale_offset
	s_wait_xcnt 0x0
	v_add_nc_u32_e32 v8, 8, v8
	s_delay_alu instid0(VALU_DEP_1)
	v_cmp_ge_i32_e64 s1, v8, v7
	s_or_b32 s19, s1, s19
	s_wait_loadcnt 0x1
	global_load_b64 v[14:15], v9, s[10:11] scale_offset
	s_wait_loadcnt 0x1
	v_cvt_f64_f32_e32 v[16:17], v16
	s_delay_alu instid0(VALU_DEP_1) | instskip(SKIP_1) | instid1(VALU_DEP_1)
	v_mul_f64_e32 v[16:17], v[2:3], v[16:17]
	s_wait_loadcnt 0x0
	v_fmac_f64_e32 v[0:1], v[16:17], v[14:15]
	s_wait_xcnt 0x0
	s_and_not1_b32 exec_lo, exec_lo, s19
	s_cbranch_execnz .LBB299_11
; %bb.12:                               ;   in Loop: Header=BB299_9 Depth=1
	s_or_b32 exec_lo, exec_lo, s19
.LBB299_13:                             ;   in Loop: Header=BB299_9 Depth=1
	s_delay_alu instid0(SALU_CYCLE_1)
	s_or_b32 exec_lo, exec_lo, s18
	ds_bpermute_b32 v8, v11, v0
	s_wait_dscnt 0x1
	ds_bpermute_b32 v9, v11, v1
	s_wait_dscnt 0x0
	v_dual_add_f64 v[0:1], v[0:1], v[8:9] :: v_dual_ashrrev_i32 v7, 31, v6
	ds_bpermute_b32 v8, v12, v0
	ds_bpermute_b32 v9, v12, v1
	s_wait_dscnt 0x0
	v_add_f64_e32 v[0:1], v[0:1], v[8:9]
	ds_bpermute_b32 v8, v13, v0
	ds_bpermute_b32 v9, v13, v1
	s_and_saveexec_b32 s1, s0
	s_cbranch_execz .LBB299_8
; %bb.14:                               ;   in Loop: Header=BB299_9 Depth=1
	s_wait_dscnt 0x0
	v_add_f64_e32 v[0:1], v[0:1], v[8:9]
	v_lshl_add_u64 v[8:9], v[6:7], 3, s[2:3]
	s_and_saveexec_b32 s18, vcc_lo
	s_cbranch_execz .LBB299_7
; %bb.15:                               ;   in Loop: Header=BB299_9 Depth=1
	global_load_b64 v[14:15], v[8:9], off
	s_wait_loadcnt 0x0
	v_fmac_f64_e32 v[0:1], v[4:5], v[14:15]
	s_branch .LBB299_7
.LBB299_16:
	s_endpgm
	.section	.rodata,"a",@progbits
	.p2align	6, 0x0
	.amdhsa_kernel _ZN9rocsparseL21csrmvn_general_kernelILj256ELj8EiifdddEEvbT2_NS_24const_host_device_scalarIT6_EEPKT1_S7_PKS1_PKT3_PKT4_S4_PT5_21rocsparse_index_base_b
		.amdhsa_group_segment_fixed_size 0
		.amdhsa_private_segment_fixed_size 0
		.amdhsa_kernarg_size 336
		.amdhsa_user_sgpr_count 2
		.amdhsa_user_sgpr_dispatch_ptr 0
		.amdhsa_user_sgpr_queue_ptr 0
		.amdhsa_user_sgpr_kernarg_segment_ptr 1
		.amdhsa_user_sgpr_dispatch_id 0
		.amdhsa_user_sgpr_kernarg_preload_length 0
		.amdhsa_user_sgpr_kernarg_preload_offset 0
		.amdhsa_user_sgpr_private_segment_size 0
		.amdhsa_wavefront_size32 1
		.amdhsa_uses_dynamic_stack 0
		.amdhsa_enable_private_segment 0
		.amdhsa_system_sgpr_workgroup_id_x 1
		.amdhsa_system_sgpr_workgroup_id_y 0
		.amdhsa_system_sgpr_workgroup_id_z 0
		.amdhsa_system_sgpr_workgroup_info 0
		.amdhsa_system_vgpr_workitem_id 0
		.amdhsa_next_free_vgpr 18
		.amdhsa_next_free_sgpr 21
		.amdhsa_named_barrier_count 0
		.amdhsa_reserve_vcc 1
		.amdhsa_float_round_mode_32 0
		.amdhsa_float_round_mode_16_64 0
		.amdhsa_float_denorm_mode_32 3
		.amdhsa_float_denorm_mode_16_64 3
		.amdhsa_fp16_overflow 0
		.amdhsa_memory_ordered 1
		.amdhsa_forward_progress 1
		.amdhsa_inst_pref_size 7
		.amdhsa_round_robin_scheduling 0
		.amdhsa_exception_fp_ieee_invalid_op 0
		.amdhsa_exception_fp_denorm_src 0
		.amdhsa_exception_fp_ieee_div_zero 0
		.amdhsa_exception_fp_ieee_overflow 0
		.amdhsa_exception_fp_ieee_underflow 0
		.amdhsa_exception_fp_ieee_inexact 0
		.amdhsa_exception_int_div_zero 0
	.end_amdhsa_kernel
	.section	.text._ZN9rocsparseL21csrmvn_general_kernelILj256ELj8EiifdddEEvbT2_NS_24const_host_device_scalarIT6_EEPKT1_S7_PKS1_PKT3_PKT4_S4_PT5_21rocsparse_index_base_b,"axG",@progbits,_ZN9rocsparseL21csrmvn_general_kernelILj256ELj8EiifdddEEvbT2_NS_24const_host_device_scalarIT6_EEPKT1_S7_PKS1_PKT3_PKT4_S4_PT5_21rocsparse_index_base_b,comdat
.Lfunc_end299:
	.size	_ZN9rocsparseL21csrmvn_general_kernelILj256ELj8EiifdddEEvbT2_NS_24const_host_device_scalarIT6_EEPKT1_S7_PKS1_PKT3_PKT4_S4_PT5_21rocsparse_index_base_b, .Lfunc_end299-_ZN9rocsparseL21csrmvn_general_kernelILj256ELj8EiifdddEEvbT2_NS_24const_host_device_scalarIT6_EEPKT1_S7_PKS1_PKT3_PKT4_S4_PT5_21rocsparse_index_base_b
                                        ; -- End function
	.set _ZN9rocsparseL21csrmvn_general_kernelILj256ELj8EiifdddEEvbT2_NS_24const_host_device_scalarIT6_EEPKT1_S7_PKS1_PKT3_PKT4_S4_PT5_21rocsparse_index_base_b.num_vgpr, 18
	.set _ZN9rocsparseL21csrmvn_general_kernelILj256ELj8EiifdddEEvbT2_NS_24const_host_device_scalarIT6_EEPKT1_S7_PKS1_PKT3_PKT4_S4_PT5_21rocsparse_index_base_b.num_agpr, 0
	.set _ZN9rocsparseL21csrmvn_general_kernelILj256ELj8EiifdddEEvbT2_NS_24const_host_device_scalarIT6_EEPKT1_S7_PKS1_PKT3_PKT4_S4_PT5_21rocsparse_index_base_b.numbered_sgpr, 21
	.set _ZN9rocsparseL21csrmvn_general_kernelILj256ELj8EiifdddEEvbT2_NS_24const_host_device_scalarIT6_EEPKT1_S7_PKS1_PKT3_PKT4_S4_PT5_21rocsparse_index_base_b.num_named_barrier, 0
	.set _ZN9rocsparseL21csrmvn_general_kernelILj256ELj8EiifdddEEvbT2_NS_24const_host_device_scalarIT6_EEPKT1_S7_PKS1_PKT3_PKT4_S4_PT5_21rocsparse_index_base_b.private_seg_size, 0
	.set _ZN9rocsparseL21csrmvn_general_kernelILj256ELj8EiifdddEEvbT2_NS_24const_host_device_scalarIT6_EEPKT1_S7_PKS1_PKT3_PKT4_S4_PT5_21rocsparse_index_base_b.uses_vcc, 1
	.set _ZN9rocsparseL21csrmvn_general_kernelILj256ELj8EiifdddEEvbT2_NS_24const_host_device_scalarIT6_EEPKT1_S7_PKS1_PKT3_PKT4_S4_PT5_21rocsparse_index_base_b.uses_flat_scratch, 0
	.set _ZN9rocsparseL21csrmvn_general_kernelILj256ELj8EiifdddEEvbT2_NS_24const_host_device_scalarIT6_EEPKT1_S7_PKS1_PKT3_PKT4_S4_PT5_21rocsparse_index_base_b.has_dyn_sized_stack, 0
	.set _ZN9rocsparseL21csrmvn_general_kernelILj256ELj8EiifdddEEvbT2_NS_24const_host_device_scalarIT6_EEPKT1_S7_PKS1_PKT3_PKT4_S4_PT5_21rocsparse_index_base_b.has_recursion, 0
	.set _ZN9rocsparseL21csrmvn_general_kernelILj256ELj8EiifdddEEvbT2_NS_24const_host_device_scalarIT6_EEPKT1_S7_PKS1_PKT3_PKT4_S4_PT5_21rocsparse_index_base_b.has_indirect_call, 0
	.section	.AMDGPU.csdata,"",@progbits
; Kernel info:
; codeLenInByte = 784
; TotalNumSgprs: 23
; NumVgprs: 18
; ScratchSize: 0
; MemoryBound: 1
; FloatMode: 240
; IeeeMode: 1
; LDSByteSize: 0 bytes/workgroup (compile time only)
; SGPRBlocks: 0
; VGPRBlocks: 1
; NumSGPRsForWavesPerEU: 23
; NumVGPRsForWavesPerEU: 18
; NamedBarCnt: 0
; Occupancy: 16
; WaveLimiterHint : 1
; COMPUTE_PGM_RSRC2:SCRATCH_EN: 0
; COMPUTE_PGM_RSRC2:USER_SGPR: 2
; COMPUTE_PGM_RSRC2:TRAP_HANDLER: 0
; COMPUTE_PGM_RSRC2:TGID_X_EN: 1
; COMPUTE_PGM_RSRC2:TGID_Y_EN: 0
; COMPUTE_PGM_RSRC2:TGID_Z_EN: 0
; COMPUTE_PGM_RSRC2:TIDIG_COMP_CNT: 0
	.section	.text._ZN9rocsparseL21csrmvn_general_kernelILj256ELj16EiifdddEEvbT2_NS_24const_host_device_scalarIT6_EEPKT1_S7_PKS1_PKT3_PKT4_S4_PT5_21rocsparse_index_base_b,"axG",@progbits,_ZN9rocsparseL21csrmvn_general_kernelILj256ELj16EiifdddEEvbT2_NS_24const_host_device_scalarIT6_EEPKT1_S7_PKS1_PKT3_PKT4_S4_PT5_21rocsparse_index_base_b,comdat
	.globl	_ZN9rocsparseL21csrmvn_general_kernelILj256ELj16EiifdddEEvbT2_NS_24const_host_device_scalarIT6_EEPKT1_S7_PKS1_PKT3_PKT4_S4_PT5_21rocsparse_index_base_b ; -- Begin function _ZN9rocsparseL21csrmvn_general_kernelILj256ELj16EiifdddEEvbT2_NS_24const_host_device_scalarIT6_EEPKT1_S7_PKS1_PKT3_PKT4_S4_PT5_21rocsparse_index_base_b
	.p2align	8
	.type	_ZN9rocsparseL21csrmvn_general_kernelILj256ELj16EiifdddEEvbT2_NS_24const_host_device_scalarIT6_EEPKT1_S7_PKS1_PKT3_PKT4_S4_PT5_21rocsparse_index_base_b,@function
_ZN9rocsparseL21csrmvn_general_kernelILj256ELj16EiifdddEEvbT2_NS_24const_host_device_scalarIT6_EEPKT1_S7_PKS1_PKT3_PKT4_S4_PT5_21rocsparse_index_base_b: ; @_ZN9rocsparseL21csrmvn_general_kernelILj256ELj16EiifdddEEvbT2_NS_24const_host_device_scalarIT6_EEPKT1_S7_PKS1_PKT3_PKT4_S4_PT5_21rocsparse_index_base_b
; %bb.0:
	s_clause 0x2
	s_load_b64 s[16:17], s[0:1], 0x48
	s_load_b128 s[12:15], s[0:1], 0x8
	s_load_b64 s[2:3], s[0:1], 0x38
	s_wait_kmcnt 0x0
	s_bitcmp1_b32 s17, 0
	v_mov_b64_e32 v[2:3], s[12:13]
	s_cselect_b32 s4, -1, 0
	s_delay_alu instid0(SALU_CYCLE_1)
	s_and_b32 vcc_lo, exec_lo, s4
	s_xor_b32 s4, s4, -1
	s_cbranch_vccnz .LBB300_2
; %bb.1:
	v_mov_b32_e32 v1, 0
	flat_load_b64 v[2:3], v1, s[12:13]
.LBB300_2:
	v_mov_b64_e32 v[4:5], s[2:3]
	s_and_not1_b32 vcc_lo, exec_lo, s4
	s_cbranch_vccnz .LBB300_4
; %bb.3:
	s_wait_xcnt 0x0
	v_mov_b32_e32 v1, 0
	flat_load_b64 v[4:5], v1, s[2:3]
.LBB300_4:
	s_wait_loadcnt_dscnt 0x0
	v_cmp_neq_f64_e32 vcc_lo, 0, v[2:3]
	s_delay_alu instid0(VALU_DEP_2) | instskip(SKIP_1) | instid1(SALU_CYCLE_1)
	v_cmp_neq_f64_e64 s2, 1.0, v[4:5]
	s_or_b32 s2, vcc_lo, s2
	s_and_saveexec_b32 s3, s2
	s_cbranch_execz .LBB300_16
; %bb.5:
	s_bfe_u32 s2, ttmp6, 0x4000c
	s_load_b32 s12, s[0:1], 0x4
	s_add_co_i32 s2, s2, 1
	s_and_b32 s3, ttmp6, 15
	s_mul_i32 s2, ttmp9, s2
	s_getreg_b32 s4, hwreg(HW_REG_IB_STS2, 6, 4)
	s_add_co_i32 s3, s3, s2
	s_cmp_eq_u32 s4, 0
	s_mov_b32 s13, 0
	s_cselect_b32 s2, ttmp9, s3
	s_delay_alu instid0(SALU_CYCLE_1) | instskip(NEXT) | instid1(VALU_DEP_1)
	v_lshl_or_b32 v1, s2, 8, v0
	v_lshrrev_b32_e32 v6, 4, v1
	s_wait_kmcnt 0x0
	s_delay_alu instid0(VALU_DEP_1)
	v_cmp_gt_i32_e32 vcc_lo, s12, v6
	s_and_b32 exec_lo, exec_lo, vcc_lo
	s_cbranch_execz .LBB300_16
; %bb.6:
	v_mbcnt_lo_u32_b32 v1, -1, 0
	s_clause 0x2
	s_load_b256 s[4:11], s[0:1], 0x18
	s_load_b64 s[2:3], s[0:1], 0x40
	s_load_b32 s20, s[0:1], 0x50
	s_ashr_i32 s17, s16, 31
	v_cmp_neq_f64_e32 vcc_lo, 0, v[4:5]
	v_xor_b32_e32 v11, 1, v1
	v_xor_b32_e32 v8, 4, v1
	v_xor_b32_e32 v7, 8, v1
	s_lshl_b64 s[18:19], s[16:17], 3
	s_wait_xcnt 0x0
	s_delay_alu instid0(VALU_DEP_1) | instskip(NEXT) | instid1(VALU_DEP_1)
	v_cmp_gt_i32_e64 s0, 32, v7
	v_dual_cndmask_b32 v7, v1, v7, s0 :: v_dual_bitop2_b32 v0, 15, v0 bitop3:0x40
	v_xor_b32_e32 v9, 2, v1
	v_cmp_gt_i32_e64 s0, 32, v8
	s_delay_alu instid0(VALU_DEP_3)
	v_subrev_nc_u32_e32 v10, s16, v0
	s_wait_kmcnt 0x0
	s_sub_nc_u64 s[10:11], s[10:11], s[18:19]
	s_lshl_b32 s17, s20, 4
	v_cndmask_b32_e64 v8, v1, v8, s0
	v_cmp_gt_i32_e64 s0, 32, v9
	s_delay_alu instid0(VALU_DEP_1) | instskip(SKIP_1) | instid1(VALU_DEP_1)
	v_dual_lshlrev_b32 v12, 2, v8 :: v_dual_cndmask_b32 v9, v1, v9, s0
	v_cmp_gt_i32_e64 s0, 32, v11
	v_dual_lshlrev_b32 v13, 2, v9 :: v_dual_cndmask_b32 v1, v1, v11, s0
	v_lshlrev_b32_e32 v11, 2, v7
	v_cmp_eq_u32_e64 s0, 15, v0
	s_delay_alu instid0(VALU_DEP_3)
	v_lshlrev_b32_e32 v14, 2, v1
	s_branch .LBB300_9
.LBB300_7:                              ;   in Loop: Header=BB300_9 Depth=1
	s_wait_xcnt 0x0
	s_or_b32 exec_lo, exec_lo, s18
	global_store_b64 v[8:9], v[0:1], off
.LBB300_8:                              ;   in Loop: Header=BB300_9 Depth=1
	s_wait_xcnt 0x0
	s_or_b32 exec_lo, exec_lo, s1
	v_add_nc_u32_e32 v6, s17, v6
	s_delay_alu instid0(VALU_DEP_1) | instskip(SKIP_1) | instid1(SALU_CYCLE_1)
	v_cmp_le_i32_e64 s1, s12, v6
	s_or_b32 s13, s1, s13
	s_and_not1_b32 exec_lo, exec_lo, s13
	s_cbranch_execz .LBB300_16
.LBB300_9:                              ; =>This Loop Header: Depth=1
                                        ;     Child Loop BB300_11 Depth 2
	s_clause 0x1
	global_load_b32 v0, v6, s[4:5] scale_offset
	global_load_b32 v1, v6, s[14:15] scale_offset
	s_mov_b32 s18, exec_lo
	s_wait_loadcnt 0x1
	v_subrev_nc_u32_e32 v7, s16, v0
	s_wait_loadcnt_dscnt 0x1
	v_add_nc_u32_e32 v8, v1, v10
	v_mov_b64_e32 v[0:1], 0
	s_wait_xcnt 0x0
	s_delay_alu instid0(VALU_DEP_2)
	v_cmpx_lt_i32_e64 v8, v7
	s_cbranch_execz .LBB300_13
; %bb.10:                               ;   in Loop: Header=BB300_9 Depth=1
	v_mov_b64_e32 v[0:1], 0
	s_mov_b32 s19, 0
.LBB300_11:                             ;   Parent Loop BB300_9 Depth=1
                                        ; =>  This Inner Loop Header: Depth=2
	s_wait_dscnt 0x0
	s_clause 0x1
	global_load_b32 v9, v8, s[6:7] scale_offset
	global_load_b32 v15, v8, s[8:9] scale_offset
	s_wait_xcnt 0x0
	v_add_nc_u32_e32 v8, 16, v8
	s_delay_alu instid0(VALU_DEP_1)
	v_cmp_ge_i32_e64 s1, v8, v7
	s_or_b32 s19, s1, s19
	s_wait_loadcnt 0x1
	global_load_b64 v[16:17], v9, s[10:11] scale_offset
	s_wait_loadcnt 0x1
	v_cvt_f64_f32_e32 v[18:19], v15
	s_delay_alu instid0(VALU_DEP_1) | instskip(SKIP_1) | instid1(VALU_DEP_1)
	v_mul_f64_e32 v[18:19], v[2:3], v[18:19]
	s_wait_loadcnt 0x0
	v_fmac_f64_e32 v[0:1], v[18:19], v[16:17]
	s_wait_xcnt 0x0
	s_and_not1_b32 exec_lo, exec_lo, s19
	s_cbranch_execnz .LBB300_11
; %bb.12:                               ;   in Loop: Header=BB300_9 Depth=1
	s_or_b32 exec_lo, exec_lo, s19
.LBB300_13:                             ;   in Loop: Header=BB300_9 Depth=1
	s_delay_alu instid0(SALU_CYCLE_1)
	s_or_b32 exec_lo, exec_lo, s18
	ds_bpermute_b32 v8, v11, v0
	s_wait_dscnt 0x1
	ds_bpermute_b32 v9, v11, v1
	s_wait_dscnt 0x0
	v_dual_add_f64 v[0:1], v[0:1], v[8:9] :: v_dual_ashrrev_i32 v7, 31, v6
	ds_bpermute_b32 v8, v12, v0
	ds_bpermute_b32 v9, v12, v1
	s_wait_dscnt 0x0
	v_add_f64_e32 v[0:1], v[0:1], v[8:9]
	ds_bpermute_b32 v8, v13, v0
	ds_bpermute_b32 v9, v13, v1
	s_wait_dscnt 0x0
	v_add_f64_e32 v[0:1], v[0:1], v[8:9]
	ds_bpermute_b32 v8, v14, v0
	ds_bpermute_b32 v9, v14, v1
	s_and_saveexec_b32 s1, s0
	s_cbranch_execz .LBB300_8
; %bb.14:                               ;   in Loop: Header=BB300_9 Depth=1
	s_wait_dscnt 0x0
	v_add_f64_e32 v[0:1], v[0:1], v[8:9]
	v_lshl_add_u64 v[8:9], v[6:7], 3, s[2:3]
	s_and_saveexec_b32 s18, vcc_lo
	s_cbranch_execz .LBB300_7
; %bb.15:                               ;   in Loop: Header=BB300_9 Depth=1
	global_load_b64 v[16:17], v[8:9], off
	s_wait_loadcnt 0x0
	v_fmac_f64_e32 v[0:1], v[4:5], v[16:17]
	s_branch .LBB300_7
.LBB300_16:
	s_endpgm
	.section	.rodata,"a",@progbits
	.p2align	6, 0x0
	.amdhsa_kernel _ZN9rocsparseL21csrmvn_general_kernelILj256ELj16EiifdddEEvbT2_NS_24const_host_device_scalarIT6_EEPKT1_S7_PKS1_PKT3_PKT4_S4_PT5_21rocsparse_index_base_b
		.amdhsa_group_segment_fixed_size 0
		.amdhsa_private_segment_fixed_size 0
		.amdhsa_kernarg_size 336
		.amdhsa_user_sgpr_count 2
		.amdhsa_user_sgpr_dispatch_ptr 0
		.amdhsa_user_sgpr_queue_ptr 0
		.amdhsa_user_sgpr_kernarg_segment_ptr 1
		.amdhsa_user_sgpr_dispatch_id 0
		.amdhsa_user_sgpr_kernarg_preload_length 0
		.amdhsa_user_sgpr_kernarg_preload_offset 0
		.amdhsa_user_sgpr_private_segment_size 0
		.amdhsa_wavefront_size32 1
		.amdhsa_uses_dynamic_stack 0
		.amdhsa_enable_private_segment 0
		.amdhsa_system_sgpr_workgroup_id_x 1
		.amdhsa_system_sgpr_workgroup_id_y 0
		.amdhsa_system_sgpr_workgroup_id_z 0
		.amdhsa_system_sgpr_workgroup_info 0
		.amdhsa_system_vgpr_workitem_id 0
		.amdhsa_next_free_vgpr 20
		.amdhsa_next_free_sgpr 21
		.amdhsa_named_barrier_count 0
		.amdhsa_reserve_vcc 1
		.amdhsa_float_round_mode_32 0
		.amdhsa_float_round_mode_16_64 0
		.amdhsa_float_denorm_mode_32 3
		.amdhsa_float_denorm_mode_16_64 3
		.amdhsa_fp16_overflow 0
		.amdhsa_memory_ordered 1
		.amdhsa_forward_progress 1
		.amdhsa_inst_pref_size 7
		.amdhsa_round_robin_scheduling 0
		.amdhsa_exception_fp_ieee_invalid_op 0
		.amdhsa_exception_fp_denorm_src 0
		.amdhsa_exception_fp_ieee_div_zero 0
		.amdhsa_exception_fp_ieee_overflow 0
		.amdhsa_exception_fp_ieee_underflow 0
		.amdhsa_exception_fp_ieee_inexact 0
		.amdhsa_exception_int_div_zero 0
	.end_amdhsa_kernel
	.section	.text._ZN9rocsparseL21csrmvn_general_kernelILj256ELj16EiifdddEEvbT2_NS_24const_host_device_scalarIT6_EEPKT1_S7_PKS1_PKT3_PKT4_S4_PT5_21rocsparse_index_base_b,"axG",@progbits,_ZN9rocsparseL21csrmvn_general_kernelILj256ELj16EiifdddEEvbT2_NS_24const_host_device_scalarIT6_EEPKT1_S7_PKS1_PKT3_PKT4_S4_PT5_21rocsparse_index_base_b,comdat
.Lfunc_end300:
	.size	_ZN9rocsparseL21csrmvn_general_kernelILj256ELj16EiifdddEEvbT2_NS_24const_host_device_scalarIT6_EEPKT1_S7_PKS1_PKT3_PKT4_S4_PT5_21rocsparse_index_base_b, .Lfunc_end300-_ZN9rocsparseL21csrmvn_general_kernelILj256ELj16EiifdddEEvbT2_NS_24const_host_device_scalarIT6_EEPKT1_S7_PKS1_PKT3_PKT4_S4_PT5_21rocsparse_index_base_b
                                        ; -- End function
	.set _ZN9rocsparseL21csrmvn_general_kernelILj256ELj16EiifdddEEvbT2_NS_24const_host_device_scalarIT6_EEPKT1_S7_PKS1_PKT3_PKT4_S4_PT5_21rocsparse_index_base_b.num_vgpr, 20
	.set _ZN9rocsparseL21csrmvn_general_kernelILj256ELj16EiifdddEEvbT2_NS_24const_host_device_scalarIT6_EEPKT1_S7_PKS1_PKT3_PKT4_S4_PT5_21rocsparse_index_base_b.num_agpr, 0
	.set _ZN9rocsparseL21csrmvn_general_kernelILj256ELj16EiifdddEEvbT2_NS_24const_host_device_scalarIT6_EEPKT1_S7_PKS1_PKT3_PKT4_S4_PT5_21rocsparse_index_base_b.numbered_sgpr, 21
	.set _ZN9rocsparseL21csrmvn_general_kernelILj256ELj16EiifdddEEvbT2_NS_24const_host_device_scalarIT6_EEPKT1_S7_PKS1_PKT3_PKT4_S4_PT5_21rocsparse_index_base_b.num_named_barrier, 0
	.set _ZN9rocsparseL21csrmvn_general_kernelILj256ELj16EiifdddEEvbT2_NS_24const_host_device_scalarIT6_EEPKT1_S7_PKS1_PKT3_PKT4_S4_PT5_21rocsparse_index_base_b.private_seg_size, 0
	.set _ZN9rocsparseL21csrmvn_general_kernelILj256ELj16EiifdddEEvbT2_NS_24const_host_device_scalarIT6_EEPKT1_S7_PKS1_PKT3_PKT4_S4_PT5_21rocsparse_index_base_b.uses_vcc, 1
	.set _ZN9rocsparseL21csrmvn_general_kernelILj256ELj16EiifdddEEvbT2_NS_24const_host_device_scalarIT6_EEPKT1_S7_PKS1_PKT3_PKT4_S4_PT5_21rocsparse_index_base_b.uses_flat_scratch, 0
	.set _ZN9rocsparseL21csrmvn_general_kernelILj256ELj16EiifdddEEvbT2_NS_24const_host_device_scalarIT6_EEPKT1_S7_PKS1_PKT3_PKT4_S4_PT5_21rocsparse_index_base_b.has_dyn_sized_stack, 0
	.set _ZN9rocsparseL21csrmvn_general_kernelILj256ELj16EiifdddEEvbT2_NS_24const_host_device_scalarIT6_EEPKT1_S7_PKS1_PKT3_PKT4_S4_PT5_21rocsparse_index_base_b.has_recursion, 0
	.set _ZN9rocsparseL21csrmvn_general_kernelILj256ELj16EiifdddEEvbT2_NS_24const_host_device_scalarIT6_EEPKT1_S7_PKS1_PKT3_PKT4_S4_PT5_21rocsparse_index_base_b.has_indirect_call, 0
	.section	.AMDGPU.csdata,"",@progbits
; Kernel info:
; codeLenInByte = 836
; TotalNumSgprs: 23
; NumVgprs: 20
; ScratchSize: 0
; MemoryBound: 1
; FloatMode: 240
; IeeeMode: 1
; LDSByteSize: 0 bytes/workgroup (compile time only)
; SGPRBlocks: 0
; VGPRBlocks: 1
; NumSGPRsForWavesPerEU: 23
; NumVGPRsForWavesPerEU: 20
; NamedBarCnt: 0
; Occupancy: 16
; WaveLimiterHint : 1
; COMPUTE_PGM_RSRC2:SCRATCH_EN: 0
; COMPUTE_PGM_RSRC2:USER_SGPR: 2
; COMPUTE_PGM_RSRC2:TRAP_HANDLER: 0
; COMPUTE_PGM_RSRC2:TGID_X_EN: 1
; COMPUTE_PGM_RSRC2:TGID_Y_EN: 0
; COMPUTE_PGM_RSRC2:TGID_Z_EN: 0
; COMPUTE_PGM_RSRC2:TIDIG_COMP_CNT: 0
	.section	.text._ZN9rocsparseL21csrmvn_general_kernelILj256ELj32EiifdddEEvbT2_NS_24const_host_device_scalarIT6_EEPKT1_S7_PKS1_PKT3_PKT4_S4_PT5_21rocsparse_index_base_b,"axG",@progbits,_ZN9rocsparseL21csrmvn_general_kernelILj256ELj32EiifdddEEvbT2_NS_24const_host_device_scalarIT6_EEPKT1_S7_PKS1_PKT3_PKT4_S4_PT5_21rocsparse_index_base_b,comdat
	.globl	_ZN9rocsparseL21csrmvn_general_kernelILj256ELj32EiifdddEEvbT2_NS_24const_host_device_scalarIT6_EEPKT1_S7_PKS1_PKT3_PKT4_S4_PT5_21rocsparse_index_base_b ; -- Begin function _ZN9rocsparseL21csrmvn_general_kernelILj256ELj32EiifdddEEvbT2_NS_24const_host_device_scalarIT6_EEPKT1_S7_PKS1_PKT3_PKT4_S4_PT5_21rocsparse_index_base_b
	.p2align	8
	.type	_ZN9rocsparseL21csrmvn_general_kernelILj256ELj32EiifdddEEvbT2_NS_24const_host_device_scalarIT6_EEPKT1_S7_PKS1_PKT3_PKT4_S4_PT5_21rocsparse_index_base_b,@function
_ZN9rocsparseL21csrmvn_general_kernelILj256ELj32EiifdddEEvbT2_NS_24const_host_device_scalarIT6_EEPKT1_S7_PKS1_PKT3_PKT4_S4_PT5_21rocsparse_index_base_b: ; @_ZN9rocsparseL21csrmvn_general_kernelILj256ELj32EiifdddEEvbT2_NS_24const_host_device_scalarIT6_EEPKT1_S7_PKS1_PKT3_PKT4_S4_PT5_21rocsparse_index_base_b
; %bb.0:
	s_clause 0x2
	s_load_b64 s[16:17], s[0:1], 0x48
	s_load_b128 s[12:15], s[0:1], 0x8
	s_load_b64 s[2:3], s[0:1], 0x38
	s_wait_kmcnt 0x0
	s_bitcmp1_b32 s17, 0
	v_mov_b64_e32 v[2:3], s[12:13]
	s_cselect_b32 s4, -1, 0
	s_delay_alu instid0(SALU_CYCLE_1)
	s_and_b32 vcc_lo, exec_lo, s4
	s_xor_b32 s4, s4, -1
	s_cbranch_vccnz .LBB301_2
; %bb.1:
	v_mov_b32_e32 v1, 0
	flat_load_b64 v[2:3], v1, s[12:13]
.LBB301_2:
	v_mov_b64_e32 v[4:5], s[2:3]
	s_and_not1_b32 vcc_lo, exec_lo, s4
	s_cbranch_vccnz .LBB301_4
; %bb.3:
	s_wait_xcnt 0x0
	v_mov_b32_e32 v1, 0
	flat_load_b64 v[4:5], v1, s[2:3]
.LBB301_4:
	s_wait_loadcnt_dscnt 0x0
	v_cmp_neq_f64_e32 vcc_lo, 0, v[2:3]
	s_delay_alu instid0(VALU_DEP_2) | instskip(SKIP_1) | instid1(SALU_CYCLE_1)
	v_cmp_neq_f64_e64 s2, 1.0, v[4:5]
	s_or_b32 s2, vcc_lo, s2
	s_and_saveexec_b32 s3, s2
	s_cbranch_execz .LBB301_16
; %bb.5:
	s_bfe_u32 s2, ttmp6, 0x4000c
	s_load_b32 s12, s[0:1], 0x4
	s_add_co_i32 s2, s2, 1
	s_and_b32 s3, ttmp6, 15
	s_mul_i32 s2, ttmp9, s2
	s_getreg_b32 s4, hwreg(HW_REG_IB_STS2, 6, 4)
	s_add_co_i32 s3, s3, s2
	s_cmp_eq_u32 s4, 0
	s_mov_b32 s13, 0
	s_cselect_b32 s2, ttmp9, s3
	s_delay_alu instid0(SALU_CYCLE_1) | instskip(NEXT) | instid1(VALU_DEP_1)
	v_lshl_or_b32 v1, s2, 8, v0
	v_lshrrev_b32_e32 v6, 5, v1
	s_wait_kmcnt 0x0
	s_delay_alu instid0(VALU_DEP_1)
	v_cmp_gt_i32_e32 vcc_lo, s12, v6
	s_and_b32 exec_lo, exec_lo, vcc_lo
	s_cbranch_execz .LBB301_16
; %bb.6:
	v_mbcnt_lo_u32_b32 v1, -1, 0
	s_clause 0x2
	s_load_b256 s[4:11], s[0:1], 0x18
	s_load_b64 s[2:3], s[0:1], 0x40
	s_load_b32 s20, s[0:1], 0x50
	s_ashr_i32 s17, s16, 31
	v_cmp_neq_f64_e32 vcc_lo, 0, v[4:5]
	v_xor_b32_e32 v11, 2, v1
	v_xor_b32_e32 v8, 8, v1
	;; [unrolled: 1-line block ×3, first 2 shown]
	s_lshl_b64 s[18:19], s[16:17], 3
	s_wait_xcnt 0x0
	s_delay_alu instid0(VALU_DEP_1) | instskip(NEXT) | instid1(VALU_DEP_1)
	v_cmp_gt_i32_e64 s0, 32, v7
	v_dual_cndmask_b32 v7, v1, v7, s0 :: v_dual_bitop2_b32 v0, 31, v0 bitop3:0x40
	v_cmp_gt_i32_e64 s0, 32, v8
	v_xor_b32_e32 v12, 1, v1
	v_xor_b32_e32 v9, 4, v1
	s_delay_alu instid0(VALU_DEP_4)
	v_subrev_nc_u32_e32 v10, s16, v0
	s_wait_kmcnt 0x0
	s_lshl_b32 s17, s20, 3
	v_cndmask_b32_e64 v8, v1, v8, s0
	s_sub_nc_u64 s[10:11], s[10:11], s[18:19]
	v_cmp_gt_i32_e64 s0, 32, v9
	s_delay_alu instid0(VALU_DEP_1) | instskip(SKIP_1) | instid1(VALU_DEP_1)
	v_cndmask_b32_e64 v9, v1, v9, s0
	v_cmp_gt_i32_e64 s0, 32, v11
	v_cndmask_b32_e64 v14, v1, v11, s0
	v_lshlrev_b32_e32 v11, 2, v7
	v_cmp_gt_i32_e64 s0, 32, v12
	s_delay_alu instid0(VALU_DEP_3) | instskip(NEXT) | instid1(VALU_DEP_2)
	v_dual_lshlrev_b32 v14, 2, v14 :: v_dual_lshlrev_b32 v13, 2, v9
	v_cndmask_b32_e64 v1, v1, v12, s0
	v_lshlrev_b32_e32 v12, 2, v8
	v_cmp_eq_u32_e64 s0, 31, v0
	s_delay_alu instid0(VALU_DEP_3)
	v_lshlrev_b32_e32 v15, 2, v1
	s_branch .LBB301_9
.LBB301_7:                              ;   in Loop: Header=BB301_9 Depth=1
	s_wait_xcnt 0x0
	s_or_b32 exec_lo, exec_lo, s18
	global_store_b64 v[8:9], v[0:1], off
.LBB301_8:                              ;   in Loop: Header=BB301_9 Depth=1
	s_wait_xcnt 0x0
	s_or_b32 exec_lo, exec_lo, s1
	v_add_nc_u32_e32 v6, s17, v6
	s_delay_alu instid0(VALU_DEP_1) | instskip(SKIP_1) | instid1(SALU_CYCLE_1)
	v_cmp_le_i32_e64 s1, s12, v6
	s_or_b32 s13, s1, s13
	s_and_not1_b32 exec_lo, exec_lo, s13
	s_cbranch_execz .LBB301_16
.LBB301_9:                              ; =>This Loop Header: Depth=1
                                        ;     Child Loop BB301_11 Depth 2
	s_clause 0x1
	global_load_b32 v0, v6, s[4:5] scale_offset
	global_load_b32 v1, v6, s[14:15] scale_offset
	s_mov_b32 s18, exec_lo
	s_wait_loadcnt 0x1
	v_subrev_nc_u32_e32 v7, s16, v0
	s_wait_loadcnt_dscnt 0x1
	v_add_nc_u32_e32 v8, v1, v10
	v_mov_b64_e32 v[0:1], 0
	s_wait_xcnt 0x0
	s_delay_alu instid0(VALU_DEP_2)
	v_cmpx_lt_i32_e64 v8, v7
	s_cbranch_execz .LBB301_13
; %bb.10:                               ;   in Loop: Header=BB301_9 Depth=1
	v_mov_b64_e32 v[0:1], 0
	s_mov_b32 s19, 0
.LBB301_11:                             ;   Parent Loop BB301_9 Depth=1
                                        ; =>  This Inner Loop Header: Depth=2
	s_wait_dscnt 0x0
	s_clause 0x1
	global_load_b32 v9, v8, s[6:7] scale_offset
	global_load_b32 v18, v8, s[8:9] scale_offset
	s_wait_xcnt 0x0
	v_add_nc_u32_e32 v8, 32, v8
	s_delay_alu instid0(VALU_DEP_1)
	v_cmp_ge_i32_e64 s1, v8, v7
	s_or_b32 s19, s1, s19
	s_wait_loadcnt 0x1
	global_load_b64 v[16:17], v9, s[10:11] scale_offset
	s_wait_loadcnt 0x1
	v_cvt_f64_f32_e32 v[18:19], v18
	s_delay_alu instid0(VALU_DEP_1) | instskip(SKIP_1) | instid1(VALU_DEP_1)
	v_mul_f64_e32 v[18:19], v[2:3], v[18:19]
	s_wait_loadcnt 0x0
	v_fmac_f64_e32 v[0:1], v[18:19], v[16:17]
	s_wait_xcnt 0x0
	s_and_not1_b32 exec_lo, exec_lo, s19
	s_cbranch_execnz .LBB301_11
; %bb.12:                               ;   in Loop: Header=BB301_9 Depth=1
	s_or_b32 exec_lo, exec_lo, s19
.LBB301_13:                             ;   in Loop: Header=BB301_9 Depth=1
	s_delay_alu instid0(SALU_CYCLE_1)
	s_or_b32 exec_lo, exec_lo, s18
	ds_bpermute_b32 v8, v11, v0
	s_wait_dscnt 0x1
	ds_bpermute_b32 v9, v11, v1
	s_wait_dscnt 0x0
	v_dual_add_f64 v[0:1], v[0:1], v[8:9] :: v_dual_ashrrev_i32 v7, 31, v6
	ds_bpermute_b32 v8, v12, v0
	ds_bpermute_b32 v9, v12, v1
	s_wait_dscnt 0x0
	v_add_f64_e32 v[0:1], v[0:1], v[8:9]
	ds_bpermute_b32 v8, v13, v0
	ds_bpermute_b32 v9, v13, v1
	s_wait_dscnt 0x0
	v_add_f64_e32 v[0:1], v[0:1], v[8:9]
	;; [unrolled: 4-line block ×3, first 2 shown]
	ds_bpermute_b32 v8, v15, v0
	ds_bpermute_b32 v9, v15, v1
	s_and_saveexec_b32 s1, s0
	s_cbranch_execz .LBB301_8
; %bb.14:                               ;   in Loop: Header=BB301_9 Depth=1
	s_wait_dscnt 0x0
	v_add_f64_e32 v[0:1], v[0:1], v[8:9]
	v_lshl_add_u64 v[8:9], v[6:7], 3, s[2:3]
	s_and_saveexec_b32 s18, vcc_lo
	s_cbranch_execz .LBB301_7
; %bb.15:                               ;   in Loop: Header=BB301_9 Depth=1
	global_load_b64 v[16:17], v[8:9], off
	s_wait_loadcnt 0x0
	v_fmac_f64_e32 v[0:1], v[4:5], v[16:17]
	s_branch .LBB301_7
.LBB301_16:
	s_endpgm
	.section	.rodata,"a",@progbits
	.p2align	6, 0x0
	.amdhsa_kernel _ZN9rocsparseL21csrmvn_general_kernelILj256ELj32EiifdddEEvbT2_NS_24const_host_device_scalarIT6_EEPKT1_S7_PKS1_PKT3_PKT4_S4_PT5_21rocsparse_index_base_b
		.amdhsa_group_segment_fixed_size 0
		.amdhsa_private_segment_fixed_size 0
		.amdhsa_kernarg_size 336
		.amdhsa_user_sgpr_count 2
		.amdhsa_user_sgpr_dispatch_ptr 0
		.amdhsa_user_sgpr_queue_ptr 0
		.amdhsa_user_sgpr_kernarg_segment_ptr 1
		.amdhsa_user_sgpr_dispatch_id 0
		.amdhsa_user_sgpr_kernarg_preload_length 0
		.amdhsa_user_sgpr_kernarg_preload_offset 0
		.amdhsa_user_sgpr_private_segment_size 0
		.amdhsa_wavefront_size32 1
		.amdhsa_uses_dynamic_stack 0
		.amdhsa_enable_private_segment 0
		.amdhsa_system_sgpr_workgroup_id_x 1
		.amdhsa_system_sgpr_workgroup_id_y 0
		.amdhsa_system_sgpr_workgroup_id_z 0
		.amdhsa_system_sgpr_workgroup_info 0
		.amdhsa_system_vgpr_workitem_id 0
		.amdhsa_next_free_vgpr 20
		.amdhsa_next_free_sgpr 21
		.amdhsa_named_barrier_count 0
		.amdhsa_reserve_vcc 1
		.amdhsa_float_round_mode_32 0
		.amdhsa_float_round_mode_16_64 0
		.amdhsa_float_denorm_mode_32 3
		.amdhsa_float_denorm_mode_16_64 3
		.amdhsa_fp16_overflow 0
		.amdhsa_memory_ordered 1
		.amdhsa_forward_progress 1
		.amdhsa_inst_pref_size 7
		.amdhsa_round_robin_scheduling 0
		.amdhsa_exception_fp_ieee_invalid_op 0
		.amdhsa_exception_fp_denorm_src 0
		.amdhsa_exception_fp_ieee_div_zero 0
		.amdhsa_exception_fp_ieee_overflow 0
		.amdhsa_exception_fp_ieee_underflow 0
		.amdhsa_exception_fp_ieee_inexact 0
		.amdhsa_exception_int_div_zero 0
	.end_amdhsa_kernel
	.section	.text._ZN9rocsparseL21csrmvn_general_kernelILj256ELj32EiifdddEEvbT2_NS_24const_host_device_scalarIT6_EEPKT1_S7_PKS1_PKT3_PKT4_S4_PT5_21rocsparse_index_base_b,"axG",@progbits,_ZN9rocsparseL21csrmvn_general_kernelILj256ELj32EiifdddEEvbT2_NS_24const_host_device_scalarIT6_EEPKT1_S7_PKS1_PKT3_PKT4_S4_PT5_21rocsparse_index_base_b,comdat
.Lfunc_end301:
	.size	_ZN9rocsparseL21csrmvn_general_kernelILj256ELj32EiifdddEEvbT2_NS_24const_host_device_scalarIT6_EEPKT1_S7_PKS1_PKT3_PKT4_S4_PT5_21rocsparse_index_base_b, .Lfunc_end301-_ZN9rocsparseL21csrmvn_general_kernelILj256ELj32EiifdddEEvbT2_NS_24const_host_device_scalarIT6_EEPKT1_S7_PKS1_PKT3_PKT4_S4_PT5_21rocsparse_index_base_b
                                        ; -- End function
	.set _ZN9rocsparseL21csrmvn_general_kernelILj256ELj32EiifdddEEvbT2_NS_24const_host_device_scalarIT6_EEPKT1_S7_PKS1_PKT3_PKT4_S4_PT5_21rocsparse_index_base_b.num_vgpr, 20
	.set _ZN9rocsparseL21csrmvn_general_kernelILj256ELj32EiifdddEEvbT2_NS_24const_host_device_scalarIT6_EEPKT1_S7_PKS1_PKT3_PKT4_S4_PT5_21rocsparse_index_base_b.num_agpr, 0
	.set _ZN9rocsparseL21csrmvn_general_kernelILj256ELj32EiifdddEEvbT2_NS_24const_host_device_scalarIT6_EEPKT1_S7_PKS1_PKT3_PKT4_S4_PT5_21rocsparse_index_base_b.numbered_sgpr, 21
	.set _ZN9rocsparseL21csrmvn_general_kernelILj256ELj32EiifdddEEvbT2_NS_24const_host_device_scalarIT6_EEPKT1_S7_PKS1_PKT3_PKT4_S4_PT5_21rocsparse_index_base_b.num_named_barrier, 0
	.set _ZN9rocsparseL21csrmvn_general_kernelILj256ELj32EiifdddEEvbT2_NS_24const_host_device_scalarIT6_EEPKT1_S7_PKS1_PKT3_PKT4_S4_PT5_21rocsparse_index_base_b.private_seg_size, 0
	.set _ZN9rocsparseL21csrmvn_general_kernelILj256ELj32EiifdddEEvbT2_NS_24const_host_device_scalarIT6_EEPKT1_S7_PKS1_PKT3_PKT4_S4_PT5_21rocsparse_index_base_b.uses_vcc, 1
	.set _ZN9rocsparseL21csrmvn_general_kernelILj256ELj32EiifdddEEvbT2_NS_24const_host_device_scalarIT6_EEPKT1_S7_PKS1_PKT3_PKT4_S4_PT5_21rocsparse_index_base_b.uses_flat_scratch, 0
	.set _ZN9rocsparseL21csrmvn_general_kernelILj256ELj32EiifdddEEvbT2_NS_24const_host_device_scalarIT6_EEPKT1_S7_PKS1_PKT3_PKT4_S4_PT5_21rocsparse_index_base_b.has_dyn_sized_stack, 0
	.set _ZN9rocsparseL21csrmvn_general_kernelILj256ELj32EiifdddEEvbT2_NS_24const_host_device_scalarIT6_EEPKT1_S7_PKS1_PKT3_PKT4_S4_PT5_21rocsparse_index_base_b.has_recursion, 0
	.set _ZN9rocsparseL21csrmvn_general_kernelILj256ELj32EiifdddEEvbT2_NS_24const_host_device_scalarIT6_EEPKT1_S7_PKS1_PKT3_PKT4_S4_PT5_21rocsparse_index_base_b.has_indirect_call, 0
	.section	.AMDGPU.csdata,"",@progbits
; Kernel info:
; codeLenInByte = 892
; TotalNumSgprs: 23
; NumVgprs: 20
; ScratchSize: 0
; MemoryBound: 1
; FloatMode: 240
; IeeeMode: 1
; LDSByteSize: 0 bytes/workgroup (compile time only)
; SGPRBlocks: 0
; VGPRBlocks: 1
; NumSGPRsForWavesPerEU: 23
; NumVGPRsForWavesPerEU: 20
; NamedBarCnt: 0
; Occupancy: 16
; WaveLimiterHint : 1
; COMPUTE_PGM_RSRC2:SCRATCH_EN: 0
; COMPUTE_PGM_RSRC2:USER_SGPR: 2
; COMPUTE_PGM_RSRC2:TRAP_HANDLER: 0
; COMPUTE_PGM_RSRC2:TGID_X_EN: 1
; COMPUTE_PGM_RSRC2:TGID_Y_EN: 0
; COMPUTE_PGM_RSRC2:TGID_Z_EN: 0
; COMPUTE_PGM_RSRC2:TIDIG_COMP_CNT: 0
	.section	.text._ZN9rocsparseL21csrmvn_general_kernelILj256ELj64EiifdddEEvbT2_NS_24const_host_device_scalarIT6_EEPKT1_S7_PKS1_PKT3_PKT4_S4_PT5_21rocsparse_index_base_b,"axG",@progbits,_ZN9rocsparseL21csrmvn_general_kernelILj256ELj64EiifdddEEvbT2_NS_24const_host_device_scalarIT6_EEPKT1_S7_PKS1_PKT3_PKT4_S4_PT5_21rocsparse_index_base_b,comdat
	.globl	_ZN9rocsparseL21csrmvn_general_kernelILj256ELj64EiifdddEEvbT2_NS_24const_host_device_scalarIT6_EEPKT1_S7_PKS1_PKT3_PKT4_S4_PT5_21rocsparse_index_base_b ; -- Begin function _ZN9rocsparseL21csrmvn_general_kernelILj256ELj64EiifdddEEvbT2_NS_24const_host_device_scalarIT6_EEPKT1_S7_PKS1_PKT3_PKT4_S4_PT5_21rocsparse_index_base_b
	.p2align	8
	.type	_ZN9rocsparseL21csrmvn_general_kernelILj256ELj64EiifdddEEvbT2_NS_24const_host_device_scalarIT6_EEPKT1_S7_PKS1_PKT3_PKT4_S4_PT5_21rocsparse_index_base_b,@function
_ZN9rocsparseL21csrmvn_general_kernelILj256ELj64EiifdddEEvbT2_NS_24const_host_device_scalarIT6_EEPKT1_S7_PKS1_PKT3_PKT4_S4_PT5_21rocsparse_index_base_b: ; @_ZN9rocsparseL21csrmvn_general_kernelILj256ELj64EiifdddEEvbT2_NS_24const_host_device_scalarIT6_EEPKT1_S7_PKS1_PKT3_PKT4_S4_PT5_21rocsparse_index_base_b
; %bb.0:
	s_clause 0x2
	s_load_b64 s[16:17], s[0:1], 0x48
	s_load_b128 s[12:15], s[0:1], 0x8
	s_load_b64 s[2:3], s[0:1], 0x38
	s_wait_kmcnt 0x0
	s_bitcmp1_b32 s17, 0
	v_mov_b64_e32 v[2:3], s[12:13]
	s_cselect_b32 s4, -1, 0
	s_delay_alu instid0(SALU_CYCLE_1)
	s_and_b32 vcc_lo, exec_lo, s4
	s_xor_b32 s4, s4, -1
	s_cbranch_vccnz .LBB302_2
; %bb.1:
	v_mov_b32_e32 v1, 0
	flat_load_b64 v[2:3], v1, s[12:13]
.LBB302_2:
	v_mov_b64_e32 v[4:5], s[2:3]
	s_and_not1_b32 vcc_lo, exec_lo, s4
	s_cbranch_vccnz .LBB302_4
; %bb.3:
	s_wait_xcnt 0x0
	v_mov_b32_e32 v1, 0
	flat_load_b64 v[4:5], v1, s[2:3]
.LBB302_4:
	s_wait_loadcnt_dscnt 0x0
	v_cmp_neq_f64_e32 vcc_lo, 0, v[2:3]
	s_delay_alu instid0(VALU_DEP_2) | instskip(SKIP_1) | instid1(SALU_CYCLE_1)
	v_cmp_neq_f64_e64 s2, 1.0, v[4:5]
	s_or_b32 s2, vcc_lo, s2
	s_and_saveexec_b32 s3, s2
	s_cbranch_execz .LBB302_16
; %bb.5:
	s_bfe_u32 s2, ttmp6, 0x4000c
	s_load_b32 s12, s[0:1], 0x4
	s_add_co_i32 s2, s2, 1
	s_and_b32 s3, ttmp6, 15
	s_mul_i32 s2, ttmp9, s2
	s_getreg_b32 s4, hwreg(HW_REG_IB_STS2, 6, 4)
	s_add_co_i32 s3, s3, s2
	s_cmp_eq_u32 s4, 0
	s_mov_b32 s13, 0
	s_cselect_b32 s2, ttmp9, s3
	s_delay_alu instid0(SALU_CYCLE_1) | instskip(NEXT) | instid1(VALU_DEP_1)
	v_lshl_or_b32 v1, s2, 8, v0
	v_lshrrev_b32_e32 v6, 6, v1
	s_wait_kmcnt 0x0
	s_delay_alu instid0(VALU_DEP_1)
	v_cmp_gt_i32_e32 vcc_lo, s12, v6
	s_and_b32 exec_lo, exec_lo, vcc_lo
	s_cbranch_execz .LBB302_16
; %bb.6:
	v_mbcnt_lo_u32_b32 v1, -1, 0
	s_clause 0x2
	s_load_b256 s[4:11], s[0:1], 0x18
	s_load_b64 s[2:3], s[0:1], 0x40
	s_load_b32 s20, s[0:1], 0x50
	s_ashr_i32 s17, s16, 31
	v_cmp_neq_f64_e32 vcc_lo, 0, v[4:5]
	s_lshl_b64 s[18:19], s[16:17], 3
	v_xor_b32_e32 v8, 16, v1
	v_or_b32_e32 v7, 32, v1
	v_xor_b32_e32 v12, 2, v1
	s_wait_xcnt 0x0
	s_delay_alu instid0(VALU_DEP_2) | instskip(NEXT) | instid1(VALU_DEP_1)
	v_cmp_gt_i32_e64 s0, 32, v7
	v_dual_cndmask_b32 v7, v1, v7, s0 :: v_dual_bitop2_b32 v0, 63, v0 bitop3:0x40
	s_delay_alu instid0(VALU_DEP_1) | instskip(SKIP_2) | instid1(VALU_DEP_2)
	v_subrev_nc_u32_e32 v10, s16, v0
	s_wait_kmcnt 0x0
	s_sub_nc_u64 s[10:11], s[10:11], s[18:19]
	v_lshlrev_b32_e32 v11, 2, v7
	v_cmp_gt_i32_e64 s0, 32, v8
	v_xor_b32_e32 v7, 4, v1
	v_xor_b32_e32 v9, 8, v1
	s_lshl_b32 s17, s20, 2
	v_cndmask_b32_e64 v8, v1, v8, s0
	s_delay_alu instid0(VALU_DEP_2) | instskip(NEXT) | instid1(VALU_DEP_1)
	v_cmp_gt_i32_e64 s0, 32, v9
	v_cndmask_b32_e64 v9, v1, v9, s0
	v_cmp_gt_i32_e64 s0, 32, v7
	s_delay_alu instid0(VALU_DEP_1) | instskip(NEXT) | instid1(VALU_DEP_1)
	v_cndmask_b32_e64 v7, v1, v7, s0
	v_lshlrev_b32_e32 v14, 2, v7
	v_cmp_gt_i32_e64 s0, 32, v12
	s_delay_alu instid0(VALU_DEP_1) | instskip(NEXT) | instid1(VALU_DEP_1)
	v_dual_cndmask_b32 v15, v1, v12, s0 :: v_dual_bitop2_b32 v13, 1, v1 bitop3:0x14
	v_dual_lshlrev_b32 v12, 2, v8 :: v_dual_lshlrev_b32 v15, 2, v15
	s_delay_alu instid0(VALU_DEP_2) | instskip(NEXT) | instid1(VALU_DEP_1)
	v_cmp_gt_i32_e64 s0, 32, v13
	v_cndmask_b32_e64 v1, v1, v13, s0
	v_lshlrev_b32_e32 v13, 2, v9
	v_cmp_eq_u32_e64 s0, 63, v0
	s_delay_alu instid0(VALU_DEP_3)
	v_lshlrev_b32_e32 v16, 2, v1
	s_branch .LBB302_9
.LBB302_7:                              ;   in Loop: Header=BB302_9 Depth=1
	s_wait_xcnt 0x0
	s_or_b32 exec_lo, exec_lo, s18
	global_store_b64 v[8:9], v[0:1], off
.LBB302_8:                              ;   in Loop: Header=BB302_9 Depth=1
	s_wait_xcnt 0x0
	s_or_b32 exec_lo, exec_lo, s1
	v_add_nc_u32_e32 v6, s17, v6
	s_delay_alu instid0(VALU_DEP_1) | instskip(SKIP_1) | instid1(SALU_CYCLE_1)
	v_cmp_le_i32_e64 s1, s12, v6
	s_or_b32 s13, s1, s13
	s_and_not1_b32 exec_lo, exec_lo, s13
	s_cbranch_execz .LBB302_16
.LBB302_9:                              ; =>This Loop Header: Depth=1
                                        ;     Child Loop BB302_11 Depth 2
	s_clause 0x1
	global_load_b32 v0, v6, s[4:5] scale_offset
	global_load_b32 v1, v6, s[14:15] scale_offset
	s_mov_b32 s18, exec_lo
	s_wait_loadcnt 0x1
	v_subrev_nc_u32_e32 v7, s16, v0
	s_wait_loadcnt_dscnt 0x1
	v_add_nc_u32_e32 v8, v1, v10
	v_mov_b64_e32 v[0:1], 0
	s_wait_xcnt 0x0
	s_delay_alu instid0(VALU_DEP_2)
	v_cmpx_lt_i32_e64 v8, v7
	s_cbranch_execz .LBB302_13
; %bb.10:                               ;   in Loop: Header=BB302_9 Depth=1
	v_mov_b64_e32 v[0:1], 0
	s_mov_b32 s19, 0
.LBB302_11:                             ;   Parent Loop BB302_9 Depth=1
                                        ; =>  This Inner Loop Header: Depth=2
	s_wait_dscnt 0x0
	s_clause 0x1
	global_load_b32 v9, v8, s[6:7] scale_offset
	global_load_b32 v17, v8, s[8:9] scale_offset
	s_wait_xcnt 0x0
	v_add_nc_u32_e32 v8, 64, v8
	s_delay_alu instid0(VALU_DEP_1)
	v_cmp_ge_i32_e64 s1, v8, v7
	s_or_b32 s19, s1, s19
	s_wait_loadcnt 0x1
	global_load_b64 v[18:19], v9, s[10:11] scale_offset
	s_wait_loadcnt 0x1
	v_cvt_f64_f32_e32 v[20:21], v17
	s_delay_alu instid0(VALU_DEP_1) | instskip(SKIP_1) | instid1(VALU_DEP_1)
	v_mul_f64_e32 v[20:21], v[2:3], v[20:21]
	s_wait_loadcnt 0x0
	v_fmac_f64_e32 v[0:1], v[20:21], v[18:19]
	s_wait_xcnt 0x0
	s_and_not1_b32 exec_lo, exec_lo, s19
	s_cbranch_execnz .LBB302_11
; %bb.12:                               ;   in Loop: Header=BB302_9 Depth=1
	s_or_b32 exec_lo, exec_lo, s19
.LBB302_13:                             ;   in Loop: Header=BB302_9 Depth=1
	s_delay_alu instid0(SALU_CYCLE_1)
	s_or_b32 exec_lo, exec_lo, s18
	ds_bpermute_b32 v8, v11, v0
	s_wait_dscnt 0x1
	ds_bpermute_b32 v9, v11, v1
	s_wait_dscnt 0x0
	v_dual_add_f64 v[0:1], v[0:1], v[8:9] :: v_dual_ashrrev_i32 v7, 31, v6
	ds_bpermute_b32 v8, v12, v0
	ds_bpermute_b32 v9, v12, v1
	s_wait_dscnt 0x0
	v_add_f64_e32 v[0:1], v[0:1], v[8:9]
	ds_bpermute_b32 v8, v13, v0
	ds_bpermute_b32 v9, v13, v1
	s_wait_dscnt 0x0
	v_add_f64_e32 v[0:1], v[0:1], v[8:9]
	;; [unrolled: 4-line block ×4, first 2 shown]
	ds_bpermute_b32 v8, v16, v0
	ds_bpermute_b32 v9, v16, v1
	s_and_saveexec_b32 s1, s0
	s_cbranch_execz .LBB302_8
; %bb.14:                               ;   in Loop: Header=BB302_9 Depth=1
	s_wait_dscnt 0x0
	v_add_f64_e32 v[0:1], v[0:1], v[8:9]
	v_lshl_add_u64 v[8:9], v[6:7], 3, s[2:3]
	s_and_saveexec_b32 s18, vcc_lo
	s_cbranch_execz .LBB302_7
; %bb.15:                               ;   in Loop: Header=BB302_9 Depth=1
	global_load_b64 v[18:19], v[8:9], off
	s_wait_loadcnt 0x0
	v_fmac_f64_e32 v[0:1], v[4:5], v[18:19]
	s_branch .LBB302_7
.LBB302_16:
	s_endpgm
	.section	.rodata,"a",@progbits
	.p2align	6, 0x0
	.amdhsa_kernel _ZN9rocsparseL21csrmvn_general_kernelILj256ELj64EiifdddEEvbT2_NS_24const_host_device_scalarIT6_EEPKT1_S7_PKS1_PKT3_PKT4_S4_PT5_21rocsparse_index_base_b
		.amdhsa_group_segment_fixed_size 0
		.amdhsa_private_segment_fixed_size 0
		.amdhsa_kernarg_size 336
		.amdhsa_user_sgpr_count 2
		.amdhsa_user_sgpr_dispatch_ptr 0
		.amdhsa_user_sgpr_queue_ptr 0
		.amdhsa_user_sgpr_kernarg_segment_ptr 1
		.amdhsa_user_sgpr_dispatch_id 0
		.amdhsa_user_sgpr_kernarg_preload_length 0
		.amdhsa_user_sgpr_kernarg_preload_offset 0
		.amdhsa_user_sgpr_private_segment_size 0
		.amdhsa_wavefront_size32 1
		.amdhsa_uses_dynamic_stack 0
		.amdhsa_enable_private_segment 0
		.amdhsa_system_sgpr_workgroup_id_x 1
		.amdhsa_system_sgpr_workgroup_id_y 0
		.amdhsa_system_sgpr_workgroup_id_z 0
		.amdhsa_system_sgpr_workgroup_info 0
		.amdhsa_system_vgpr_workitem_id 0
		.amdhsa_next_free_vgpr 22
		.amdhsa_next_free_sgpr 21
		.amdhsa_named_barrier_count 0
		.amdhsa_reserve_vcc 1
		.amdhsa_float_round_mode_32 0
		.amdhsa_float_round_mode_16_64 0
		.amdhsa_float_denorm_mode_32 3
		.amdhsa_float_denorm_mode_16_64 3
		.amdhsa_fp16_overflow 0
		.amdhsa_memory_ordered 1
		.amdhsa_forward_progress 1
		.amdhsa_inst_pref_size 8
		.amdhsa_round_robin_scheduling 0
		.amdhsa_exception_fp_ieee_invalid_op 0
		.amdhsa_exception_fp_denorm_src 0
		.amdhsa_exception_fp_ieee_div_zero 0
		.amdhsa_exception_fp_ieee_overflow 0
		.amdhsa_exception_fp_ieee_underflow 0
		.amdhsa_exception_fp_ieee_inexact 0
		.amdhsa_exception_int_div_zero 0
	.end_amdhsa_kernel
	.section	.text._ZN9rocsparseL21csrmvn_general_kernelILj256ELj64EiifdddEEvbT2_NS_24const_host_device_scalarIT6_EEPKT1_S7_PKS1_PKT3_PKT4_S4_PT5_21rocsparse_index_base_b,"axG",@progbits,_ZN9rocsparseL21csrmvn_general_kernelILj256ELj64EiifdddEEvbT2_NS_24const_host_device_scalarIT6_EEPKT1_S7_PKS1_PKT3_PKT4_S4_PT5_21rocsparse_index_base_b,comdat
.Lfunc_end302:
	.size	_ZN9rocsparseL21csrmvn_general_kernelILj256ELj64EiifdddEEvbT2_NS_24const_host_device_scalarIT6_EEPKT1_S7_PKS1_PKT3_PKT4_S4_PT5_21rocsparse_index_base_b, .Lfunc_end302-_ZN9rocsparseL21csrmvn_general_kernelILj256ELj64EiifdddEEvbT2_NS_24const_host_device_scalarIT6_EEPKT1_S7_PKS1_PKT3_PKT4_S4_PT5_21rocsparse_index_base_b
                                        ; -- End function
	.set _ZN9rocsparseL21csrmvn_general_kernelILj256ELj64EiifdddEEvbT2_NS_24const_host_device_scalarIT6_EEPKT1_S7_PKS1_PKT3_PKT4_S4_PT5_21rocsparse_index_base_b.num_vgpr, 22
	.set _ZN9rocsparseL21csrmvn_general_kernelILj256ELj64EiifdddEEvbT2_NS_24const_host_device_scalarIT6_EEPKT1_S7_PKS1_PKT3_PKT4_S4_PT5_21rocsparse_index_base_b.num_agpr, 0
	.set _ZN9rocsparseL21csrmvn_general_kernelILj256ELj64EiifdddEEvbT2_NS_24const_host_device_scalarIT6_EEPKT1_S7_PKS1_PKT3_PKT4_S4_PT5_21rocsparse_index_base_b.numbered_sgpr, 21
	.set _ZN9rocsparseL21csrmvn_general_kernelILj256ELj64EiifdddEEvbT2_NS_24const_host_device_scalarIT6_EEPKT1_S7_PKS1_PKT3_PKT4_S4_PT5_21rocsparse_index_base_b.num_named_barrier, 0
	.set _ZN9rocsparseL21csrmvn_general_kernelILj256ELj64EiifdddEEvbT2_NS_24const_host_device_scalarIT6_EEPKT1_S7_PKS1_PKT3_PKT4_S4_PT5_21rocsparse_index_base_b.private_seg_size, 0
	.set _ZN9rocsparseL21csrmvn_general_kernelILj256ELj64EiifdddEEvbT2_NS_24const_host_device_scalarIT6_EEPKT1_S7_PKS1_PKT3_PKT4_S4_PT5_21rocsparse_index_base_b.uses_vcc, 1
	.set _ZN9rocsparseL21csrmvn_general_kernelILj256ELj64EiifdddEEvbT2_NS_24const_host_device_scalarIT6_EEPKT1_S7_PKS1_PKT3_PKT4_S4_PT5_21rocsparse_index_base_b.uses_flat_scratch, 0
	.set _ZN9rocsparseL21csrmvn_general_kernelILj256ELj64EiifdddEEvbT2_NS_24const_host_device_scalarIT6_EEPKT1_S7_PKS1_PKT3_PKT4_S4_PT5_21rocsparse_index_base_b.has_dyn_sized_stack, 0
	.set _ZN9rocsparseL21csrmvn_general_kernelILj256ELj64EiifdddEEvbT2_NS_24const_host_device_scalarIT6_EEPKT1_S7_PKS1_PKT3_PKT4_S4_PT5_21rocsparse_index_base_b.has_recursion, 0
	.set _ZN9rocsparseL21csrmvn_general_kernelILj256ELj64EiifdddEEvbT2_NS_24const_host_device_scalarIT6_EEPKT1_S7_PKS1_PKT3_PKT4_S4_PT5_21rocsparse_index_base_b.has_indirect_call, 0
	.section	.AMDGPU.csdata,"",@progbits
; Kernel info:
; codeLenInByte = 948
; TotalNumSgprs: 23
; NumVgprs: 22
; ScratchSize: 0
; MemoryBound: 1
; FloatMode: 240
; IeeeMode: 1
; LDSByteSize: 0 bytes/workgroup (compile time only)
; SGPRBlocks: 0
; VGPRBlocks: 1
; NumSGPRsForWavesPerEU: 23
; NumVGPRsForWavesPerEU: 22
; NamedBarCnt: 0
; Occupancy: 16
; WaveLimiterHint : 1
; COMPUTE_PGM_RSRC2:SCRATCH_EN: 0
; COMPUTE_PGM_RSRC2:USER_SGPR: 2
; COMPUTE_PGM_RSRC2:TRAP_HANDLER: 0
; COMPUTE_PGM_RSRC2:TGID_X_EN: 1
; COMPUTE_PGM_RSRC2:TGID_Y_EN: 0
; COMPUTE_PGM_RSRC2:TGID_Z_EN: 0
; COMPUTE_PGM_RSRC2:TIDIG_COMP_CNT: 0
	.section	.text._ZN9rocsparseL21csrmvt_general_kernelILj256ELj4EiifdddEEvbbT2_NS_24const_host_device_scalarIT6_EEPKT1_S7_PKS1_PKT3_PKT4_PT5_21rocsparse_index_base_b,"axG",@progbits,_ZN9rocsparseL21csrmvt_general_kernelILj256ELj4EiifdddEEvbbT2_NS_24const_host_device_scalarIT6_EEPKT1_S7_PKS1_PKT3_PKT4_PT5_21rocsparse_index_base_b,comdat
	.globl	_ZN9rocsparseL21csrmvt_general_kernelILj256ELj4EiifdddEEvbbT2_NS_24const_host_device_scalarIT6_EEPKT1_S7_PKS1_PKT3_PKT4_PT5_21rocsparse_index_base_b ; -- Begin function _ZN9rocsparseL21csrmvt_general_kernelILj256ELj4EiifdddEEvbbT2_NS_24const_host_device_scalarIT6_EEPKT1_S7_PKS1_PKT3_PKT4_PT5_21rocsparse_index_base_b
	.p2align	8
	.type	_ZN9rocsparseL21csrmvt_general_kernelILj256ELj4EiifdddEEvbbT2_NS_24const_host_device_scalarIT6_EEPKT1_S7_PKS1_PKT3_PKT4_PT5_21rocsparse_index_base_b,@function
_ZN9rocsparseL21csrmvt_general_kernelILj256ELj4EiifdddEEvbbT2_NS_24const_host_device_scalarIT6_EEPKT1_S7_PKS1_PKT3_PKT4_PT5_21rocsparse_index_base_b: ; @_ZN9rocsparseL21csrmvt_general_kernelILj256ELj4EiifdddEEvbbT2_NS_24const_host_device_scalarIT6_EEPKT1_S7_PKS1_PKT3_PKT4_PT5_21rocsparse_index_base_b
; %bb.0:
	s_clause 0x1
	s_load_b64 s[2:3], s[0:1], 0x40
	s_load_b128 s[12:15], s[0:1], 0x8
	s_wait_kmcnt 0x0
	s_bitcmp1_b32 s3, 0
	v_mov_b64_e32 v[2:3], s[12:13]
	s_cselect_b32 s3, -1, 0
	s_delay_alu instid0(SALU_CYCLE_1)
	s_and_b32 vcc_lo, exec_lo, s3
	s_cbranch_vccnz .LBB303_2
; %bb.1:
	v_mov_b32_e32 v1, 0
	flat_load_b64 v[2:3], v1, s[12:13]
.LBB303_2:
	s_mov_b32 s3, exec_lo
	s_wait_loadcnt_dscnt 0x0
	s_delay_alu instid0(VALU_DEP_1)
	v_cmpx_neq_f64_e32 0, v[2:3]
	s_cbranch_execz .LBB303_20
; %bb.3:
	s_clause 0x3
	s_load_b64 s[12:13], s[0:1], 0x0
	s_load_b32 s3, s[0:1], 0x48
	s_load_b64 s[16:17], s[0:1], 0x38
	s_load_b256 s[4:11], s[0:1], 0x18
	s_wait_xcnt 0x0
	s_bfe_u32 s0, ttmp6, 0x4000c
	s_and_b32 s18, ttmp6, 15
	s_add_co_i32 s0, s0, 1
	s_getreg_b32 s19, hwreg(HW_REG_IB_STS2, 6, 4)
	s_mul_i32 s0, ttmp9, s0
	v_and_b32_e32 v5, 3, v0
	s_add_co_i32 s18, s18, s0
	s_wait_kmcnt 0x0
	s_and_b32 s12, s12, 1
	s_lshl_b32 s1, s3, 6
	s_cmp_eq_u32 s19, 0
	s_mov_b32 s3, -1
	s_cselect_b32 s0, ttmp9, s18
	s_cmp_eq_u32 s12, 0
	v_lshl_or_b32 v1, s0, 8, v0
	s_delay_alu instid0(VALU_DEP_1) | instskip(NEXT) | instid1(VALU_DEP_1)
	v_lshrrev_b32_e32 v4, 2, v1
	v_cmp_gt_i32_e64 s0, s13, v4
	s_cbranch_scc0 .LBB303_11
; %bb.4:
	s_and_saveexec_b32 s3, s0
	s_cbranch_execz .LBB303_10
; %bb.5:
	v_subrev_nc_u32_e32 v8, s2, v5
	v_mov_b32_e32 v0, v4
	s_mov_b32 s12, 0
	s_branch .LBB303_7
.LBB303_6:                              ;   in Loop: Header=BB303_7 Depth=1
	s_or_b32 exec_lo, exec_lo, s18
	v_add_nc_u32_e32 v0, s1, v0
	s_delay_alu instid0(VALU_DEP_1) | instskip(SKIP_1) | instid1(SALU_CYCLE_1)
	v_cmp_le_i32_e32 vcc_lo, s13, v0
	s_or_b32 s12, vcc_lo, s12
	s_and_not1_b32 exec_lo, exec_lo, s12
	s_cbranch_execz .LBB303_10
.LBB303_7:                              ; =>This Loop Header: Depth=1
                                        ;     Child Loop BB303_9 Depth 2
	s_clause 0x1
	global_load_b32 v1, v0, s[4:5] scale_offset
	global_load_b32 v6, v0, s[14:15] scale_offset
	s_mov_b32 s18, exec_lo
	s_wait_loadcnt 0x1
	v_subrev_nc_u32_e32 v9, s2, v1
	s_wait_loadcnt 0x0
	v_add_nc_u32_e32 v10, v6, v8
	s_wait_xcnt 0x0
	s_delay_alu instid0(VALU_DEP_1)
	v_cmpx_lt_i32_e64 v10, v9
	s_cbranch_execz .LBB303_6
; %bb.8:                                ;   in Loop: Header=BB303_7 Depth=1
	v_ashrrev_i32_e32 v1, 31, v0
	s_mov_b32 s19, 0
	s_delay_alu instid0(VALU_DEP_1)
	v_lshl_add_u64 v[6:7], v[0:1], 3, s[10:11]
	global_load_b64 v[6:7], v[6:7], off
	s_wait_loadcnt 0x0
	s_wait_xcnt 0x0
	v_mul_f64_e32 v[6:7], v[2:3], v[6:7]
.LBB303_9:                              ;   Parent Loop BB303_7 Depth=1
                                        ; =>  This Inner Loop Header: Depth=2
	s_clause 0x1
	global_load_b32 v1, v10, s[8:9] scale_offset
	global_load_b32 v11, v10, s[6:7] scale_offset
	s_wait_xcnt 0x0
	v_add_nc_u32_e32 v10, 4, v10
	s_delay_alu instid0(VALU_DEP_1)
	v_cmp_ge_i32_e32 vcc_lo, v10, v9
	s_or_b32 s19, vcc_lo, s19
	s_wait_loadcnt 0x1
	v_cvt_f64_f32_e32 v[12:13], v1
	s_wait_loadcnt 0x0
	v_subrev_nc_u32_e32 v1, s2, v11
	s_delay_alu instid0(VALU_DEP_2)
	v_mul_f64_e32 v[12:13], v[6:7], v[12:13]
	global_atomic_add_f64 v1, v[12:13], s[16:17] scale_offset scope:SCOPE_DEV
	s_wait_xcnt 0x0
	s_and_not1_b32 exec_lo, exec_lo, s19
	s_cbranch_execnz .LBB303_9
	s_branch .LBB303_6
.LBB303_10:
	s_or_b32 exec_lo, exec_lo, s3
	s_mov_b32 s3, 0
.LBB303_11:
	s_delay_alu instid0(SALU_CYCLE_1)
	s_and_not1_b32 vcc_lo, exec_lo, s3
	s_cbranch_vccnz .LBB303_20
; %bb.12:
	s_and_b32 exec_lo, exec_lo, s0
	s_cbranch_execz .LBB303_20
; %bb.13:
	v_subrev_nc_u32_e32 v8, s2, v5
	s_mov_b32 s0, 0
	s_branch .LBB303_15
.LBB303_14:                             ;   in Loop: Header=BB303_15 Depth=1
	s_or_b32 exec_lo, exec_lo, s3
	v_add_nc_u32_e32 v4, s1, v4
	s_delay_alu instid0(VALU_DEP_1) | instskip(SKIP_1) | instid1(SALU_CYCLE_1)
	v_cmp_le_i32_e32 vcc_lo, s13, v4
	s_or_b32 s0, vcc_lo, s0
	s_and_not1_b32 exec_lo, exec_lo, s0
	s_cbranch_execz .LBB303_20
.LBB303_15:                             ; =>This Loop Header: Depth=1
                                        ;     Child Loop BB303_18 Depth 2
	s_clause 0x1
	global_load_b32 v0, v4, s[4:5] scale_offset
	global_load_b32 v1, v4, s[14:15] scale_offset
	s_mov_b32 s3, exec_lo
	s_wait_loadcnt 0x1
	v_subrev_nc_u32_e32 v9, s2, v0
	s_wait_loadcnt 0x0
	v_add_nc_u32_e32 v0, v1, v8
	s_wait_xcnt 0x0
	s_delay_alu instid0(VALU_DEP_1)
	v_cmpx_lt_i32_e64 v0, v9
	s_cbranch_execz .LBB303_14
; %bb.16:                               ;   in Loop: Header=BB303_15 Depth=1
	v_ashrrev_i32_e32 v5, 31, v4
	s_mov_b32 s12, 0
	s_delay_alu instid0(VALU_DEP_1)
	v_lshl_add_u64 v[6:7], v[4:5], 3, s[10:11]
	global_load_b64 v[6:7], v[6:7], off
	s_wait_loadcnt 0x0
	v_mul_f64_e32 v[6:7], v[2:3], v[6:7]
	s_branch .LBB303_18
.LBB303_17:                             ;   in Loop: Header=BB303_18 Depth=2
	s_wait_xcnt 0x0
	s_or_b32 exec_lo, exec_lo, s18
	v_add_nc_u32_e32 v0, 4, v0
	s_delay_alu instid0(VALU_DEP_1) | instskip(SKIP_1) | instid1(SALU_CYCLE_1)
	v_cmp_ge_i32_e32 vcc_lo, v0, v9
	s_or_b32 s12, vcc_lo, s12
	s_and_not1_b32 exec_lo, exec_lo, s12
	s_cbranch_execz .LBB303_14
.LBB303_18:                             ;   Parent Loop BB303_15 Depth=1
                                        ; =>  This Inner Loop Header: Depth=2
	global_load_b32 v1, v0, s[6:7] scale_offset
	s_mov_b32 s18, exec_lo
	s_wait_loadcnt 0x0
	v_subrev_nc_u32_e32 v5, s2, v1
	v_ashrrev_i32_e32 v1, 31, v0
	s_wait_xcnt 0x0
	s_delay_alu instid0(VALU_DEP_2)
	v_cmpx_ne_u32_e64 v5, v4
	s_cbranch_execz .LBB303_17
; %bb.19:                               ;   in Loop: Header=BB303_18 Depth=2
	s_delay_alu instid0(VALU_DEP_2) | instskip(SKIP_3) | instid1(VALU_DEP_1)
	v_lshl_add_u64 v[10:11], v[0:1], 2, s[8:9]
	global_load_b32 v1, v[10:11], off
	s_wait_loadcnt 0x0
	v_cvt_f64_f32_e32 v[10:11], v1
	v_mul_f64_e32 v[10:11], v[6:7], v[10:11]
	global_atomic_add_f64 v5, v[10:11], s[16:17] scale_offset scope:SCOPE_DEV
	s_branch .LBB303_17
.LBB303_20:
	s_endpgm
	.section	.rodata,"a",@progbits
	.p2align	6, 0x0
	.amdhsa_kernel _ZN9rocsparseL21csrmvt_general_kernelILj256ELj4EiifdddEEvbbT2_NS_24const_host_device_scalarIT6_EEPKT1_S7_PKS1_PKT3_PKT4_PT5_21rocsparse_index_base_b
		.amdhsa_group_segment_fixed_size 0
		.amdhsa_private_segment_fixed_size 0
		.amdhsa_kernarg_size 328
		.amdhsa_user_sgpr_count 2
		.amdhsa_user_sgpr_dispatch_ptr 0
		.amdhsa_user_sgpr_queue_ptr 0
		.amdhsa_user_sgpr_kernarg_segment_ptr 1
		.amdhsa_user_sgpr_dispatch_id 0
		.amdhsa_user_sgpr_kernarg_preload_length 0
		.amdhsa_user_sgpr_kernarg_preload_offset 0
		.amdhsa_user_sgpr_private_segment_size 0
		.amdhsa_wavefront_size32 1
		.amdhsa_uses_dynamic_stack 0
		.amdhsa_enable_private_segment 0
		.amdhsa_system_sgpr_workgroup_id_x 1
		.amdhsa_system_sgpr_workgroup_id_y 0
		.amdhsa_system_sgpr_workgroup_id_z 0
		.amdhsa_system_sgpr_workgroup_info 0
		.amdhsa_system_vgpr_workitem_id 0
		.amdhsa_next_free_vgpr 14
		.amdhsa_next_free_sgpr 20
		.amdhsa_named_barrier_count 0
		.amdhsa_reserve_vcc 1
		.amdhsa_float_round_mode_32 0
		.amdhsa_float_round_mode_16_64 0
		.amdhsa_float_denorm_mode_32 3
		.amdhsa_float_denorm_mode_16_64 3
		.amdhsa_fp16_overflow 0
		.amdhsa_memory_ordered 1
		.amdhsa_forward_progress 1
		.amdhsa_inst_pref_size 7
		.amdhsa_round_robin_scheduling 0
		.amdhsa_exception_fp_ieee_invalid_op 0
		.amdhsa_exception_fp_denorm_src 0
		.amdhsa_exception_fp_ieee_div_zero 0
		.amdhsa_exception_fp_ieee_overflow 0
		.amdhsa_exception_fp_ieee_underflow 0
		.amdhsa_exception_fp_ieee_inexact 0
		.amdhsa_exception_int_div_zero 0
	.end_amdhsa_kernel
	.section	.text._ZN9rocsparseL21csrmvt_general_kernelILj256ELj4EiifdddEEvbbT2_NS_24const_host_device_scalarIT6_EEPKT1_S7_PKS1_PKT3_PKT4_PT5_21rocsparse_index_base_b,"axG",@progbits,_ZN9rocsparseL21csrmvt_general_kernelILj256ELj4EiifdddEEvbbT2_NS_24const_host_device_scalarIT6_EEPKT1_S7_PKS1_PKT3_PKT4_PT5_21rocsparse_index_base_b,comdat
.Lfunc_end303:
	.size	_ZN9rocsparseL21csrmvt_general_kernelILj256ELj4EiifdddEEvbbT2_NS_24const_host_device_scalarIT6_EEPKT1_S7_PKS1_PKT3_PKT4_PT5_21rocsparse_index_base_b, .Lfunc_end303-_ZN9rocsparseL21csrmvt_general_kernelILj256ELj4EiifdddEEvbbT2_NS_24const_host_device_scalarIT6_EEPKT1_S7_PKS1_PKT3_PKT4_PT5_21rocsparse_index_base_b
                                        ; -- End function
	.set _ZN9rocsparseL21csrmvt_general_kernelILj256ELj4EiifdddEEvbbT2_NS_24const_host_device_scalarIT6_EEPKT1_S7_PKS1_PKT3_PKT4_PT5_21rocsparse_index_base_b.num_vgpr, 14
	.set _ZN9rocsparseL21csrmvt_general_kernelILj256ELj4EiifdddEEvbbT2_NS_24const_host_device_scalarIT6_EEPKT1_S7_PKS1_PKT3_PKT4_PT5_21rocsparse_index_base_b.num_agpr, 0
	.set _ZN9rocsparseL21csrmvt_general_kernelILj256ELj4EiifdddEEvbbT2_NS_24const_host_device_scalarIT6_EEPKT1_S7_PKS1_PKT3_PKT4_PT5_21rocsparse_index_base_b.numbered_sgpr, 20
	.set _ZN9rocsparseL21csrmvt_general_kernelILj256ELj4EiifdddEEvbbT2_NS_24const_host_device_scalarIT6_EEPKT1_S7_PKS1_PKT3_PKT4_PT5_21rocsparse_index_base_b.num_named_barrier, 0
	.set _ZN9rocsparseL21csrmvt_general_kernelILj256ELj4EiifdddEEvbbT2_NS_24const_host_device_scalarIT6_EEPKT1_S7_PKS1_PKT3_PKT4_PT5_21rocsparse_index_base_b.private_seg_size, 0
	.set _ZN9rocsparseL21csrmvt_general_kernelILj256ELj4EiifdddEEvbbT2_NS_24const_host_device_scalarIT6_EEPKT1_S7_PKS1_PKT3_PKT4_PT5_21rocsparse_index_base_b.uses_vcc, 1
	.set _ZN9rocsparseL21csrmvt_general_kernelILj256ELj4EiifdddEEvbbT2_NS_24const_host_device_scalarIT6_EEPKT1_S7_PKS1_PKT3_PKT4_PT5_21rocsparse_index_base_b.uses_flat_scratch, 0
	.set _ZN9rocsparseL21csrmvt_general_kernelILj256ELj4EiifdddEEvbbT2_NS_24const_host_device_scalarIT6_EEPKT1_S7_PKS1_PKT3_PKT4_PT5_21rocsparse_index_base_b.has_dyn_sized_stack, 0
	.set _ZN9rocsparseL21csrmvt_general_kernelILj256ELj4EiifdddEEvbbT2_NS_24const_host_device_scalarIT6_EEPKT1_S7_PKS1_PKT3_PKT4_PT5_21rocsparse_index_base_b.has_recursion, 0
	.set _ZN9rocsparseL21csrmvt_general_kernelILj256ELj4EiifdddEEvbbT2_NS_24const_host_device_scalarIT6_EEPKT1_S7_PKS1_PKT3_PKT4_PT5_21rocsparse_index_base_b.has_indirect_call, 0
	.section	.AMDGPU.csdata,"",@progbits
; Kernel info:
; codeLenInByte = 792
; TotalNumSgprs: 22
; NumVgprs: 14
; ScratchSize: 0
; MemoryBound: 0
; FloatMode: 240
; IeeeMode: 1
; LDSByteSize: 0 bytes/workgroup (compile time only)
; SGPRBlocks: 0
; VGPRBlocks: 0
; NumSGPRsForWavesPerEU: 22
; NumVGPRsForWavesPerEU: 14
; NamedBarCnt: 0
; Occupancy: 16
; WaveLimiterHint : 1
; COMPUTE_PGM_RSRC2:SCRATCH_EN: 0
; COMPUTE_PGM_RSRC2:USER_SGPR: 2
; COMPUTE_PGM_RSRC2:TRAP_HANDLER: 0
; COMPUTE_PGM_RSRC2:TGID_X_EN: 1
; COMPUTE_PGM_RSRC2:TGID_Y_EN: 0
; COMPUTE_PGM_RSRC2:TGID_Z_EN: 0
; COMPUTE_PGM_RSRC2:TIDIG_COMP_CNT: 0
	.section	.text._ZN9rocsparseL21csrmvt_general_kernelILj256ELj8EiifdddEEvbbT2_NS_24const_host_device_scalarIT6_EEPKT1_S7_PKS1_PKT3_PKT4_PT5_21rocsparse_index_base_b,"axG",@progbits,_ZN9rocsparseL21csrmvt_general_kernelILj256ELj8EiifdddEEvbbT2_NS_24const_host_device_scalarIT6_EEPKT1_S7_PKS1_PKT3_PKT4_PT5_21rocsparse_index_base_b,comdat
	.globl	_ZN9rocsparseL21csrmvt_general_kernelILj256ELj8EiifdddEEvbbT2_NS_24const_host_device_scalarIT6_EEPKT1_S7_PKS1_PKT3_PKT4_PT5_21rocsparse_index_base_b ; -- Begin function _ZN9rocsparseL21csrmvt_general_kernelILj256ELj8EiifdddEEvbbT2_NS_24const_host_device_scalarIT6_EEPKT1_S7_PKS1_PKT3_PKT4_PT5_21rocsparse_index_base_b
	.p2align	8
	.type	_ZN9rocsparseL21csrmvt_general_kernelILj256ELj8EiifdddEEvbbT2_NS_24const_host_device_scalarIT6_EEPKT1_S7_PKS1_PKT3_PKT4_PT5_21rocsparse_index_base_b,@function
_ZN9rocsparseL21csrmvt_general_kernelILj256ELj8EiifdddEEvbbT2_NS_24const_host_device_scalarIT6_EEPKT1_S7_PKS1_PKT3_PKT4_PT5_21rocsparse_index_base_b: ; @_ZN9rocsparseL21csrmvt_general_kernelILj256ELj8EiifdddEEvbbT2_NS_24const_host_device_scalarIT6_EEPKT1_S7_PKS1_PKT3_PKT4_PT5_21rocsparse_index_base_b
; %bb.0:
	s_clause 0x1
	s_load_b64 s[2:3], s[0:1], 0x40
	s_load_b128 s[12:15], s[0:1], 0x8
	s_wait_kmcnt 0x0
	s_bitcmp1_b32 s3, 0
	v_mov_b64_e32 v[2:3], s[12:13]
	s_cselect_b32 s3, -1, 0
	s_delay_alu instid0(SALU_CYCLE_1)
	s_and_b32 vcc_lo, exec_lo, s3
	s_cbranch_vccnz .LBB304_2
; %bb.1:
	v_mov_b32_e32 v1, 0
	flat_load_b64 v[2:3], v1, s[12:13]
.LBB304_2:
	s_mov_b32 s3, exec_lo
	s_wait_loadcnt_dscnt 0x0
	s_delay_alu instid0(VALU_DEP_1)
	v_cmpx_neq_f64_e32 0, v[2:3]
	s_cbranch_execz .LBB304_20
; %bb.3:
	s_clause 0x3
	s_load_b64 s[12:13], s[0:1], 0x0
	s_load_b32 s3, s[0:1], 0x48
	s_load_b64 s[16:17], s[0:1], 0x38
	s_load_b256 s[4:11], s[0:1], 0x18
	s_wait_xcnt 0x0
	s_bfe_u32 s0, ttmp6, 0x4000c
	s_and_b32 s18, ttmp6, 15
	s_add_co_i32 s0, s0, 1
	s_getreg_b32 s19, hwreg(HW_REG_IB_STS2, 6, 4)
	s_mul_i32 s0, ttmp9, s0
	v_and_b32_e32 v5, 7, v0
	s_add_co_i32 s18, s18, s0
	s_wait_kmcnt 0x0
	s_and_b32 s12, s12, 1
	s_lshl_b32 s1, s3, 5
	s_cmp_eq_u32 s19, 0
	s_mov_b32 s3, -1
	s_cselect_b32 s0, ttmp9, s18
	s_cmp_eq_u32 s12, 0
	v_lshl_or_b32 v1, s0, 8, v0
	s_delay_alu instid0(VALU_DEP_1) | instskip(NEXT) | instid1(VALU_DEP_1)
	v_lshrrev_b32_e32 v4, 3, v1
	v_cmp_gt_i32_e64 s0, s13, v4
	s_cbranch_scc0 .LBB304_11
; %bb.4:
	s_and_saveexec_b32 s3, s0
	s_cbranch_execz .LBB304_10
; %bb.5:
	v_subrev_nc_u32_e32 v8, s2, v5
	v_mov_b32_e32 v0, v4
	s_mov_b32 s12, 0
	s_branch .LBB304_7
.LBB304_6:                              ;   in Loop: Header=BB304_7 Depth=1
	s_or_b32 exec_lo, exec_lo, s18
	v_add_nc_u32_e32 v0, s1, v0
	s_delay_alu instid0(VALU_DEP_1) | instskip(SKIP_1) | instid1(SALU_CYCLE_1)
	v_cmp_le_i32_e32 vcc_lo, s13, v0
	s_or_b32 s12, vcc_lo, s12
	s_and_not1_b32 exec_lo, exec_lo, s12
	s_cbranch_execz .LBB304_10
.LBB304_7:                              ; =>This Loop Header: Depth=1
                                        ;     Child Loop BB304_9 Depth 2
	s_clause 0x1
	global_load_b32 v1, v0, s[4:5] scale_offset
	global_load_b32 v6, v0, s[14:15] scale_offset
	s_mov_b32 s18, exec_lo
	s_wait_loadcnt 0x1
	v_subrev_nc_u32_e32 v9, s2, v1
	s_wait_loadcnt 0x0
	v_add_nc_u32_e32 v10, v6, v8
	s_wait_xcnt 0x0
	s_delay_alu instid0(VALU_DEP_1)
	v_cmpx_lt_i32_e64 v10, v9
	s_cbranch_execz .LBB304_6
; %bb.8:                                ;   in Loop: Header=BB304_7 Depth=1
	v_ashrrev_i32_e32 v1, 31, v0
	s_mov_b32 s19, 0
	s_delay_alu instid0(VALU_DEP_1)
	v_lshl_add_u64 v[6:7], v[0:1], 3, s[10:11]
	global_load_b64 v[6:7], v[6:7], off
	s_wait_loadcnt 0x0
	s_wait_xcnt 0x0
	v_mul_f64_e32 v[6:7], v[2:3], v[6:7]
.LBB304_9:                              ;   Parent Loop BB304_7 Depth=1
                                        ; =>  This Inner Loop Header: Depth=2
	s_clause 0x1
	global_load_b32 v1, v10, s[8:9] scale_offset
	global_load_b32 v11, v10, s[6:7] scale_offset
	s_wait_xcnt 0x0
	v_add_nc_u32_e32 v10, 8, v10
	s_delay_alu instid0(VALU_DEP_1)
	v_cmp_ge_i32_e32 vcc_lo, v10, v9
	s_or_b32 s19, vcc_lo, s19
	s_wait_loadcnt 0x1
	v_cvt_f64_f32_e32 v[12:13], v1
	s_wait_loadcnt 0x0
	v_subrev_nc_u32_e32 v1, s2, v11
	s_delay_alu instid0(VALU_DEP_2)
	v_mul_f64_e32 v[12:13], v[6:7], v[12:13]
	global_atomic_add_f64 v1, v[12:13], s[16:17] scale_offset scope:SCOPE_DEV
	s_wait_xcnt 0x0
	s_and_not1_b32 exec_lo, exec_lo, s19
	s_cbranch_execnz .LBB304_9
	s_branch .LBB304_6
.LBB304_10:
	s_or_b32 exec_lo, exec_lo, s3
	s_mov_b32 s3, 0
.LBB304_11:
	s_delay_alu instid0(SALU_CYCLE_1)
	s_and_not1_b32 vcc_lo, exec_lo, s3
	s_cbranch_vccnz .LBB304_20
; %bb.12:
	s_and_b32 exec_lo, exec_lo, s0
	s_cbranch_execz .LBB304_20
; %bb.13:
	v_subrev_nc_u32_e32 v8, s2, v5
	s_mov_b32 s0, 0
	s_branch .LBB304_15
.LBB304_14:                             ;   in Loop: Header=BB304_15 Depth=1
	s_or_b32 exec_lo, exec_lo, s3
	v_add_nc_u32_e32 v4, s1, v4
	s_delay_alu instid0(VALU_DEP_1) | instskip(SKIP_1) | instid1(SALU_CYCLE_1)
	v_cmp_le_i32_e32 vcc_lo, s13, v4
	s_or_b32 s0, vcc_lo, s0
	s_and_not1_b32 exec_lo, exec_lo, s0
	s_cbranch_execz .LBB304_20
.LBB304_15:                             ; =>This Loop Header: Depth=1
                                        ;     Child Loop BB304_18 Depth 2
	s_clause 0x1
	global_load_b32 v0, v4, s[4:5] scale_offset
	global_load_b32 v1, v4, s[14:15] scale_offset
	s_mov_b32 s3, exec_lo
	s_wait_loadcnt 0x1
	v_subrev_nc_u32_e32 v9, s2, v0
	s_wait_loadcnt 0x0
	v_add_nc_u32_e32 v0, v1, v8
	s_wait_xcnt 0x0
	s_delay_alu instid0(VALU_DEP_1)
	v_cmpx_lt_i32_e64 v0, v9
	s_cbranch_execz .LBB304_14
; %bb.16:                               ;   in Loop: Header=BB304_15 Depth=1
	v_ashrrev_i32_e32 v5, 31, v4
	s_mov_b32 s12, 0
	s_delay_alu instid0(VALU_DEP_1)
	v_lshl_add_u64 v[6:7], v[4:5], 3, s[10:11]
	global_load_b64 v[6:7], v[6:7], off
	s_wait_loadcnt 0x0
	v_mul_f64_e32 v[6:7], v[2:3], v[6:7]
	s_branch .LBB304_18
.LBB304_17:                             ;   in Loop: Header=BB304_18 Depth=2
	s_wait_xcnt 0x0
	s_or_b32 exec_lo, exec_lo, s18
	v_add_nc_u32_e32 v0, 8, v0
	s_delay_alu instid0(VALU_DEP_1) | instskip(SKIP_1) | instid1(SALU_CYCLE_1)
	v_cmp_ge_i32_e32 vcc_lo, v0, v9
	s_or_b32 s12, vcc_lo, s12
	s_and_not1_b32 exec_lo, exec_lo, s12
	s_cbranch_execz .LBB304_14
.LBB304_18:                             ;   Parent Loop BB304_15 Depth=1
                                        ; =>  This Inner Loop Header: Depth=2
	global_load_b32 v1, v0, s[6:7] scale_offset
	s_mov_b32 s18, exec_lo
	s_wait_loadcnt 0x0
	v_subrev_nc_u32_e32 v5, s2, v1
	v_ashrrev_i32_e32 v1, 31, v0
	s_wait_xcnt 0x0
	s_delay_alu instid0(VALU_DEP_2)
	v_cmpx_ne_u32_e64 v5, v4
	s_cbranch_execz .LBB304_17
; %bb.19:                               ;   in Loop: Header=BB304_18 Depth=2
	s_delay_alu instid0(VALU_DEP_2) | instskip(SKIP_3) | instid1(VALU_DEP_1)
	v_lshl_add_u64 v[10:11], v[0:1], 2, s[8:9]
	global_load_b32 v1, v[10:11], off
	s_wait_loadcnt 0x0
	v_cvt_f64_f32_e32 v[10:11], v1
	v_mul_f64_e32 v[10:11], v[6:7], v[10:11]
	global_atomic_add_f64 v5, v[10:11], s[16:17] scale_offset scope:SCOPE_DEV
	s_branch .LBB304_17
.LBB304_20:
	s_endpgm
	.section	.rodata,"a",@progbits
	.p2align	6, 0x0
	.amdhsa_kernel _ZN9rocsparseL21csrmvt_general_kernelILj256ELj8EiifdddEEvbbT2_NS_24const_host_device_scalarIT6_EEPKT1_S7_PKS1_PKT3_PKT4_PT5_21rocsparse_index_base_b
		.amdhsa_group_segment_fixed_size 0
		.amdhsa_private_segment_fixed_size 0
		.amdhsa_kernarg_size 328
		.amdhsa_user_sgpr_count 2
		.amdhsa_user_sgpr_dispatch_ptr 0
		.amdhsa_user_sgpr_queue_ptr 0
		.amdhsa_user_sgpr_kernarg_segment_ptr 1
		.amdhsa_user_sgpr_dispatch_id 0
		.amdhsa_user_sgpr_kernarg_preload_length 0
		.amdhsa_user_sgpr_kernarg_preload_offset 0
		.amdhsa_user_sgpr_private_segment_size 0
		.amdhsa_wavefront_size32 1
		.amdhsa_uses_dynamic_stack 0
		.amdhsa_enable_private_segment 0
		.amdhsa_system_sgpr_workgroup_id_x 1
		.amdhsa_system_sgpr_workgroup_id_y 0
		.amdhsa_system_sgpr_workgroup_id_z 0
		.amdhsa_system_sgpr_workgroup_info 0
		.amdhsa_system_vgpr_workitem_id 0
		.amdhsa_next_free_vgpr 14
		.amdhsa_next_free_sgpr 20
		.amdhsa_named_barrier_count 0
		.amdhsa_reserve_vcc 1
		.amdhsa_float_round_mode_32 0
		.amdhsa_float_round_mode_16_64 0
		.amdhsa_float_denorm_mode_32 3
		.amdhsa_float_denorm_mode_16_64 3
		.amdhsa_fp16_overflow 0
		.amdhsa_memory_ordered 1
		.amdhsa_forward_progress 1
		.amdhsa_inst_pref_size 7
		.amdhsa_round_robin_scheduling 0
		.amdhsa_exception_fp_ieee_invalid_op 0
		.amdhsa_exception_fp_denorm_src 0
		.amdhsa_exception_fp_ieee_div_zero 0
		.amdhsa_exception_fp_ieee_overflow 0
		.amdhsa_exception_fp_ieee_underflow 0
		.amdhsa_exception_fp_ieee_inexact 0
		.amdhsa_exception_int_div_zero 0
	.end_amdhsa_kernel
	.section	.text._ZN9rocsparseL21csrmvt_general_kernelILj256ELj8EiifdddEEvbbT2_NS_24const_host_device_scalarIT6_EEPKT1_S7_PKS1_PKT3_PKT4_PT5_21rocsparse_index_base_b,"axG",@progbits,_ZN9rocsparseL21csrmvt_general_kernelILj256ELj8EiifdddEEvbbT2_NS_24const_host_device_scalarIT6_EEPKT1_S7_PKS1_PKT3_PKT4_PT5_21rocsparse_index_base_b,comdat
.Lfunc_end304:
	.size	_ZN9rocsparseL21csrmvt_general_kernelILj256ELj8EiifdddEEvbbT2_NS_24const_host_device_scalarIT6_EEPKT1_S7_PKS1_PKT3_PKT4_PT5_21rocsparse_index_base_b, .Lfunc_end304-_ZN9rocsparseL21csrmvt_general_kernelILj256ELj8EiifdddEEvbbT2_NS_24const_host_device_scalarIT6_EEPKT1_S7_PKS1_PKT3_PKT4_PT5_21rocsparse_index_base_b
                                        ; -- End function
	.set _ZN9rocsparseL21csrmvt_general_kernelILj256ELj8EiifdddEEvbbT2_NS_24const_host_device_scalarIT6_EEPKT1_S7_PKS1_PKT3_PKT4_PT5_21rocsparse_index_base_b.num_vgpr, 14
	.set _ZN9rocsparseL21csrmvt_general_kernelILj256ELj8EiifdddEEvbbT2_NS_24const_host_device_scalarIT6_EEPKT1_S7_PKS1_PKT3_PKT4_PT5_21rocsparse_index_base_b.num_agpr, 0
	.set _ZN9rocsparseL21csrmvt_general_kernelILj256ELj8EiifdddEEvbbT2_NS_24const_host_device_scalarIT6_EEPKT1_S7_PKS1_PKT3_PKT4_PT5_21rocsparse_index_base_b.numbered_sgpr, 20
	.set _ZN9rocsparseL21csrmvt_general_kernelILj256ELj8EiifdddEEvbbT2_NS_24const_host_device_scalarIT6_EEPKT1_S7_PKS1_PKT3_PKT4_PT5_21rocsparse_index_base_b.num_named_barrier, 0
	.set _ZN9rocsparseL21csrmvt_general_kernelILj256ELj8EiifdddEEvbbT2_NS_24const_host_device_scalarIT6_EEPKT1_S7_PKS1_PKT3_PKT4_PT5_21rocsparse_index_base_b.private_seg_size, 0
	.set _ZN9rocsparseL21csrmvt_general_kernelILj256ELj8EiifdddEEvbbT2_NS_24const_host_device_scalarIT6_EEPKT1_S7_PKS1_PKT3_PKT4_PT5_21rocsparse_index_base_b.uses_vcc, 1
	.set _ZN9rocsparseL21csrmvt_general_kernelILj256ELj8EiifdddEEvbbT2_NS_24const_host_device_scalarIT6_EEPKT1_S7_PKS1_PKT3_PKT4_PT5_21rocsparse_index_base_b.uses_flat_scratch, 0
	.set _ZN9rocsparseL21csrmvt_general_kernelILj256ELj8EiifdddEEvbbT2_NS_24const_host_device_scalarIT6_EEPKT1_S7_PKS1_PKT3_PKT4_PT5_21rocsparse_index_base_b.has_dyn_sized_stack, 0
	.set _ZN9rocsparseL21csrmvt_general_kernelILj256ELj8EiifdddEEvbbT2_NS_24const_host_device_scalarIT6_EEPKT1_S7_PKS1_PKT3_PKT4_PT5_21rocsparse_index_base_b.has_recursion, 0
	.set _ZN9rocsparseL21csrmvt_general_kernelILj256ELj8EiifdddEEvbbT2_NS_24const_host_device_scalarIT6_EEPKT1_S7_PKS1_PKT3_PKT4_PT5_21rocsparse_index_base_b.has_indirect_call, 0
	.section	.AMDGPU.csdata,"",@progbits
; Kernel info:
; codeLenInByte = 792
; TotalNumSgprs: 22
; NumVgprs: 14
; ScratchSize: 0
; MemoryBound: 0
; FloatMode: 240
; IeeeMode: 1
; LDSByteSize: 0 bytes/workgroup (compile time only)
; SGPRBlocks: 0
; VGPRBlocks: 0
; NumSGPRsForWavesPerEU: 22
; NumVGPRsForWavesPerEU: 14
; NamedBarCnt: 0
; Occupancy: 16
; WaveLimiterHint : 1
; COMPUTE_PGM_RSRC2:SCRATCH_EN: 0
; COMPUTE_PGM_RSRC2:USER_SGPR: 2
; COMPUTE_PGM_RSRC2:TRAP_HANDLER: 0
; COMPUTE_PGM_RSRC2:TGID_X_EN: 1
; COMPUTE_PGM_RSRC2:TGID_Y_EN: 0
; COMPUTE_PGM_RSRC2:TGID_Z_EN: 0
; COMPUTE_PGM_RSRC2:TIDIG_COMP_CNT: 0
	.section	.text._ZN9rocsparseL21csrmvt_general_kernelILj256ELj16EiifdddEEvbbT2_NS_24const_host_device_scalarIT6_EEPKT1_S7_PKS1_PKT3_PKT4_PT5_21rocsparse_index_base_b,"axG",@progbits,_ZN9rocsparseL21csrmvt_general_kernelILj256ELj16EiifdddEEvbbT2_NS_24const_host_device_scalarIT6_EEPKT1_S7_PKS1_PKT3_PKT4_PT5_21rocsparse_index_base_b,comdat
	.globl	_ZN9rocsparseL21csrmvt_general_kernelILj256ELj16EiifdddEEvbbT2_NS_24const_host_device_scalarIT6_EEPKT1_S7_PKS1_PKT3_PKT4_PT5_21rocsparse_index_base_b ; -- Begin function _ZN9rocsparseL21csrmvt_general_kernelILj256ELj16EiifdddEEvbbT2_NS_24const_host_device_scalarIT6_EEPKT1_S7_PKS1_PKT3_PKT4_PT5_21rocsparse_index_base_b
	.p2align	8
	.type	_ZN9rocsparseL21csrmvt_general_kernelILj256ELj16EiifdddEEvbbT2_NS_24const_host_device_scalarIT6_EEPKT1_S7_PKS1_PKT3_PKT4_PT5_21rocsparse_index_base_b,@function
_ZN9rocsparseL21csrmvt_general_kernelILj256ELj16EiifdddEEvbbT2_NS_24const_host_device_scalarIT6_EEPKT1_S7_PKS1_PKT3_PKT4_PT5_21rocsparse_index_base_b: ; @_ZN9rocsparseL21csrmvt_general_kernelILj256ELj16EiifdddEEvbbT2_NS_24const_host_device_scalarIT6_EEPKT1_S7_PKS1_PKT3_PKT4_PT5_21rocsparse_index_base_b
; %bb.0:
	s_clause 0x1
	s_load_b64 s[2:3], s[0:1], 0x40
	s_load_b128 s[12:15], s[0:1], 0x8
	s_wait_kmcnt 0x0
	s_bitcmp1_b32 s3, 0
	v_mov_b64_e32 v[2:3], s[12:13]
	s_cselect_b32 s3, -1, 0
	s_delay_alu instid0(SALU_CYCLE_1)
	s_and_b32 vcc_lo, exec_lo, s3
	s_cbranch_vccnz .LBB305_2
; %bb.1:
	v_mov_b32_e32 v1, 0
	flat_load_b64 v[2:3], v1, s[12:13]
.LBB305_2:
	s_mov_b32 s3, exec_lo
	s_wait_loadcnt_dscnt 0x0
	s_delay_alu instid0(VALU_DEP_1)
	v_cmpx_neq_f64_e32 0, v[2:3]
	s_cbranch_execz .LBB305_20
; %bb.3:
	s_clause 0x3
	s_load_b64 s[12:13], s[0:1], 0x0
	s_load_b32 s3, s[0:1], 0x48
	s_load_b64 s[16:17], s[0:1], 0x38
	s_load_b256 s[4:11], s[0:1], 0x18
	s_wait_xcnt 0x0
	s_bfe_u32 s0, ttmp6, 0x4000c
	s_and_b32 s18, ttmp6, 15
	s_add_co_i32 s0, s0, 1
	s_getreg_b32 s19, hwreg(HW_REG_IB_STS2, 6, 4)
	s_mul_i32 s0, ttmp9, s0
	v_and_b32_e32 v5, 15, v0
	s_add_co_i32 s18, s18, s0
	s_wait_kmcnt 0x0
	s_and_b32 s12, s12, 1
	s_lshl_b32 s1, s3, 4
	s_cmp_eq_u32 s19, 0
	s_mov_b32 s3, -1
	s_cselect_b32 s0, ttmp9, s18
	s_cmp_eq_u32 s12, 0
	v_lshl_or_b32 v1, s0, 8, v0
	s_delay_alu instid0(VALU_DEP_1) | instskip(NEXT) | instid1(VALU_DEP_1)
	v_lshrrev_b32_e32 v4, 4, v1
	v_cmp_gt_i32_e64 s0, s13, v4
	s_cbranch_scc0 .LBB305_11
; %bb.4:
	s_and_saveexec_b32 s3, s0
	s_cbranch_execz .LBB305_10
; %bb.5:
	v_subrev_nc_u32_e32 v8, s2, v5
	v_mov_b32_e32 v0, v4
	s_mov_b32 s12, 0
	s_branch .LBB305_7
.LBB305_6:                              ;   in Loop: Header=BB305_7 Depth=1
	s_or_b32 exec_lo, exec_lo, s18
	v_add_nc_u32_e32 v0, s1, v0
	s_delay_alu instid0(VALU_DEP_1) | instskip(SKIP_1) | instid1(SALU_CYCLE_1)
	v_cmp_le_i32_e32 vcc_lo, s13, v0
	s_or_b32 s12, vcc_lo, s12
	s_and_not1_b32 exec_lo, exec_lo, s12
	s_cbranch_execz .LBB305_10
.LBB305_7:                              ; =>This Loop Header: Depth=1
                                        ;     Child Loop BB305_9 Depth 2
	s_clause 0x1
	global_load_b32 v1, v0, s[4:5] scale_offset
	global_load_b32 v6, v0, s[14:15] scale_offset
	s_mov_b32 s18, exec_lo
	s_wait_loadcnt 0x1
	v_subrev_nc_u32_e32 v9, s2, v1
	s_wait_loadcnt 0x0
	v_add_nc_u32_e32 v10, v6, v8
	s_wait_xcnt 0x0
	s_delay_alu instid0(VALU_DEP_1)
	v_cmpx_lt_i32_e64 v10, v9
	s_cbranch_execz .LBB305_6
; %bb.8:                                ;   in Loop: Header=BB305_7 Depth=1
	v_ashrrev_i32_e32 v1, 31, v0
	s_mov_b32 s19, 0
	s_delay_alu instid0(VALU_DEP_1)
	v_lshl_add_u64 v[6:7], v[0:1], 3, s[10:11]
	global_load_b64 v[6:7], v[6:7], off
	s_wait_loadcnt 0x0
	s_wait_xcnt 0x0
	v_mul_f64_e32 v[6:7], v[2:3], v[6:7]
.LBB305_9:                              ;   Parent Loop BB305_7 Depth=1
                                        ; =>  This Inner Loop Header: Depth=2
	s_clause 0x1
	global_load_b32 v1, v10, s[8:9] scale_offset
	global_load_b32 v11, v10, s[6:7] scale_offset
	s_wait_xcnt 0x0
	v_add_nc_u32_e32 v10, 16, v10
	s_delay_alu instid0(VALU_DEP_1)
	v_cmp_ge_i32_e32 vcc_lo, v10, v9
	s_or_b32 s19, vcc_lo, s19
	s_wait_loadcnt 0x1
	v_cvt_f64_f32_e32 v[12:13], v1
	s_wait_loadcnt 0x0
	v_subrev_nc_u32_e32 v1, s2, v11
	s_delay_alu instid0(VALU_DEP_2)
	v_mul_f64_e32 v[12:13], v[6:7], v[12:13]
	global_atomic_add_f64 v1, v[12:13], s[16:17] scale_offset scope:SCOPE_DEV
	s_wait_xcnt 0x0
	s_and_not1_b32 exec_lo, exec_lo, s19
	s_cbranch_execnz .LBB305_9
	s_branch .LBB305_6
.LBB305_10:
	s_or_b32 exec_lo, exec_lo, s3
	s_mov_b32 s3, 0
.LBB305_11:
	s_delay_alu instid0(SALU_CYCLE_1)
	s_and_not1_b32 vcc_lo, exec_lo, s3
	s_cbranch_vccnz .LBB305_20
; %bb.12:
	s_and_b32 exec_lo, exec_lo, s0
	s_cbranch_execz .LBB305_20
; %bb.13:
	v_subrev_nc_u32_e32 v8, s2, v5
	s_mov_b32 s0, 0
	s_branch .LBB305_15
.LBB305_14:                             ;   in Loop: Header=BB305_15 Depth=1
	s_or_b32 exec_lo, exec_lo, s3
	v_add_nc_u32_e32 v4, s1, v4
	s_delay_alu instid0(VALU_DEP_1) | instskip(SKIP_1) | instid1(SALU_CYCLE_1)
	v_cmp_le_i32_e32 vcc_lo, s13, v4
	s_or_b32 s0, vcc_lo, s0
	s_and_not1_b32 exec_lo, exec_lo, s0
	s_cbranch_execz .LBB305_20
.LBB305_15:                             ; =>This Loop Header: Depth=1
                                        ;     Child Loop BB305_18 Depth 2
	s_clause 0x1
	global_load_b32 v0, v4, s[4:5] scale_offset
	global_load_b32 v1, v4, s[14:15] scale_offset
	s_mov_b32 s3, exec_lo
	s_wait_loadcnt 0x1
	v_subrev_nc_u32_e32 v9, s2, v0
	s_wait_loadcnt 0x0
	v_add_nc_u32_e32 v0, v1, v8
	s_wait_xcnt 0x0
	s_delay_alu instid0(VALU_DEP_1)
	v_cmpx_lt_i32_e64 v0, v9
	s_cbranch_execz .LBB305_14
; %bb.16:                               ;   in Loop: Header=BB305_15 Depth=1
	v_ashrrev_i32_e32 v5, 31, v4
	s_mov_b32 s12, 0
	s_delay_alu instid0(VALU_DEP_1)
	v_lshl_add_u64 v[6:7], v[4:5], 3, s[10:11]
	global_load_b64 v[6:7], v[6:7], off
	s_wait_loadcnt 0x0
	v_mul_f64_e32 v[6:7], v[2:3], v[6:7]
	s_branch .LBB305_18
.LBB305_17:                             ;   in Loop: Header=BB305_18 Depth=2
	s_wait_xcnt 0x0
	s_or_b32 exec_lo, exec_lo, s18
	v_add_nc_u32_e32 v0, 16, v0
	s_delay_alu instid0(VALU_DEP_1) | instskip(SKIP_1) | instid1(SALU_CYCLE_1)
	v_cmp_ge_i32_e32 vcc_lo, v0, v9
	s_or_b32 s12, vcc_lo, s12
	s_and_not1_b32 exec_lo, exec_lo, s12
	s_cbranch_execz .LBB305_14
.LBB305_18:                             ;   Parent Loop BB305_15 Depth=1
                                        ; =>  This Inner Loop Header: Depth=2
	global_load_b32 v1, v0, s[6:7] scale_offset
	s_mov_b32 s18, exec_lo
	s_wait_loadcnt 0x0
	v_subrev_nc_u32_e32 v5, s2, v1
	v_ashrrev_i32_e32 v1, 31, v0
	s_wait_xcnt 0x0
	s_delay_alu instid0(VALU_DEP_2)
	v_cmpx_ne_u32_e64 v5, v4
	s_cbranch_execz .LBB305_17
; %bb.19:                               ;   in Loop: Header=BB305_18 Depth=2
	s_delay_alu instid0(VALU_DEP_2) | instskip(SKIP_3) | instid1(VALU_DEP_1)
	v_lshl_add_u64 v[10:11], v[0:1], 2, s[8:9]
	global_load_b32 v1, v[10:11], off
	s_wait_loadcnt 0x0
	v_cvt_f64_f32_e32 v[10:11], v1
	v_mul_f64_e32 v[10:11], v[6:7], v[10:11]
	global_atomic_add_f64 v5, v[10:11], s[16:17] scale_offset scope:SCOPE_DEV
	s_branch .LBB305_17
.LBB305_20:
	s_endpgm
	.section	.rodata,"a",@progbits
	.p2align	6, 0x0
	.amdhsa_kernel _ZN9rocsparseL21csrmvt_general_kernelILj256ELj16EiifdddEEvbbT2_NS_24const_host_device_scalarIT6_EEPKT1_S7_PKS1_PKT3_PKT4_PT5_21rocsparse_index_base_b
		.amdhsa_group_segment_fixed_size 0
		.amdhsa_private_segment_fixed_size 0
		.amdhsa_kernarg_size 328
		.amdhsa_user_sgpr_count 2
		.amdhsa_user_sgpr_dispatch_ptr 0
		.amdhsa_user_sgpr_queue_ptr 0
		.amdhsa_user_sgpr_kernarg_segment_ptr 1
		.amdhsa_user_sgpr_dispatch_id 0
		.amdhsa_user_sgpr_kernarg_preload_length 0
		.amdhsa_user_sgpr_kernarg_preload_offset 0
		.amdhsa_user_sgpr_private_segment_size 0
		.amdhsa_wavefront_size32 1
		.amdhsa_uses_dynamic_stack 0
		.amdhsa_enable_private_segment 0
		.amdhsa_system_sgpr_workgroup_id_x 1
		.amdhsa_system_sgpr_workgroup_id_y 0
		.amdhsa_system_sgpr_workgroup_id_z 0
		.amdhsa_system_sgpr_workgroup_info 0
		.amdhsa_system_vgpr_workitem_id 0
		.amdhsa_next_free_vgpr 14
		.amdhsa_next_free_sgpr 20
		.amdhsa_named_barrier_count 0
		.amdhsa_reserve_vcc 1
		.amdhsa_float_round_mode_32 0
		.amdhsa_float_round_mode_16_64 0
		.amdhsa_float_denorm_mode_32 3
		.amdhsa_float_denorm_mode_16_64 3
		.amdhsa_fp16_overflow 0
		.amdhsa_memory_ordered 1
		.amdhsa_forward_progress 1
		.amdhsa_inst_pref_size 7
		.amdhsa_round_robin_scheduling 0
		.amdhsa_exception_fp_ieee_invalid_op 0
		.amdhsa_exception_fp_denorm_src 0
		.amdhsa_exception_fp_ieee_div_zero 0
		.amdhsa_exception_fp_ieee_overflow 0
		.amdhsa_exception_fp_ieee_underflow 0
		.amdhsa_exception_fp_ieee_inexact 0
		.amdhsa_exception_int_div_zero 0
	.end_amdhsa_kernel
	.section	.text._ZN9rocsparseL21csrmvt_general_kernelILj256ELj16EiifdddEEvbbT2_NS_24const_host_device_scalarIT6_EEPKT1_S7_PKS1_PKT3_PKT4_PT5_21rocsparse_index_base_b,"axG",@progbits,_ZN9rocsparseL21csrmvt_general_kernelILj256ELj16EiifdddEEvbbT2_NS_24const_host_device_scalarIT6_EEPKT1_S7_PKS1_PKT3_PKT4_PT5_21rocsparse_index_base_b,comdat
.Lfunc_end305:
	.size	_ZN9rocsparseL21csrmvt_general_kernelILj256ELj16EiifdddEEvbbT2_NS_24const_host_device_scalarIT6_EEPKT1_S7_PKS1_PKT3_PKT4_PT5_21rocsparse_index_base_b, .Lfunc_end305-_ZN9rocsparseL21csrmvt_general_kernelILj256ELj16EiifdddEEvbbT2_NS_24const_host_device_scalarIT6_EEPKT1_S7_PKS1_PKT3_PKT4_PT5_21rocsparse_index_base_b
                                        ; -- End function
	.set _ZN9rocsparseL21csrmvt_general_kernelILj256ELj16EiifdddEEvbbT2_NS_24const_host_device_scalarIT6_EEPKT1_S7_PKS1_PKT3_PKT4_PT5_21rocsparse_index_base_b.num_vgpr, 14
	.set _ZN9rocsparseL21csrmvt_general_kernelILj256ELj16EiifdddEEvbbT2_NS_24const_host_device_scalarIT6_EEPKT1_S7_PKS1_PKT3_PKT4_PT5_21rocsparse_index_base_b.num_agpr, 0
	.set _ZN9rocsparseL21csrmvt_general_kernelILj256ELj16EiifdddEEvbbT2_NS_24const_host_device_scalarIT6_EEPKT1_S7_PKS1_PKT3_PKT4_PT5_21rocsparse_index_base_b.numbered_sgpr, 20
	.set _ZN9rocsparseL21csrmvt_general_kernelILj256ELj16EiifdddEEvbbT2_NS_24const_host_device_scalarIT6_EEPKT1_S7_PKS1_PKT3_PKT4_PT5_21rocsparse_index_base_b.num_named_barrier, 0
	.set _ZN9rocsparseL21csrmvt_general_kernelILj256ELj16EiifdddEEvbbT2_NS_24const_host_device_scalarIT6_EEPKT1_S7_PKS1_PKT3_PKT4_PT5_21rocsparse_index_base_b.private_seg_size, 0
	.set _ZN9rocsparseL21csrmvt_general_kernelILj256ELj16EiifdddEEvbbT2_NS_24const_host_device_scalarIT6_EEPKT1_S7_PKS1_PKT3_PKT4_PT5_21rocsparse_index_base_b.uses_vcc, 1
	.set _ZN9rocsparseL21csrmvt_general_kernelILj256ELj16EiifdddEEvbbT2_NS_24const_host_device_scalarIT6_EEPKT1_S7_PKS1_PKT3_PKT4_PT5_21rocsparse_index_base_b.uses_flat_scratch, 0
	.set _ZN9rocsparseL21csrmvt_general_kernelILj256ELj16EiifdddEEvbbT2_NS_24const_host_device_scalarIT6_EEPKT1_S7_PKS1_PKT3_PKT4_PT5_21rocsparse_index_base_b.has_dyn_sized_stack, 0
	.set _ZN9rocsparseL21csrmvt_general_kernelILj256ELj16EiifdddEEvbbT2_NS_24const_host_device_scalarIT6_EEPKT1_S7_PKS1_PKT3_PKT4_PT5_21rocsparse_index_base_b.has_recursion, 0
	.set _ZN9rocsparseL21csrmvt_general_kernelILj256ELj16EiifdddEEvbbT2_NS_24const_host_device_scalarIT6_EEPKT1_S7_PKS1_PKT3_PKT4_PT5_21rocsparse_index_base_b.has_indirect_call, 0
	.section	.AMDGPU.csdata,"",@progbits
; Kernel info:
; codeLenInByte = 792
; TotalNumSgprs: 22
; NumVgprs: 14
; ScratchSize: 0
; MemoryBound: 0
; FloatMode: 240
; IeeeMode: 1
; LDSByteSize: 0 bytes/workgroup (compile time only)
; SGPRBlocks: 0
; VGPRBlocks: 0
; NumSGPRsForWavesPerEU: 22
; NumVGPRsForWavesPerEU: 14
; NamedBarCnt: 0
; Occupancy: 16
; WaveLimiterHint : 1
; COMPUTE_PGM_RSRC2:SCRATCH_EN: 0
; COMPUTE_PGM_RSRC2:USER_SGPR: 2
; COMPUTE_PGM_RSRC2:TRAP_HANDLER: 0
; COMPUTE_PGM_RSRC2:TGID_X_EN: 1
; COMPUTE_PGM_RSRC2:TGID_Y_EN: 0
; COMPUTE_PGM_RSRC2:TGID_Z_EN: 0
; COMPUTE_PGM_RSRC2:TIDIG_COMP_CNT: 0
	.section	.text._ZN9rocsparseL21csrmvt_general_kernelILj256ELj32EiifdddEEvbbT2_NS_24const_host_device_scalarIT6_EEPKT1_S7_PKS1_PKT3_PKT4_PT5_21rocsparse_index_base_b,"axG",@progbits,_ZN9rocsparseL21csrmvt_general_kernelILj256ELj32EiifdddEEvbbT2_NS_24const_host_device_scalarIT6_EEPKT1_S7_PKS1_PKT3_PKT4_PT5_21rocsparse_index_base_b,comdat
	.globl	_ZN9rocsparseL21csrmvt_general_kernelILj256ELj32EiifdddEEvbbT2_NS_24const_host_device_scalarIT6_EEPKT1_S7_PKS1_PKT3_PKT4_PT5_21rocsparse_index_base_b ; -- Begin function _ZN9rocsparseL21csrmvt_general_kernelILj256ELj32EiifdddEEvbbT2_NS_24const_host_device_scalarIT6_EEPKT1_S7_PKS1_PKT3_PKT4_PT5_21rocsparse_index_base_b
	.p2align	8
	.type	_ZN9rocsparseL21csrmvt_general_kernelILj256ELj32EiifdddEEvbbT2_NS_24const_host_device_scalarIT6_EEPKT1_S7_PKS1_PKT3_PKT4_PT5_21rocsparse_index_base_b,@function
_ZN9rocsparseL21csrmvt_general_kernelILj256ELj32EiifdddEEvbbT2_NS_24const_host_device_scalarIT6_EEPKT1_S7_PKS1_PKT3_PKT4_PT5_21rocsparse_index_base_b: ; @_ZN9rocsparseL21csrmvt_general_kernelILj256ELj32EiifdddEEvbbT2_NS_24const_host_device_scalarIT6_EEPKT1_S7_PKS1_PKT3_PKT4_PT5_21rocsparse_index_base_b
; %bb.0:
	s_clause 0x1
	s_load_b64 s[2:3], s[0:1], 0x40
	s_load_b128 s[12:15], s[0:1], 0x8
	s_wait_kmcnt 0x0
	s_bitcmp1_b32 s3, 0
	v_mov_b64_e32 v[2:3], s[12:13]
	s_cselect_b32 s3, -1, 0
	s_delay_alu instid0(SALU_CYCLE_1)
	s_and_b32 vcc_lo, exec_lo, s3
	s_cbranch_vccnz .LBB306_2
; %bb.1:
	v_mov_b32_e32 v1, 0
	flat_load_b64 v[2:3], v1, s[12:13]
.LBB306_2:
	s_mov_b32 s3, exec_lo
	s_wait_loadcnt_dscnt 0x0
	s_delay_alu instid0(VALU_DEP_1)
	v_cmpx_neq_f64_e32 0, v[2:3]
	s_cbranch_execz .LBB306_20
; %bb.3:
	s_clause 0x3
	s_load_b64 s[12:13], s[0:1], 0x0
	s_load_b32 s3, s[0:1], 0x48
	s_load_b64 s[16:17], s[0:1], 0x38
	s_load_b256 s[4:11], s[0:1], 0x18
	s_wait_xcnt 0x0
	s_bfe_u32 s0, ttmp6, 0x4000c
	s_and_b32 s18, ttmp6, 15
	s_add_co_i32 s0, s0, 1
	s_getreg_b32 s19, hwreg(HW_REG_IB_STS2, 6, 4)
	s_mul_i32 s0, ttmp9, s0
	v_and_b32_e32 v5, 31, v0
	s_add_co_i32 s18, s18, s0
	s_wait_kmcnt 0x0
	s_and_b32 s12, s12, 1
	s_lshl_b32 s1, s3, 3
	s_cmp_eq_u32 s19, 0
	s_mov_b32 s3, -1
	s_cselect_b32 s0, ttmp9, s18
	s_cmp_eq_u32 s12, 0
	v_lshl_or_b32 v1, s0, 8, v0
	s_delay_alu instid0(VALU_DEP_1) | instskip(NEXT) | instid1(VALU_DEP_1)
	v_lshrrev_b32_e32 v4, 5, v1
	v_cmp_gt_i32_e64 s0, s13, v4
	s_cbranch_scc0 .LBB306_11
; %bb.4:
	s_and_saveexec_b32 s3, s0
	s_cbranch_execz .LBB306_10
; %bb.5:
	v_subrev_nc_u32_e32 v8, s2, v5
	v_mov_b32_e32 v0, v4
	s_mov_b32 s12, 0
	s_branch .LBB306_7
.LBB306_6:                              ;   in Loop: Header=BB306_7 Depth=1
	s_or_b32 exec_lo, exec_lo, s18
	v_add_nc_u32_e32 v0, s1, v0
	s_delay_alu instid0(VALU_DEP_1) | instskip(SKIP_1) | instid1(SALU_CYCLE_1)
	v_cmp_le_i32_e32 vcc_lo, s13, v0
	s_or_b32 s12, vcc_lo, s12
	s_and_not1_b32 exec_lo, exec_lo, s12
	s_cbranch_execz .LBB306_10
.LBB306_7:                              ; =>This Loop Header: Depth=1
                                        ;     Child Loop BB306_9 Depth 2
	s_clause 0x1
	global_load_b32 v1, v0, s[4:5] scale_offset
	global_load_b32 v6, v0, s[14:15] scale_offset
	s_mov_b32 s18, exec_lo
	s_wait_loadcnt 0x1
	v_subrev_nc_u32_e32 v9, s2, v1
	s_wait_loadcnt 0x0
	v_add_nc_u32_e32 v10, v6, v8
	s_wait_xcnt 0x0
	s_delay_alu instid0(VALU_DEP_1)
	v_cmpx_lt_i32_e64 v10, v9
	s_cbranch_execz .LBB306_6
; %bb.8:                                ;   in Loop: Header=BB306_7 Depth=1
	v_ashrrev_i32_e32 v1, 31, v0
	s_mov_b32 s19, 0
	s_delay_alu instid0(VALU_DEP_1)
	v_lshl_add_u64 v[6:7], v[0:1], 3, s[10:11]
	global_load_b64 v[6:7], v[6:7], off
	s_wait_loadcnt 0x0
	s_wait_xcnt 0x0
	v_mul_f64_e32 v[6:7], v[2:3], v[6:7]
.LBB306_9:                              ;   Parent Loop BB306_7 Depth=1
                                        ; =>  This Inner Loop Header: Depth=2
	s_clause 0x1
	global_load_b32 v1, v10, s[8:9] scale_offset
	global_load_b32 v11, v10, s[6:7] scale_offset
	s_wait_xcnt 0x0
	v_add_nc_u32_e32 v10, 32, v10
	s_delay_alu instid0(VALU_DEP_1)
	v_cmp_ge_i32_e32 vcc_lo, v10, v9
	s_or_b32 s19, vcc_lo, s19
	s_wait_loadcnt 0x1
	v_cvt_f64_f32_e32 v[12:13], v1
	s_wait_loadcnt 0x0
	v_subrev_nc_u32_e32 v1, s2, v11
	s_delay_alu instid0(VALU_DEP_2)
	v_mul_f64_e32 v[12:13], v[6:7], v[12:13]
	global_atomic_add_f64 v1, v[12:13], s[16:17] scale_offset scope:SCOPE_DEV
	s_wait_xcnt 0x0
	s_and_not1_b32 exec_lo, exec_lo, s19
	s_cbranch_execnz .LBB306_9
	s_branch .LBB306_6
.LBB306_10:
	s_or_b32 exec_lo, exec_lo, s3
	s_mov_b32 s3, 0
.LBB306_11:
	s_delay_alu instid0(SALU_CYCLE_1)
	s_and_not1_b32 vcc_lo, exec_lo, s3
	s_cbranch_vccnz .LBB306_20
; %bb.12:
	s_and_b32 exec_lo, exec_lo, s0
	s_cbranch_execz .LBB306_20
; %bb.13:
	v_subrev_nc_u32_e32 v8, s2, v5
	s_mov_b32 s0, 0
	s_branch .LBB306_15
.LBB306_14:                             ;   in Loop: Header=BB306_15 Depth=1
	s_or_b32 exec_lo, exec_lo, s3
	v_add_nc_u32_e32 v4, s1, v4
	s_delay_alu instid0(VALU_DEP_1) | instskip(SKIP_1) | instid1(SALU_CYCLE_1)
	v_cmp_le_i32_e32 vcc_lo, s13, v4
	s_or_b32 s0, vcc_lo, s0
	s_and_not1_b32 exec_lo, exec_lo, s0
	s_cbranch_execz .LBB306_20
.LBB306_15:                             ; =>This Loop Header: Depth=1
                                        ;     Child Loop BB306_18 Depth 2
	s_clause 0x1
	global_load_b32 v0, v4, s[4:5] scale_offset
	global_load_b32 v1, v4, s[14:15] scale_offset
	s_mov_b32 s3, exec_lo
	s_wait_loadcnt 0x1
	v_subrev_nc_u32_e32 v9, s2, v0
	s_wait_loadcnt 0x0
	v_add_nc_u32_e32 v0, v1, v8
	s_wait_xcnt 0x0
	s_delay_alu instid0(VALU_DEP_1)
	v_cmpx_lt_i32_e64 v0, v9
	s_cbranch_execz .LBB306_14
; %bb.16:                               ;   in Loop: Header=BB306_15 Depth=1
	v_ashrrev_i32_e32 v5, 31, v4
	s_mov_b32 s12, 0
	s_delay_alu instid0(VALU_DEP_1)
	v_lshl_add_u64 v[6:7], v[4:5], 3, s[10:11]
	global_load_b64 v[6:7], v[6:7], off
	s_wait_loadcnt 0x0
	v_mul_f64_e32 v[6:7], v[2:3], v[6:7]
	s_branch .LBB306_18
.LBB306_17:                             ;   in Loop: Header=BB306_18 Depth=2
	s_wait_xcnt 0x0
	s_or_b32 exec_lo, exec_lo, s18
	v_add_nc_u32_e32 v0, 32, v0
	s_delay_alu instid0(VALU_DEP_1) | instskip(SKIP_1) | instid1(SALU_CYCLE_1)
	v_cmp_ge_i32_e32 vcc_lo, v0, v9
	s_or_b32 s12, vcc_lo, s12
	s_and_not1_b32 exec_lo, exec_lo, s12
	s_cbranch_execz .LBB306_14
.LBB306_18:                             ;   Parent Loop BB306_15 Depth=1
                                        ; =>  This Inner Loop Header: Depth=2
	global_load_b32 v1, v0, s[6:7] scale_offset
	s_mov_b32 s18, exec_lo
	s_wait_loadcnt 0x0
	v_subrev_nc_u32_e32 v5, s2, v1
	v_ashrrev_i32_e32 v1, 31, v0
	s_wait_xcnt 0x0
	s_delay_alu instid0(VALU_DEP_2)
	v_cmpx_ne_u32_e64 v5, v4
	s_cbranch_execz .LBB306_17
; %bb.19:                               ;   in Loop: Header=BB306_18 Depth=2
	s_delay_alu instid0(VALU_DEP_2) | instskip(SKIP_3) | instid1(VALU_DEP_1)
	v_lshl_add_u64 v[10:11], v[0:1], 2, s[8:9]
	global_load_b32 v1, v[10:11], off
	s_wait_loadcnt 0x0
	v_cvt_f64_f32_e32 v[10:11], v1
	v_mul_f64_e32 v[10:11], v[6:7], v[10:11]
	global_atomic_add_f64 v5, v[10:11], s[16:17] scale_offset scope:SCOPE_DEV
	s_branch .LBB306_17
.LBB306_20:
	s_endpgm
	.section	.rodata,"a",@progbits
	.p2align	6, 0x0
	.amdhsa_kernel _ZN9rocsparseL21csrmvt_general_kernelILj256ELj32EiifdddEEvbbT2_NS_24const_host_device_scalarIT6_EEPKT1_S7_PKS1_PKT3_PKT4_PT5_21rocsparse_index_base_b
		.amdhsa_group_segment_fixed_size 0
		.amdhsa_private_segment_fixed_size 0
		.amdhsa_kernarg_size 328
		.amdhsa_user_sgpr_count 2
		.amdhsa_user_sgpr_dispatch_ptr 0
		.amdhsa_user_sgpr_queue_ptr 0
		.amdhsa_user_sgpr_kernarg_segment_ptr 1
		.amdhsa_user_sgpr_dispatch_id 0
		.amdhsa_user_sgpr_kernarg_preload_length 0
		.amdhsa_user_sgpr_kernarg_preload_offset 0
		.amdhsa_user_sgpr_private_segment_size 0
		.amdhsa_wavefront_size32 1
		.amdhsa_uses_dynamic_stack 0
		.amdhsa_enable_private_segment 0
		.amdhsa_system_sgpr_workgroup_id_x 1
		.amdhsa_system_sgpr_workgroup_id_y 0
		.amdhsa_system_sgpr_workgroup_id_z 0
		.amdhsa_system_sgpr_workgroup_info 0
		.amdhsa_system_vgpr_workitem_id 0
		.amdhsa_next_free_vgpr 14
		.amdhsa_next_free_sgpr 20
		.amdhsa_named_barrier_count 0
		.amdhsa_reserve_vcc 1
		.amdhsa_float_round_mode_32 0
		.amdhsa_float_round_mode_16_64 0
		.amdhsa_float_denorm_mode_32 3
		.amdhsa_float_denorm_mode_16_64 3
		.amdhsa_fp16_overflow 0
		.amdhsa_memory_ordered 1
		.amdhsa_forward_progress 1
		.amdhsa_inst_pref_size 7
		.amdhsa_round_robin_scheduling 0
		.amdhsa_exception_fp_ieee_invalid_op 0
		.amdhsa_exception_fp_denorm_src 0
		.amdhsa_exception_fp_ieee_div_zero 0
		.amdhsa_exception_fp_ieee_overflow 0
		.amdhsa_exception_fp_ieee_underflow 0
		.amdhsa_exception_fp_ieee_inexact 0
		.amdhsa_exception_int_div_zero 0
	.end_amdhsa_kernel
	.section	.text._ZN9rocsparseL21csrmvt_general_kernelILj256ELj32EiifdddEEvbbT2_NS_24const_host_device_scalarIT6_EEPKT1_S7_PKS1_PKT3_PKT4_PT5_21rocsparse_index_base_b,"axG",@progbits,_ZN9rocsparseL21csrmvt_general_kernelILj256ELj32EiifdddEEvbbT2_NS_24const_host_device_scalarIT6_EEPKT1_S7_PKS1_PKT3_PKT4_PT5_21rocsparse_index_base_b,comdat
.Lfunc_end306:
	.size	_ZN9rocsparseL21csrmvt_general_kernelILj256ELj32EiifdddEEvbbT2_NS_24const_host_device_scalarIT6_EEPKT1_S7_PKS1_PKT3_PKT4_PT5_21rocsparse_index_base_b, .Lfunc_end306-_ZN9rocsparseL21csrmvt_general_kernelILj256ELj32EiifdddEEvbbT2_NS_24const_host_device_scalarIT6_EEPKT1_S7_PKS1_PKT3_PKT4_PT5_21rocsparse_index_base_b
                                        ; -- End function
	.set _ZN9rocsparseL21csrmvt_general_kernelILj256ELj32EiifdddEEvbbT2_NS_24const_host_device_scalarIT6_EEPKT1_S7_PKS1_PKT3_PKT4_PT5_21rocsparse_index_base_b.num_vgpr, 14
	.set _ZN9rocsparseL21csrmvt_general_kernelILj256ELj32EiifdddEEvbbT2_NS_24const_host_device_scalarIT6_EEPKT1_S7_PKS1_PKT3_PKT4_PT5_21rocsparse_index_base_b.num_agpr, 0
	.set _ZN9rocsparseL21csrmvt_general_kernelILj256ELj32EiifdddEEvbbT2_NS_24const_host_device_scalarIT6_EEPKT1_S7_PKS1_PKT3_PKT4_PT5_21rocsparse_index_base_b.numbered_sgpr, 20
	.set _ZN9rocsparseL21csrmvt_general_kernelILj256ELj32EiifdddEEvbbT2_NS_24const_host_device_scalarIT6_EEPKT1_S7_PKS1_PKT3_PKT4_PT5_21rocsparse_index_base_b.num_named_barrier, 0
	.set _ZN9rocsparseL21csrmvt_general_kernelILj256ELj32EiifdddEEvbbT2_NS_24const_host_device_scalarIT6_EEPKT1_S7_PKS1_PKT3_PKT4_PT5_21rocsparse_index_base_b.private_seg_size, 0
	.set _ZN9rocsparseL21csrmvt_general_kernelILj256ELj32EiifdddEEvbbT2_NS_24const_host_device_scalarIT6_EEPKT1_S7_PKS1_PKT3_PKT4_PT5_21rocsparse_index_base_b.uses_vcc, 1
	.set _ZN9rocsparseL21csrmvt_general_kernelILj256ELj32EiifdddEEvbbT2_NS_24const_host_device_scalarIT6_EEPKT1_S7_PKS1_PKT3_PKT4_PT5_21rocsparse_index_base_b.uses_flat_scratch, 0
	.set _ZN9rocsparseL21csrmvt_general_kernelILj256ELj32EiifdddEEvbbT2_NS_24const_host_device_scalarIT6_EEPKT1_S7_PKS1_PKT3_PKT4_PT5_21rocsparse_index_base_b.has_dyn_sized_stack, 0
	.set _ZN9rocsparseL21csrmvt_general_kernelILj256ELj32EiifdddEEvbbT2_NS_24const_host_device_scalarIT6_EEPKT1_S7_PKS1_PKT3_PKT4_PT5_21rocsparse_index_base_b.has_recursion, 0
	.set _ZN9rocsparseL21csrmvt_general_kernelILj256ELj32EiifdddEEvbbT2_NS_24const_host_device_scalarIT6_EEPKT1_S7_PKS1_PKT3_PKT4_PT5_21rocsparse_index_base_b.has_indirect_call, 0
	.section	.AMDGPU.csdata,"",@progbits
; Kernel info:
; codeLenInByte = 792
; TotalNumSgprs: 22
; NumVgprs: 14
; ScratchSize: 0
; MemoryBound: 0
; FloatMode: 240
; IeeeMode: 1
; LDSByteSize: 0 bytes/workgroup (compile time only)
; SGPRBlocks: 0
; VGPRBlocks: 0
; NumSGPRsForWavesPerEU: 22
; NumVGPRsForWavesPerEU: 14
; NamedBarCnt: 0
; Occupancy: 16
; WaveLimiterHint : 1
; COMPUTE_PGM_RSRC2:SCRATCH_EN: 0
; COMPUTE_PGM_RSRC2:USER_SGPR: 2
; COMPUTE_PGM_RSRC2:TRAP_HANDLER: 0
; COMPUTE_PGM_RSRC2:TGID_X_EN: 1
; COMPUTE_PGM_RSRC2:TGID_Y_EN: 0
; COMPUTE_PGM_RSRC2:TGID_Z_EN: 0
; COMPUTE_PGM_RSRC2:TIDIG_COMP_CNT: 0
	.section	.text._ZN9rocsparseL21csrmvt_general_kernelILj256ELj64EiifdddEEvbbT2_NS_24const_host_device_scalarIT6_EEPKT1_S7_PKS1_PKT3_PKT4_PT5_21rocsparse_index_base_b,"axG",@progbits,_ZN9rocsparseL21csrmvt_general_kernelILj256ELj64EiifdddEEvbbT2_NS_24const_host_device_scalarIT6_EEPKT1_S7_PKS1_PKT3_PKT4_PT5_21rocsparse_index_base_b,comdat
	.globl	_ZN9rocsparseL21csrmvt_general_kernelILj256ELj64EiifdddEEvbbT2_NS_24const_host_device_scalarIT6_EEPKT1_S7_PKS1_PKT3_PKT4_PT5_21rocsparse_index_base_b ; -- Begin function _ZN9rocsparseL21csrmvt_general_kernelILj256ELj64EiifdddEEvbbT2_NS_24const_host_device_scalarIT6_EEPKT1_S7_PKS1_PKT3_PKT4_PT5_21rocsparse_index_base_b
	.p2align	8
	.type	_ZN9rocsparseL21csrmvt_general_kernelILj256ELj64EiifdddEEvbbT2_NS_24const_host_device_scalarIT6_EEPKT1_S7_PKS1_PKT3_PKT4_PT5_21rocsparse_index_base_b,@function
_ZN9rocsparseL21csrmvt_general_kernelILj256ELj64EiifdddEEvbbT2_NS_24const_host_device_scalarIT6_EEPKT1_S7_PKS1_PKT3_PKT4_PT5_21rocsparse_index_base_b: ; @_ZN9rocsparseL21csrmvt_general_kernelILj256ELj64EiifdddEEvbbT2_NS_24const_host_device_scalarIT6_EEPKT1_S7_PKS1_PKT3_PKT4_PT5_21rocsparse_index_base_b
; %bb.0:
	s_clause 0x1
	s_load_b64 s[2:3], s[0:1], 0x40
	s_load_b128 s[12:15], s[0:1], 0x8
	s_wait_kmcnt 0x0
	s_bitcmp1_b32 s3, 0
	v_mov_b64_e32 v[2:3], s[12:13]
	s_cselect_b32 s3, -1, 0
	s_delay_alu instid0(SALU_CYCLE_1)
	s_and_b32 vcc_lo, exec_lo, s3
	s_cbranch_vccnz .LBB307_2
; %bb.1:
	v_mov_b32_e32 v1, 0
	flat_load_b64 v[2:3], v1, s[12:13]
.LBB307_2:
	s_mov_b32 s3, exec_lo
	s_wait_loadcnt_dscnt 0x0
	s_delay_alu instid0(VALU_DEP_1)
	v_cmpx_neq_f64_e32 0, v[2:3]
	s_cbranch_execz .LBB307_20
; %bb.3:
	s_clause 0x3
	s_load_b64 s[12:13], s[0:1], 0x0
	s_load_b32 s3, s[0:1], 0x48
	s_load_b64 s[16:17], s[0:1], 0x38
	s_load_b256 s[4:11], s[0:1], 0x18
	s_wait_xcnt 0x0
	s_bfe_u32 s0, ttmp6, 0x4000c
	s_and_b32 s18, ttmp6, 15
	s_add_co_i32 s0, s0, 1
	s_getreg_b32 s19, hwreg(HW_REG_IB_STS2, 6, 4)
	s_mul_i32 s0, ttmp9, s0
	v_and_b32_e32 v5, 63, v0
	s_add_co_i32 s18, s18, s0
	s_wait_kmcnt 0x0
	s_and_b32 s12, s12, 1
	s_lshl_b32 s1, s3, 2
	s_cmp_eq_u32 s19, 0
	s_mov_b32 s3, -1
	s_cselect_b32 s0, ttmp9, s18
	s_cmp_eq_u32 s12, 0
	v_lshl_or_b32 v1, s0, 8, v0
	s_delay_alu instid0(VALU_DEP_1) | instskip(NEXT) | instid1(VALU_DEP_1)
	v_lshrrev_b32_e32 v4, 6, v1
	v_cmp_gt_i32_e64 s0, s13, v4
	s_cbranch_scc0 .LBB307_11
; %bb.4:
	s_and_saveexec_b32 s3, s0
	s_cbranch_execz .LBB307_10
; %bb.5:
	v_subrev_nc_u32_e32 v8, s2, v5
	v_mov_b32_e32 v0, v4
	s_mov_b32 s12, 0
	s_branch .LBB307_7
.LBB307_6:                              ;   in Loop: Header=BB307_7 Depth=1
	s_or_b32 exec_lo, exec_lo, s18
	v_add_nc_u32_e32 v0, s1, v0
	s_delay_alu instid0(VALU_DEP_1) | instskip(SKIP_1) | instid1(SALU_CYCLE_1)
	v_cmp_le_i32_e32 vcc_lo, s13, v0
	s_or_b32 s12, vcc_lo, s12
	s_and_not1_b32 exec_lo, exec_lo, s12
	s_cbranch_execz .LBB307_10
.LBB307_7:                              ; =>This Loop Header: Depth=1
                                        ;     Child Loop BB307_9 Depth 2
	s_clause 0x1
	global_load_b32 v1, v0, s[4:5] scale_offset
	global_load_b32 v6, v0, s[14:15] scale_offset
	s_mov_b32 s18, exec_lo
	s_wait_loadcnt 0x1
	v_subrev_nc_u32_e32 v9, s2, v1
	s_wait_loadcnt 0x0
	v_add_nc_u32_e32 v10, v6, v8
	s_wait_xcnt 0x0
	s_delay_alu instid0(VALU_DEP_1)
	v_cmpx_lt_i32_e64 v10, v9
	s_cbranch_execz .LBB307_6
; %bb.8:                                ;   in Loop: Header=BB307_7 Depth=1
	v_ashrrev_i32_e32 v1, 31, v0
	s_mov_b32 s19, 0
	s_delay_alu instid0(VALU_DEP_1)
	v_lshl_add_u64 v[6:7], v[0:1], 3, s[10:11]
	global_load_b64 v[6:7], v[6:7], off
	s_wait_loadcnt 0x0
	s_wait_xcnt 0x0
	v_mul_f64_e32 v[6:7], v[2:3], v[6:7]
.LBB307_9:                              ;   Parent Loop BB307_7 Depth=1
                                        ; =>  This Inner Loop Header: Depth=2
	s_clause 0x1
	global_load_b32 v1, v10, s[8:9] scale_offset
	global_load_b32 v11, v10, s[6:7] scale_offset
	s_wait_xcnt 0x0
	v_add_nc_u32_e32 v10, 64, v10
	s_delay_alu instid0(VALU_DEP_1)
	v_cmp_ge_i32_e32 vcc_lo, v10, v9
	s_or_b32 s19, vcc_lo, s19
	s_wait_loadcnt 0x1
	v_cvt_f64_f32_e32 v[12:13], v1
	s_wait_loadcnt 0x0
	v_subrev_nc_u32_e32 v1, s2, v11
	s_delay_alu instid0(VALU_DEP_2)
	v_mul_f64_e32 v[12:13], v[6:7], v[12:13]
	global_atomic_add_f64 v1, v[12:13], s[16:17] scale_offset scope:SCOPE_DEV
	s_wait_xcnt 0x0
	s_and_not1_b32 exec_lo, exec_lo, s19
	s_cbranch_execnz .LBB307_9
	s_branch .LBB307_6
.LBB307_10:
	s_or_b32 exec_lo, exec_lo, s3
	s_mov_b32 s3, 0
.LBB307_11:
	s_delay_alu instid0(SALU_CYCLE_1)
	s_and_not1_b32 vcc_lo, exec_lo, s3
	s_cbranch_vccnz .LBB307_20
; %bb.12:
	s_and_b32 exec_lo, exec_lo, s0
	s_cbranch_execz .LBB307_20
; %bb.13:
	v_subrev_nc_u32_e32 v8, s2, v5
	s_mov_b32 s0, 0
	s_branch .LBB307_15
.LBB307_14:                             ;   in Loop: Header=BB307_15 Depth=1
	s_or_b32 exec_lo, exec_lo, s3
	v_add_nc_u32_e32 v4, s1, v4
	s_delay_alu instid0(VALU_DEP_1) | instskip(SKIP_1) | instid1(SALU_CYCLE_1)
	v_cmp_le_i32_e32 vcc_lo, s13, v4
	s_or_b32 s0, vcc_lo, s0
	s_and_not1_b32 exec_lo, exec_lo, s0
	s_cbranch_execz .LBB307_20
.LBB307_15:                             ; =>This Loop Header: Depth=1
                                        ;     Child Loop BB307_18 Depth 2
	s_clause 0x1
	global_load_b32 v0, v4, s[4:5] scale_offset
	global_load_b32 v1, v4, s[14:15] scale_offset
	s_mov_b32 s3, exec_lo
	s_wait_loadcnt 0x1
	v_subrev_nc_u32_e32 v9, s2, v0
	s_wait_loadcnt 0x0
	v_add_nc_u32_e32 v0, v1, v8
	s_wait_xcnt 0x0
	s_delay_alu instid0(VALU_DEP_1)
	v_cmpx_lt_i32_e64 v0, v9
	s_cbranch_execz .LBB307_14
; %bb.16:                               ;   in Loop: Header=BB307_15 Depth=1
	v_ashrrev_i32_e32 v5, 31, v4
	s_mov_b32 s12, 0
	s_delay_alu instid0(VALU_DEP_1)
	v_lshl_add_u64 v[6:7], v[4:5], 3, s[10:11]
	global_load_b64 v[6:7], v[6:7], off
	s_wait_loadcnt 0x0
	v_mul_f64_e32 v[6:7], v[2:3], v[6:7]
	s_branch .LBB307_18
.LBB307_17:                             ;   in Loop: Header=BB307_18 Depth=2
	s_wait_xcnt 0x0
	s_or_b32 exec_lo, exec_lo, s18
	v_add_nc_u32_e32 v0, 64, v0
	s_delay_alu instid0(VALU_DEP_1) | instskip(SKIP_1) | instid1(SALU_CYCLE_1)
	v_cmp_ge_i32_e32 vcc_lo, v0, v9
	s_or_b32 s12, vcc_lo, s12
	s_and_not1_b32 exec_lo, exec_lo, s12
	s_cbranch_execz .LBB307_14
.LBB307_18:                             ;   Parent Loop BB307_15 Depth=1
                                        ; =>  This Inner Loop Header: Depth=2
	global_load_b32 v1, v0, s[6:7] scale_offset
	s_mov_b32 s18, exec_lo
	s_wait_loadcnt 0x0
	v_subrev_nc_u32_e32 v5, s2, v1
	v_ashrrev_i32_e32 v1, 31, v0
	s_wait_xcnt 0x0
	s_delay_alu instid0(VALU_DEP_2)
	v_cmpx_ne_u32_e64 v5, v4
	s_cbranch_execz .LBB307_17
; %bb.19:                               ;   in Loop: Header=BB307_18 Depth=2
	s_delay_alu instid0(VALU_DEP_2) | instskip(SKIP_3) | instid1(VALU_DEP_1)
	v_lshl_add_u64 v[10:11], v[0:1], 2, s[8:9]
	global_load_b32 v1, v[10:11], off
	s_wait_loadcnt 0x0
	v_cvt_f64_f32_e32 v[10:11], v1
	v_mul_f64_e32 v[10:11], v[6:7], v[10:11]
	global_atomic_add_f64 v5, v[10:11], s[16:17] scale_offset scope:SCOPE_DEV
	s_branch .LBB307_17
.LBB307_20:
	s_endpgm
	.section	.rodata,"a",@progbits
	.p2align	6, 0x0
	.amdhsa_kernel _ZN9rocsparseL21csrmvt_general_kernelILj256ELj64EiifdddEEvbbT2_NS_24const_host_device_scalarIT6_EEPKT1_S7_PKS1_PKT3_PKT4_PT5_21rocsparse_index_base_b
		.amdhsa_group_segment_fixed_size 0
		.amdhsa_private_segment_fixed_size 0
		.amdhsa_kernarg_size 328
		.amdhsa_user_sgpr_count 2
		.amdhsa_user_sgpr_dispatch_ptr 0
		.amdhsa_user_sgpr_queue_ptr 0
		.amdhsa_user_sgpr_kernarg_segment_ptr 1
		.amdhsa_user_sgpr_dispatch_id 0
		.amdhsa_user_sgpr_kernarg_preload_length 0
		.amdhsa_user_sgpr_kernarg_preload_offset 0
		.amdhsa_user_sgpr_private_segment_size 0
		.amdhsa_wavefront_size32 1
		.amdhsa_uses_dynamic_stack 0
		.amdhsa_enable_private_segment 0
		.amdhsa_system_sgpr_workgroup_id_x 1
		.amdhsa_system_sgpr_workgroup_id_y 0
		.amdhsa_system_sgpr_workgroup_id_z 0
		.amdhsa_system_sgpr_workgroup_info 0
		.amdhsa_system_vgpr_workitem_id 0
		.amdhsa_next_free_vgpr 14
		.amdhsa_next_free_sgpr 20
		.amdhsa_named_barrier_count 0
		.amdhsa_reserve_vcc 1
		.amdhsa_float_round_mode_32 0
		.amdhsa_float_round_mode_16_64 0
		.amdhsa_float_denorm_mode_32 3
		.amdhsa_float_denorm_mode_16_64 3
		.amdhsa_fp16_overflow 0
		.amdhsa_memory_ordered 1
		.amdhsa_forward_progress 1
		.amdhsa_inst_pref_size 7
		.amdhsa_round_robin_scheduling 0
		.amdhsa_exception_fp_ieee_invalid_op 0
		.amdhsa_exception_fp_denorm_src 0
		.amdhsa_exception_fp_ieee_div_zero 0
		.amdhsa_exception_fp_ieee_overflow 0
		.amdhsa_exception_fp_ieee_underflow 0
		.amdhsa_exception_fp_ieee_inexact 0
		.amdhsa_exception_int_div_zero 0
	.end_amdhsa_kernel
	.section	.text._ZN9rocsparseL21csrmvt_general_kernelILj256ELj64EiifdddEEvbbT2_NS_24const_host_device_scalarIT6_EEPKT1_S7_PKS1_PKT3_PKT4_PT5_21rocsparse_index_base_b,"axG",@progbits,_ZN9rocsparseL21csrmvt_general_kernelILj256ELj64EiifdddEEvbbT2_NS_24const_host_device_scalarIT6_EEPKT1_S7_PKS1_PKT3_PKT4_PT5_21rocsparse_index_base_b,comdat
.Lfunc_end307:
	.size	_ZN9rocsparseL21csrmvt_general_kernelILj256ELj64EiifdddEEvbbT2_NS_24const_host_device_scalarIT6_EEPKT1_S7_PKS1_PKT3_PKT4_PT5_21rocsparse_index_base_b, .Lfunc_end307-_ZN9rocsparseL21csrmvt_general_kernelILj256ELj64EiifdddEEvbbT2_NS_24const_host_device_scalarIT6_EEPKT1_S7_PKS1_PKT3_PKT4_PT5_21rocsparse_index_base_b
                                        ; -- End function
	.set _ZN9rocsparseL21csrmvt_general_kernelILj256ELj64EiifdddEEvbbT2_NS_24const_host_device_scalarIT6_EEPKT1_S7_PKS1_PKT3_PKT4_PT5_21rocsparse_index_base_b.num_vgpr, 14
	.set _ZN9rocsparseL21csrmvt_general_kernelILj256ELj64EiifdddEEvbbT2_NS_24const_host_device_scalarIT6_EEPKT1_S7_PKS1_PKT3_PKT4_PT5_21rocsparse_index_base_b.num_agpr, 0
	.set _ZN9rocsparseL21csrmvt_general_kernelILj256ELj64EiifdddEEvbbT2_NS_24const_host_device_scalarIT6_EEPKT1_S7_PKS1_PKT3_PKT4_PT5_21rocsparse_index_base_b.numbered_sgpr, 20
	.set _ZN9rocsparseL21csrmvt_general_kernelILj256ELj64EiifdddEEvbbT2_NS_24const_host_device_scalarIT6_EEPKT1_S7_PKS1_PKT3_PKT4_PT5_21rocsparse_index_base_b.num_named_barrier, 0
	.set _ZN9rocsparseL21csrmvt_general_kernelILj256ELj64EiifdddEEvbbT2_NS_24const_host_device_scalarIT6_EEPKT1_S7_PKS1_PKT3_PKT4_PT5_21rocsparse_index_base_b.private_seg_size, 0
	.set _ZN9rocsparseL21csrmvt_general_kernelILj256ELj64EiifdddEEvbbT2_NS_24const_host_device_scalarIT6_EEPKT1_S7_PKS1_PKT3_PKT4_PT5_21rocsparse_index_base_b.uses_vcc, 1
	.set _ZN9rocsparseL21csrmvt_general_kernelILj256ELj64EiifdddEEvbbT2_NS_24const_host_device_scalarIT6_EEPKT1_S7_PKS1_PKT3_PKT4_PT5_21rocsparse_index_base_b.uses_flat_scratch, 0
	.set _ZN9rocsparseL21csrmvt_general_kernelILj256ELj64EiifdddEEvbbT2_NS_24const_host_device_scalarIT6_EEPKT1_S7_PKS1_PKT3_PKT4_PT5_21rocsparse_index_base_b.has_dyn_sized_stack, 0
	.set _ZN9rocsparseL21csrmvt_general_kernelILj256ELj64EiifdddEEvbbT2_NS_24const_host_device_scalarIT6_EEPKT1_S7_PKS1_PKT3_PKT4_PT5_21rocsparse_index_base_b.has_recursion, 0
	.set _ZN9rocsparseL21csrmvt_general_kernelILj256ELj64EiifdddEEvbbT2_NS_24const_host_device_scalarIT6_EEPKT1_S7_PKS1_PKT3_PKT4_PT5_21rocsparse_index_base_b.has_indirect_call, 0
	.section	.AMDGPU.csdata,"",@progbits
; Kernel info:
; codeLenInByte = 792
; TotalNumSgprs: 22
; NumVgprs: 14
; ScratchSize: 0
; MemoryBound: 0
; FloatMode: 240
; IeeeMode: 1
; LDSByteSize: 0 bytes/workgroup (compile time only)
; SGPRBlocks: 0
; VGPRBlocks: 0
; NumSGPRsForWavesPerEU: 22
; NumVGPRsForWavesPerEU: 14
; NamedBarCnt: 0
; Occupancy: 16
; WaveLimiterHint : 1
; COMPUTE_PGM_RSRC2:SCRATCH_EN: 0
; COMPUTE_PGM_RSRC2:USER_SGPR: 2
; COMPUTE_PGM_RSRC2:TRAP_HANDLER: 0
; COMPUTE_PGM_RSRC2:TGID_X_EN: 1
; COMPUTE_PGM_RSRC2:TGID_Y_EN: 0
; COMPUTE_PGM_RSRC2:TGID_Z_EN: 0
; COMPUTE_PGM_RSRC2:TIDIG_COMP_CNT: 0
	.section	.text._ZN9rocsparseL21csrmvn_general_kernelILj256ELj2ElifdddEEvbT2_NS_24const_host_device_scalarIT6_EEPKT1_S7_PKS1_PKT3_PKT4_S4_PT5_21rocsparse_index_base_b,"axG",@progbits,_ZN9rocsparseL21csrmvn_general_kernelILj256ELj2ElifdddEEvbT2_NS_24const_host_device_scalarIT6_EEPKT1_S7_PKS1_PKT3_PKT4_S4_PT5_21rocsparse_index_base_b,comdat
	.globl	_ZN9rocsparseL21csrmvn_general_kernelILj256ELj2ElifdddEEvbT2_NS_24const_host_device_scalarIT6_EEPKT1_S7_PKS1_PKT3_PKT4_S4_PT5_21rocsparse_index_base_b ; -- Begin function _ZN9rocsparseL21csrmvn_general_kernelILj256ELj2ElifdddEEvbT2_NS_24const_host_device_scalarIT6_EEPKT1_S7_PKS1_PKT3_PKT4_S4_PT5_21rocsparse_index_base_b
	.p2align	8
	.type	_ZN9rocsparseL21csrmvn_general_kernelILj256ELj2ElifdddEEvbT2_NS_24const_host_device_scalarIT6_EEPKT1_S7_PKS1_PKT3_PKT4_S4_PT5_21rocsparse_index_base_b,@function
_ZN9rocsparseL21csrmvn_general_kernelILj256ELj2ElifdddEEvbT2_NS_24const_host_device_scalarIT6_EEPKT1_S7_PKS1_PKT3_PKT4_S4_PT5_21rocsparse_index_base_b: ; @_ZN9rocsparseL21csrmvn_general_kernelILj256ELj2ElifdddEEvbT2_NS_24const_host_device_scalarIT6_EEPKT1_S7_PKS1_PKT3_PKT4_S4_PT5_21rocsparse_index_base_b
; %bb.0:
	s_clause 0x2
	s_load_b64 s[16:17], s[0:1], 0x48
	s_load_b128 s[12:15], s[0:1], 0x8
	s_load_b64 s[2:3], s[0:1], 0x38
	s_wait_kmcnt 0x0
	s_bitcmp1_b32 s17, 0
	v_mov_b64_e32 v[2:3], s[12:13]
	s_cselect_b32 s4, -1, 0
	s_delay_alu instid0(SALU_CYCLE_1)
	s_and_b32 vcc_lo, exec_lo, s4
	s_xor_b32 s4, s4, -1
	s_cbranch_vccnz .LBB308_2
; %bb.1:
	v_mov_b32_e32 v1, 0
	flat_load_b64 v[2:3], v1, s[12:13]
.LBB308_2:
	v_mov_b64_e32 v[4:5], s[2:3]
	s_and_not1_b32 vcc_lo, exec_lo, s4
	s_cbranch_vccnz .LBB308_4
; %bb.3:
	s_wait_xcnt 0x0
	v_mov_b32_e32 v1, 0
	flat_load_b64 v[4:5], v1, s[2:3]
.LBB308_4:
	s_wait_loadcnt_dscnt 0x0
	v_cmp_neq_f64_e32 vcc_lo, 0, v[2:3]
	s_delay_alu instid0(VALU_DEP_2) | instskip(SKIP_1) | instid1(SALU_CYCLE_1)
	v_cmp_neq_f64_e64 s2, 1.0, v[4:5]
	s_or_b32 s2, vcc_lo, s2
	s_and_saveexec_b32 s3, s2
	s_cbranch_execz .LBB308_16
; %bb.5:
	s_bfe_u32 s2, ttmp6, 0x4000c
	s_load_b32 s12, s[0:1], 0x4
	s_add_co_i32 s2, s2, 1
	s_and_b32 s3, ttmp6, 15
	s_mul_i32 s2, ttmp9, s2
	s_getreg_b32 s4, hwreg(HW_REG_IB_STS2, 6, 4)
	s_add_co_i32 s3, s3, s2
	s_cmp_eq_u32 s4, 0
	s_mov_b32 s17, 0
	s_cselect_b32 s2, ttmp9, s3
	s_delay_alu instid0(SALU_CYCLE_1) | instskip(NEXT) | instid1(VALU_DEP_1)
	v_lshl_or_b32 v1, s2, 8, v0
	v_lshrrev_b32_e32 v6, 1, v1
	s_wait_kmcnt 0x0
	s_delay_alu instid0(VALU_DEP_1)
	v_cmp_gt_i32_e32 vcc_lo, s12, v6
	s_and_b32 exec_lo, exec_lo, vcc_lo
	s_cbranch_execz .LBB308_16
; %bb.6:
	v_mbcnt_lo_u32_b32 v1, -1, 0
	s_clause 0x2
	s_load_b32 s13, s[0:1], 0x50
	s_load_b256 s[4:11], s[0:1], 0x18
	s_load_b64 s[2:3], s[0:1], 0x40
	s_wait_xcnt 0x0
	s_ashr_i32 s1, s16, 31
	v_cmp_neq_f64_e32 vcc_lo, 0, v[4:5]
	v_dual_mov_b32 v9, 0 :: v_dual_bitop2_b32 v7, 1, v1 bitop3:0x14
	s_delay_alu instid0(VALU_DEP_1) | instskip(NEXT) | instid1(VALU_DEP_1)
	v_cmp_gt_i32_e64 s0, 32, v7
	v_dual_cndmask_b32 v7, v1, v7, s0 :: v_dual_bitop2_b32 v8, 1, v0 bitop3:0x40
	s_mov_b32 s0, s16
	s_delay_alu instid0(VALU_DEP_1)
	v_sub_nc_u64_e64 v[0:1], v[8:9], s[16:17]
	s_lshl_b64 s[18:19], s[0:1], 3
	v_cmp_eq_u32_e64 s0, 1, v8
	v_lshlrev_b32_e32 v18, 2, v7
	s_wait_kmcnt 0x0
	s_lshl_b32 s13, s13, 7
	s_sub_nc_u64 s[10:11], s[10:11], s[18:19]
	s_mov_b32 s18, s17
	s_branch .LBB308_9
.LBB308_7:                              ;   in Loop: Header=BB308_9 Depth=1
	s_wait_xcnt 0x0
	s_or_b32 exec_lo, exec_lo, s19
	global_store_b64 v[10:11], v[8:9], off
.LBB308_8:                              ;   in Loop: Header=BB308_9 Depth=1
	s_wait_xcnt 0x0
	s_or_b32 exec_lo, exec_lo, s1
	v_add_nc_u32_e32 v6, s13, v6
	s_delay_alu instid0(VALU_DEP_1) | instskip(SKIP_1) | instid1(SALU_CYCLE_1)
	v_cmp_le_i32_e64 s1, s12, v6
	s_or_b32 s18, s1, s18
	s_and_not1_b32 exec_lo, exec_lo, s18
	s_cbranch_execz .LBB308_16
.LBB308_9:                              ; =>This Loop Header: Depth=1
                                        ;     Child Loop BB308_11 Depth 2
	s_clause 0x1
	global_load_b64 v[8:9], v6, s[4:5] scale_offset
	global_load_b64 v[12:13], v6, s[14:15] scale_offset
	s_mov_b32 s19, exec_lo
	s_wait_loadcnt_dscnt 0x100
	v_sub_nc_u64_e64 v[10:11], v[8:9], s[16:17]
	s_wait_loadcnt 0x0
	v_add_nc_u64_e32 v[12:13], v[12:13], v[0:1]
	v_mov_b64_e32 v[8:9], 0
	s_wait_xcnt 0x0
	s_delay_alu instid0(VALU_DEP_2)
	v_cmpx_lt_i64_e64 v[12:13], v[10:11]
	s_cbranch_execz .LBB308_13
; %bb.10:                               ;   in Loop: Header=BB308_9 Depth=1
	v_lshlrev_b64_e32 v[8:9], 2, v[12:13]
	s_mov_b32 s20, 0
	s_delay_alu instid0(VALU_DEP_1)
	v_add_nc_u64_e32 v[14:15], s[8:9], v[8:9]
	v_add_nc_u64_e32 v[16:17], s[6:7], v[8:9]
	v_mov_b64_e32 v[8:9], 0
.LBB308_11:                             ;   Parent Loop BB308_9 Depth=1
                                        ; =>  This Inner Loop Header: Depth=2
	global_load_b32 v7, v[16:17], off
	global_load_b32 v19, v[14:15], off
	v_add_nc_u64_e32 v[12:13], 2, v[12:13]
	s_wait_xcnt 0x0
	v_add_nc_u64_e32 v[14:15], 8, v[14:15]
	v_add_nc_u64_e32 v[16:17], 8, v[16:17]
	s_delay_alu instid0(VALU_DEP_3)
	v_cmp_ge_i64_e64 s1, v[12:13], v[10:11]
	s_or_b32 s20, s1, s20
	s_wait_loadcnt 0x1
	global_load_b64 v[20:21], v7, s[10:11] scale_offset
	s_wait_loadcnt 0x1
	v_cvt_f64_f32_e32 v[22:23], v19
	s_delay_alu instid0(VALU_DEP_1) | instskip(SKIP_1) | instid1(VALU_DEP_1)
	v_mul_f64_e32 v[22:23], v[2:3], v[22:23]
	s_wait_loadcnt 0x0
	v_fmac_f64_e32 v[8:9], v[22:23], v[20:21]
	s_wait_xcnt 0x0
	s_and_not1_b32 exec_lo, exec_lo, s20
	s_cbranch_execnz .LBB308_11
; %bb.12:                               ;   in Loop: Header=BB308_9 Depth=1
	s_or_b32 exec_lo, exec_lo, s20
.LBB308_13:                             ;   in Loop: Header=BB308_9 Depth=1
	s_delay_alu instid0(SALU_CYCLE_1)
	s_or_b32 exec_lo, exec_lo, s19
	ds_bpermute_b32 v10, v18, v8
	ds_bpermute_b32 v11, v18, v9
	v_ashrrev_i32_e32 v7, 31, v6
	s_and_saveexec_b32 s1, s0
	s_cbranch_execz .LBB308_8
; %bb.14:                               ;   in Loop: Header=BB308_9 Depth=1
	s_wait_dscnt 0x0
	v_add_f64_e32 v[8:9], v[8:9], v[10:11]
	v_lshl_add_u64 v[10:11], v[6:7], 3, s[2:3]
	s_and_saveexec_b32 s19, vcc_lo
	s_cbranch_execz .LBB308_7
; %bb.15:                               ;   in Loop: Header=BB308_9 Depth=1
	global_load_b64 v[12:13], v[10:11], off
	s_wait_loadcnt 0x0
	v_fmac_f64_e32 v[8:9], v[4:5], v[12:13]
	s_branch .LBB308_7
.LBB308_16:
	s_endpgm
	.section	.rodata,"a",@progbits
	.p2align	6, 0x0
	.amdhsa_kernel _ZN9rocsparseL21csrmvn_general_kernelILj256ELj2ElifdddEEvbT2_NS_24const_host_device_scalarIT6_EEPKT1_S7_PKS1_PKT3_PKT4_S4_PT5_21rocsparse_index_base_b
		.amdhsa_group_segment_fixed_size 0
		.amdhsa_private_segment_fixed_size 0
		.amdhsa_kernarg_size 336
		.amdhsa_user_sgpr_count 2
		.amdhsa_user_sgpr_dispatch_ptr 0
		.amdhsa_user_sgpr_queue_ptr 0
		.amdhsa_user_sgpr_kernarg_segment_ptr 1
		.amdhsa_user_sgpr_dispatch_id 0
		.amdhsa_user_sgpr_kernarg_preload_length 0
		.amdhsa_user_sgpr_kernarg_preload_offset 0
		.amdhsa_user_sgpr_private_segment_size 0
		.amdhsa_wavefront_size32 1
		.amdhsa_uses_dynamic_stack 0
		.amdhsa_enable_private_segment 0
		.amdhsa_system_sgpr_workgroup_id_x 1
		.amdhsa_system_sgpr_workgroup_id_y 0
		.amdhsa_system_sgpr_workgroup_id_z 0
		.amdhsa_system_sgpr_workgroup_info 0
		.amdhsa_system_vgpr_workitem_id 0
		.amdhsa_next_free_vgpr 24
		.amdhsa_next_free_sgpr 21
		.amdhsa_named_barrier_count 0
		.amdhsa_reserve_vcc 1
		.amdhsa_float_round_mode_32 0
		.amdhsa_float_round_mode_16_64 0
		.amdhsa_float_denorm_mode_32 3
		.amdhsa_float_denorm_mode_16_64 3
		.amdhsa_fp16_overflow 0
		.amdhsa_memory_ordered 1
		.amdhsa_forward_progress 1
		.amdhsa_inst_pref_size 6
		.amdhsa_round_robin_scheduling 0
		.amdhsa_exception_fp_ieee_invalid_op 0
		.amdhsa_exception_fp_denorm_src 0
		.amdhsa_exception_fp_ieee_div_zero 0
		.amdhsa_exception_fp_ieee_overflow 0
		.amdhsa_exception_fp_ieee_underflow 0
		.amdhsa_exception_fp_ieee_inexact 0
		.amdhsa_exception_int_div_zero 0
	.end_amdhsa_kernel
	.section	.text._ZN9rocsparseL21csrmvn_general_kernelILj256ELj2ElifdddEEvbT2_NS_24const_host_device_scalarIT6_EEPKT1_S7_PKS1_PKT3_PKT4_S4_PT5_21rocsparse_index_base_b,"axG",@progbits,_ZN9rocsparseL21csrmvn_general_kernelILj256ELj2ElifdddEEvbT2_NS_24const_host_device_scalarIT6_EEPKT1_S7_PKS1_PKT3_PKT4_S4_PT5_21rocsparse_index_base_b,comdat
.Lfunc_end308:
	.size	_ZN9rocsparseL21csrmvn_general_kernelILj256ELj2ElifdddEEvbT2_NS_24const_host_device_scalarIT6_EEPKT1_S7_PKS1_PKT3_PKT4_S4_PT5_21rocsparse_index_base_b, .Lfunc_end308-_ZN9rocsparseL21csrmvn_general_kernelILj256ELj2ElifdddEEvbT2_NS_24const_host_device_scalarIT6_EEPKT1_S7_PKS1_PKT3_PKT4_S4_PT5_21rocsparse_index_base_b
                                        ; -- End function
	.set _ZN9rocsparseL21csrmvn_general_kernelILj256ELj2ElifdddEEvbT2_NS_24const_host_device_scalarIT6_EEPKT1_S7_PKS1_PKT3_PKT4_S4_PT5_21rocsparse_index_base_b.num_vgpr, 24
	.set _ZN9rocsparseL21csrmvn_general_kernelILj256ELj2ElifdddEEvbT2_NS_24const_host_device_scalarIT6_EEPKT1_S7_PKS1_PKT3_PKT4_S4_PT5_21rocsparse_index_base_b.num_agpr, 0
	.set _ZN9rocsparseL21csrmvn_general_kernelILj256ELj2ElifdddEEvbT2_NS_24const_host_device_scalarIT6_EEPKT1_S7_PKS1_PKT3_PKT4_S4_PT5_21rocsparse_index_base_b.numbered_sgpr, 21
	.set _ZN9rocsparseL21csrmvn_general_kernelILj256ELj2ElifdddEEvbT2_NS_24const_host_device_scalarIT6_EEPKT1_S7_PKS1_PKT3_PKT4_S4_PT5_21rocsparse_index_base_b.num_named_barrier, 0
	.set _ZN9rocsparseL21csrmvn_general_kernelILj256ELj2ElifdddEEvbT2_NS_24const_host_device_scalarIT6_EEPKT1_S7_PKS1_PKT3_PKT4_S4_PT5_21rocsparse_index_base_b.private_seg_size, 0
	.set _ZN9rocsparseL21csrmvn_general_kernelILj256ELj2ElifdddEEvbT2_NS_24const_host_device_scalarIT6_EEPKT1_S7_PKS1_PKT3_PKT4_S4_PT5_21rocsparse_index_base_b.uses_vcc, 1
	.set _ZN9rocsparseL21csrmvn_general_kernelILj256ELj2ElifdddEEvbT2_NS_24const_host_device_scalarIT6_EEPKT1_S7_PKS1_PKT3_PKT4_S4_PT5_21rocsparse_index_base_b.uses_flat_scratch, 0
	.set _ZN9rocsparseL21csrmvn_general_kernelILj256ELj2ElifdddEEvbT2_NS_24const_host_device_scalarIT6_EEPKT1_S7_PKS1_PKT3_PKT4_S4_PT5_21rocsparse_index_base_b.has_dyn_sized_stack, 0
	.set _ZN9rocsparseL21csrmvn_general_kernelILj256ELj2ElifdddEEvbT2_NS_24const_host_device_scalarIT6_EEPKT1_S7_PKS1_PKT3_PKT4_S4_PT5_21rocsparse_index_base_b.has_recursion, 0
	.set _ZN9rocsparseL21csrmvn_general_kernelILj256ELj2ElifdddEEvbT2_NS_24const_host_device_scalarIT6_EEPKT1_S7_PKS1_PKT3_PKT4_S4_PT5_21rocsparse_index_base_b.has_indirect_call, 0
	.section	.AMDGPU.csdata,"",@progbits
; Kernel info:
; codeLenInByte = 716
; TotalNumSgprs: 23
; NumVgprs: 24
; ScratchSize: 0
; MemoryBound: 1
; FloatMode: 240
; IeeeMode: 1
; LDSByteSize: 0 bytes/workgroup (compile time only)
; SGPRBlocks: 0
; VGPRBlocks: 1
; NumSGPRsForWavesPerEU: 23
; NumVGPRsForWavesPerEU: 24
; NamedBarCnt: 0
; Occupancy: 16
; WaveLimiterHint : 1
; COMPUTE_PGM_RSRC2:SCRATCH_EN: 0
; COMPUTE_PGM_RSRC2:USER_SGPR: 2
; COMPUTE_PGM_RSRC2:TRAP_HANDLER: 0
; COMPUTE_PGM_RSRC2:TGID_X_EN: 1
; COMPUTE_PGM_RSRC2:TGID_Y_EN: 0
; COMPUTE_PGM_RSRC2:TGID_Z_EN: 0
; COMPUTE_PGM_RSRC2:TIDIG_COMP_CNT: 0
	.section	.text._ZN9rocsparseL21csrmvn_general_kernelILj256ELj4ElifdddEEvbT2_NS_24const_host_device_scalarIT6_EEPKT1_S7_PKS1_PKT3_PKT4_S4_PT5_21rocsparse_index_base_b,"axG",@progbits,_ZN9rocsparseL21csrmvn_general_kernelILj256ELj4ElifdddEEvbT2_NS_24const_host_device_scalarIT6_EEPKT1_S7_PKS1_PKT3_PKT4_S4_PT5_21rocsparse_index_base_b,comdat
	.globl	_ZN9rocsparseL21csrmvn_general_kernelILj256ELj4ElifdddEEvbT2_NS_24const_host_device_scalarIT6_EEPKT1_S7_PKS1_PKT3_PKT4_S4_PT5_21rocsparse_index_base_b ; -- Begin function _ZN9rocsparseL21csrmvn_general_kernelILj256ELj4ElifdddEEvbT2_NS_24const_host_device_scalarIT6_EEPKT1_S7_PKS1_PKT3_PKT4_S4_PT5_21rocsparse_index_base_b
	.p2align	8
	.type	_ZN9rocsparseL21csrmvn_general_kernelILj256ELj4ElifdddEEvbT2_NS_24const_host_device_scalarIT6_EEPKT1_S7_PKS1_PKT3_PKT4_S4_PT5_21rocsparse_index_base_b,@function
_ZN9rocsparseL21csrmvn_general_kernelILj256ELj4ElifdddEEvbT2_NS_24const_host_device_scalarIT6_EEPKT1_S7_PKS1_PKT3_PKT4_S4_PT5_21rocsparse_index_base_b: ; @_ZN9rocsparseL21csrmvn_general_kernelILj256ELj4ElifdddEEvbT2_NS_24const_host_device_scalarIT6_EEPKT1_S7_PKS1_PKT3_PKT4_S4_PT5_21rocsparse_index_base_b
; %bb.0:
	s_clause 0x2
	s_load_b64 s[16:17], s[0:1], 0x48
	s_load_b128 s[12:15], s[0:1], 0x8
	s_load_b64 s[2:3], s[0:1], 0x38
	s_wait_kmcnt 0x0
	s_bitcmp1_b32 s17, 0
	v_mov_b64_e32 v[2:3], s[12:13]
	s_cselect_b32 s4, -1, 0
	s_delay_alu instid0(SALU_CYCLE_1)
	s_and_b32 vcc_lo, exec_lo, s4
	s_xor_b32 s4, s4, -1
	s_cbranch_vccnz .LBB309_2
; %bb.1:
	v_mov_b32_e32 v1, 0
	flat_load_b64 v[2:3], v1, s[12:13]
.LBB309_2:
	v_mov_b64_e32 v[4:5], s[2:3]
	s_and_not1_b32 vcc_lo, exec_lo, s4
	s_cbranch_vccnz .LBB309_4
; %bb.3:
	s_wait_xcnt 0x0
	v_mov_b32_e32 v1, 0
	flat_load_b64 v[4:5], v1, s[2:3]
.LBB309_4:
	s_wait_loadcnt_dscnt 0x0
	v_cmp_neq_f64_e32 vcc_lo, 0, v[2:3]
	s_delay_alu instid0(VALU_DEP_2) | instskip(SKIP_1) | instid1(SALU_CYCLE_1)
	v_cmp_neq_f64_e64 s2, 1.0, v[4:5]
	s_or_b32 s2, vcc_lo, s2
	s_and_saveexec_b32 s3, s2
	s_cbranch_execz .LBB309_16
; %bb.5:
	s_bfe_u32 s2, ttmp6, 0x4000c
	s_load_b32 s12, s[0:1], 0x4
	s_add_co_i32 s2, s2, 1
	s_and_b32 s3, ttmp6, 15
	s_mul_i32 s2, ttmp9, s2
	s_getreg_b32 s4, hwreg(HW_REG_IB_STS2, 6, 4)
	s_add_co_i32 s3, s3, s2
	s_cmp_eq_u32 s4, 0
	s_mov_b32 s17, 0
	s_cselect_b32 s2, ttmp9, s3
	s_delay_alu instid0(SALU_CYCLE_1) | instskip(NEXT) | instid1(VALU_DEP_1)
	v_lshl_or_b32 v1, s2, 8, v0
	v_lshrrev_b32_e32 v6, 2, v1
	s_wait_kmcnt 0x0
	s_delay_alu instid0(VALU_DEP_1)
	v_cmp_gt_i32_e32 vcc_lo, s12, v6
	s_and_b32 exec_lo, exec_lo, vcc_lo
	s_cbranch_execz .LBB309_16
; %bb.6:
	v_mbcnt_lo_u32_b32 v1, -1, 0
	s_clause 0x2
	s_load_b32 s13, s[0:1], 0x50
	s_load_b256 s[4:11], s[0:1], 0x18
	s_load_b64 s[2:3], s[0:1], 0x40
	s_wait_xcnt 0x0
	s_ashr_i32 s1, s16, 31
	v_cmp_neq_f64_e32 vcc_lo, 0, v[4:5]
	v_dual_mov_b32 v9, 0 :: v_dual_bitop2_b32 v7, 2, v1 bitop3:0x14
	s_delay_alu instid0(VALU_DEP_1) | instskip(NEXT) | instid1(VALU_DEP_1)
	v_cmp_gt_i32_e64 s0, 32, v7
	v_dual_cndmask_b32 v7, v1, v7, s0 :: v_dual_bitop2_b32 v8, 3, v0 bitop3:0x40
	s_delay_alu instid0(VALU_DEP_1) | instskip(NEXT) | instid1(VALU_DEP_1)
	v_dual_lshlrev_b32 v18, 2, v7 :: v_dual_bitop2_b32 v0, 1, v1 bitop3:0x14
	v_cmp_gt_i32_e64 s0, 32, v0
	s_wait_kmcnt 0x0
	s_lshl_b32 s13, s13, 6
	v_cndmask_b32_e64 v10, v1, v0, s0
	s_mov_b32 s0, s16
	v_sub_nc_u64_e64 v[0:1], v[8:9], s[16:17]
	s_lshl_b64 s[18:19], s[0:1], 3
	v_cmp_eq_u32_e64 s0, 3, v8
	v_lshlrev_b32_e32 v19, 2, v10
	s_sub_nc_u64 s[10:11], s[10:11], s[18:19]
	s_mov_b32 s18, s17
	s_branch .LBB309_9
.LBB309_7:                              ;   in Loop: Header=BB309_9 Depth=1
	s_wait_xcnt 0x0
	s_or_b32 exec_lo, exec_lo, s19
	global_store_b64 v[10:11], v[8:9], off
.LBB309_8:                              ;   in Loop: Header=BB309_9 Depth=1
	s_wait_xcnt 0x0
	s_or_b32 exec_lo, exec_lo, s1
	v_add_nc_u32_e32 v6, s13, v6
	s_delay_alu instid0(VALU_DEP_1) | instskip(SKIP_1) | instid1(SALU_CYCLE_1)
	v_cmp_le_i32_e64 s1, s12, v6
	s_or_b32 s18, s1, s18
	s_and_not1_b32 exec_lo, exec_lo, s18
	s_cbranch_execz .LBB309_16
.LBB309_9:                              ; =>This Loop Header: Depth=1
                                        ;     Child Loop BB309_11 Depth 2
	s_clause 0x1
	global_load_b64 v[8:9], v6, s[4:5] scale_offset
	global_load_b64 v[12:13], v6, s[14:15] scale_offset
	s_mov_b32 s19, exec_lo
	s_wait_loadcnt_dscnt 0x100
	v_sub_nc_u64_e64 v[10:11], v[8:9], s[16:17]
	s_wait_loadcnt 0x0
	v_add_nc_u64_e32 v[12:13], v[12:13], v[0:1]
	v_mov_b64_e32 v[8:9], 0
	s_wait_xcnt 0x0
	s_delay_alu instid0(VALU_DEP_2)
	v_cmpx_lt_i64_e64 v[12:13], v[10:11]
	s_cbranch_execz .LBB309_13
; %bb.10:                               ;   in Loop: Header=BB309_9 Depth=1
	v_lshlrev_b64_e32 v[8:9], 2, v[12:13]
	s_mov_b32 s20, 0
	s_delay_alu instid0(VALU_DEP_1)
	v_add_nc_u64_e32 v[14:15], s[8:9], v[8:9]
	v_add_nc_u64_e32 v[16:17], s[6:7], v[8:9]
	v_mov_b64_e32 v[8:9], 0
.LBB309_11:                             ;   Parent Loop BB309_9 Depth=1
                                        ; =>  This Inner Loop Header: Depth=2
	global_load_b32 v7, v[16:17], off
	global_load_b32 v22, v[14:15], off
	v_add_nc_u64_e32 v[12:13], 4, v[12:13]
	s_wait_xcnt 0x0
	v_add_nc_u64_e32 v[14:15], 16, v[14:15]
	v_add_nc_u64_e32 v[16:17], 16, v[16:17]
	s_delay_alu instid0(VALU_DEP_3)
	v_cmp_ge_i64_e64 s1, v[12:13], v[10:11]
	s_or_b32 s20, s1, s20
	s_wait_loadcnt 0x1
	global_load_b64 v[20:21], v7, s[10:11] scale_offset
	s_wait_loadcnt 0x1
	v_cvt_f64_f32_e32 v[22:23], v22
	s_delay_alu instid0(VALU_DEP_1) | instskip(SKIP_1) | instid1(VALU_DEP_1)
	v_mul_f64_e32 v[22:23], v[2:3], v[22:23]
	s_wait_loadcnt 0x0
	v_fmac_f64_e32 v[8:9], v[22:23], v[20:21]
	s_wait_xcnt 0x0
	s_and_not1_b32 exec_lo, exec_lo, s20
	s_cbranch_execnz .LBB309_11
; %bb.12:                               ;   in Loop: Header=BB309_9 Depth=1
	s_or_b32 exec_lo, exec_lo, s20
.LBB309_13:                             ;   in Loop: Header=BB309_9 Depth=1
	s_delay_alu instid0(SALU_CYCLE_1)
	s_or_b32 exec_lo, exec_lo, s19
	ds_bpermute_b32 v10, v18, v8
	ds_bpermute_b32 v11, v18, v9
	v_ashrrev_i32_e32 v7, 31, v6
	s_wait_dscnt 0x0
	v_add_f64_e32 v[8:9], v[8:9], v[10:11]
	ds_bpermute_b32 v10, v19, v8
	ds_bpermute_b32 v11, v19, v9
	s_and_saveexec_b32 s1, s0
	s_cbranch_execz .LBB309_8
; %bb.14:                               ;   in Loop: Header=BB309_9 Depth=1
	s_wait_dscnt 0x0
	v_add_f64_e32 v[8:9], v[8:9], v[10:11]
	v_lshl_add_u64 v[10:11], v[6:7], 3, s[2:3]
	s_and_saveexec_b32 s19, vcc_lo
	s_cbranch_execz .LBB309_7
; %bb.15:                               ;   in Loop: Header=BB309_9 Depth=1
	global_load_b64 v[12:13], v[10:11], off
	s_wait_loadcnt 0x0
	v_fmac_f64_e32 v[8:9], v[4:5], v[12:13]
	s_branch .LBB309_7
.LBB309_16:
	s_endpgm
	.section	.rodata,"a",@progbits
	.p2align	6, 0x0
	.amdhsa_kernel _ZN9rocsparseL21csrmvn_general_kernelILj256ELj4ElifdddEEvbT2_NS_24const_host_device_scalarIT6_EEPKT1_S7_PKS1_PKT3_PKT4_S4_PT5_21rocsparse_index_base_b
		.amdhsa_group_segment_fixed_size 0
		.amdhsa_private_segment_fixed_size 0
		.amdhsa_kernarg_size 336
		.amdhsa_user_sgpr_count 2
		.amdhsa_user_sgpr_dispatch_ptr 0
		.amdhsa_user_sgpr_queue_ptr 0
		.amdhsa_user_sgpr_kernarg_segment_ptr 1
		.amdhsa_user_sgpr_dispatch_id 0
		.amdhsa_user_sgpr_kernarg_preload_length 0
		.amdhsa_user_sgpr_kernarg_preload_offset 0
		.amdhsa_user_sgpr_private_segment_size 0
		.amdhsa_wavefront_size32 1
		.amdhsa_uses_dynamic_stack 0
		.amdhsa_enable_private_segment 0
		.amdhsa_system_sgpr_workgroup_id_x 1
		.amdhsa_system_sgpr_workgroup_id_y 0
		.amdhsa_system_sgpr_workgroup_id_z 0
		.amdhsa_system_sgpr_workgroup_info 0
		.amdhsa_system_vgpr_workitem_id 0
		.amdhsa_next_free_vgpr 24
		.amdhsa_next_free_sgpr 21
		.amdhsa_named_barrier_count 0
		.amdhsa_reserve_vcc 1
		.amdhsa_float_round_mode_32 0
		.amdhsa_float_round_mode_16_64 0
		.amdhsa_float_denorm_mode_32 3
		.amdhsa_float_denorm_mode_16_64 3
		.amdhsa_fp16_overflow 0
		.amdhsa_memory_ordered 1
		.amdhsa_forward_progress 1
		.amdhsa_inst_pref_size 6
		.amdhsa_round_robin_scheduling 0
		.amdhsa_exception_fp_ieee_invalid_op 0
		.amdhsa_exception_fp_denorm_src 0
		.amdhsa_exception_fp_ieee_div_zero 0
		.amdhsa_exception_fp_ieee_overflow 0
		.amdhsa_exception_fp_ieee_underflow 0
		.amdhsa_exception_fp_ieee_inexact 0
		.amdhsa_exception_int_div_zero 0
	.end_amdhsa_kernel
	.section	.text._ZN9rocsparseL21csrmvn_general_kernelILj256ELj4ElifdddEEvbT2_NS_24const_host_device_scalarIT6_EEPKT1_S7_PKS1_PKT3_PKT4_S4_PT5_21rocsparse_index_base_b,"axG",@progbits,_ZN9rocsparseL21csrmvn_general_kernelILj256ELj4ElifdddEEvbT2_NS_24const_host_device_scalarIT6_EEPKT1_S7_PKS1_PKT3_PKT4_S4_PT5_21rocsparse_index_base_b,comdat
.Lfunc_end309:
	.size	_ZN9rocsparseL21csrmvn_general_kernelILj256ELj4ElifdddEEvbT2_NS_24const_host_device_scalarIT6_EEPKT1_S7_PKS1_PKT3_PKT4_S4_PT5_21rocsparse_index_base_b, .Lfunc_end309-_ZN9rocsparseL21csrmvn_general_kernelILj256ELj4ElifdddEEvbT2_NS_24const_host_device_scalarIT6_EEPKT1_S7_PKS1_PKT3_PKT4_S4_PT5_21rocsparse_index_base_b
                                        ; -- End function
	.set _ZN9rocsparseL21csrmvn_general_kernelILj256ELj4ElifdddEEvbT2_NS_24const_host_device_scalarIT6_EEPKT1_S7_PKS1_PKT3_PKT4_S4_PT5_21rocsparse_index_base_b.num_vgpr, 24
	.set _ZN9rocsparseL21csrmvn_general_kernelILj256ELj4ElifdddEEvbT2_NS_24const_host_device_scalarIT6_EEPKT1_S7_PKS1_PKT3_PKT4_S4_PT5_21rocsparse_index_base_b.num_agpr, 0
	.set _ZN9rocsparseL21csrmvn_general_kernelILj256ELj4ElifdddEEvbT2_NS_24const_host_device_scalarIT6_EEPKT1_S7_PKS1_PKT3_PKT4_S4_PT5_21rocsparse_index_base_b.numbered_sgpr, 21
	.set _ZN9rocsparseL21csrmvn_general_kernelILj256ELj4ElifdddEEvbT2_NS_24const_host_device_scalarIT6_EEPKT1_S7_PKS1_PKT3_PKT4_S4_PT5_21rocsparse_index_base_b.num_named_barrier, 0
	.set _ZN9rocsparseL21csrmvn_general_kernelILj256ELj4ElifdddEEvbT2_NS_24const_host_device_scalarIT6_EEPKT1_S7_PKS1_PKT3_PKT4_S4_PT5_21rocsparse_index_base_b.private_seg_size, 0
	.set _ZN9rocsparseL21csrmvn_general_kernelILj256ELj4ElifdddEEvbT2_NS_24const_host_device_scalarIT6_EEPKT1_S7_PKS1_PKT3_PKT4_S4_PT5_21rocsparse_index_base_b.uses_vcc, 1
	.set _ZN9rocsparseL21csrmvn_general_kernelILj256ELj4ElifdddEEvbT2_NS_24const_host_device_scalarIT6_EEPKT1_S7_PKS1_PKT3_PKT4_S4_PT5_21rocsparse_index_base_b.uses_flat_scratch, 0
	.set _ZN9rocsparseL21csrmvn_general_kernelILj256ELj4ElifdddEEvbT2_NS_24const_host_device_scalarIT6_EEPKT1_S7_PKS1_PKT3_PKT4_S4_PT5_21rocsparse_index_base_b.has_dyn_sized_stack, 0
	.set _ZN9rocsparseL21csrmvn_general_kernelILj256ELj4ElifdddEEvbT2_NS_24const_host_device_scalarIT6_EEPKT1_S7_PKS1_PKT3_PKT4_S4_PT5_21rocsparse_index_base_b.has_recursion, 0
	.set _ZN9rocsparseL21csrmvn_general_kernelILj256ELj4ElifdddEEvbT2_NS_24const_host_device_scalarIT6_EEPKT1_S7_PKS1_PKT3_PKT4_S4_PT5_21rocsparse_index_base_b.has_indirect_call, 0
	.section	.AMDGPU.csdata,"",@progbits
; Kernel info:
; codeLenInByte = 768
; TotalNumSgprs: 23
; NumVgprs: 24
; ScratchSize: 0
; MemoryBound: 1
; FloatMode: 240
; IeeeMode: 1
; LDSByteSize: 0 bytes/workgroup (compile time only)
; SGPRBlocks: 0
; VGPRBlocks: 1
; NumSGPRsForWavesPerEU: 23
; NumVGPRsForWavesPerEU: 24
; NamedBarCnt: 0
; Occupancy: 16
; WaveLimiterHint : 1
; COMPUTE_PGM_RSRC2:SCRATCH_EN: 0
; COMPUTE_PGM_RSRC2:USER_SGPR: 2
; COMPUTE_PGM_RSRC2:TRAP_HANDLER: 0
; COMPUTE_PGM_RSRC2:TGID_X_EN: 1
; COMPUTE_PGM_RSRC2:TGID_Y_EN: 0
; COMPUTE_PGM_RSRC2:TGID_Z_EN: 0
; COMPUTE_PGM_RSRC2:TIDIG_COMP_CNT: 0
	.section	.text._ZN9rocsparseL21csrmvn_general_kernelILj256ELj8ElifdddEEvbT2_NS_24const_host_device_scalarIT6_EEPKT1_S7_PKS1_PKT3_PKT4_S4_PT5_21rocsparse_index_base_b,"axG",@progbits,_ZN9rocsparseL21csrmvn_general_kernelILj256ELj8ElifdddEEvbT2_NS_24const_host_device_scalarIT6_EEPKT1_S7_PKS1_PKT3_PKT4_S4_PT5_21rocsparse_index_base_b,comdat
	.globl	_ZN9rocsparseL21csrmvn_general_kernelILj256ELj8ElifdddEEvbT2_NS_24const_host_device_scalarIT6_EEPKT1_S7_PKS1_PKT3_PKT4_S4_PT5_21rocsparse_index_base_b ; -- Begin function _ZN9rocsparseL21csrmvn_general_kernelILj256ELj8ElifdddEEvbT2_NS_24const_host_device_scalarIT6_EEPKT1_S7_PKS1_PKT3_PKT4_S4_PT5_21rocsparse_index_base_b
	.p2align	8
	.type	_ZN9rocsparseL21csrmvn_general_kernelILj256ELj8ElifdddEEvbT2_NS_24const_host_device_scalarIT6_EEPKT1_S7_PKS1_PKT3_PKT4_S4_PT5_21rocsparse_index_base_b,@function
_ZN9rocsparseL21csrmvn_general_kernelILj256ELj8ElifdddEEvbT2_NS_24const_host_device_scalarIT6_EEPKT1_S7_PKS1_PKT3_PKT4_S4_PT5_21rocsparse_index_base_b: ; @_ZN9rocsparseL21csrmvn_general_kernelILj256ELj8ElifdddEEvbT2_NS_24const_host_device_scalarIT6_EEPKT1_S7_PKS1_PKT3_PKT4_S4_PT5_21rocsparse_index_base_b
; %bb.0:
	s_clause 0x2
	s_load_b64 s[16:17], s[0:1], 0x48
	s_load_b128 s[12:15], s[0:1], 0x8
	s_load_b64 s[2:3], s[0:1], 0x38
	s_wait_kmcnt 0x0
	s_bitcmp1_b32 s17, 0
	v_mov_b64_e32 v[2:3], s[12:13]
	s_cselect_b32 s4, -1, 0
	s_delay_alu instid0(SALU_CYCLE_1)
	s_and_b32 vcc_lo, exec_lo, s4
	s_xor_b32 s4, s4, -1
	s_cbranch_vccnz .LBB310_2
; %bb.1:
	v_mov_b32_e32 v1, 0
	flat_load_b64 v[2:3], v1, s[12:13]
.LBB310_2:
	v_mov_b64_e32 v[4:5], s[2:3]
	s_and_not1_b32 vcc_lo, exec_lo, s4
	s_cbranch_vccnz .LBB310_4
; %bb.3:
	s_wait_xcnt 0x0
	v_mov_b32_e32 v1, 0
	flat_load_b64 v[4:5], v1, s[2:3]
.LBB310_4:
	s_wait_loadcnt_dscnt 0x0
	v_cmp_neq_f64_e32 vcc_lo, 0, v[2:3]
	s_delay_alu instid0(VALU_DEP_2) | instskip(SKIP_1) | instid1(SALU_CYCLE_1)
	v_cmp_neq_f64_e64 s2, 1.0, v[4:5]
	s_or_b32 s2, vcc_lo, s2
	s_and_saveexec_b32 s3, s2
	s_cbranch_execz .LBB310_16
; %bb.5:
	s_bfe_u32 s2, ttmp6, 0x4000c
	s_load_b32 s12, s[0:1], 0x4
	s_add_co_i32 s2, s2, 1
	s_and_b32 s3, ttmp6, 15
	s_mul_i32 s2, ttmp9, s2
	s_getreg_b32 s4, hwreg(HW_REG_IB_STS2, 6, 4)
	s_add_co_i32 s3, s3, s2
	s_cmp_eq_u32 s4, 0
	s_mov_b32 s17, 0
	s_cselect_b32 s2, ttmp9, s3
	s_delay_alu instid0(SALU_CYCLE_1) | instskip(NEXT) | instid1(VALU_DEP_1)
	v_lshl_or_b32 v1, s2, 8, v0
	v_lshrrev_b32_e32 v6, 3, v1
	s_wait_kmcnt 0x0
	s_delay_alu instid0(VALU_DEP_1)
	v_cmp_gt_i32_e32 vcc_lo, s12, v6
	s_and_b32 exec_lo, exec_lo, vcc_lo
	s_cbranch_execz .LBB310_16
; %bb.6:
	v_mbcnt_lo_u32_b32 v1, -1, 0
	v_dual_mov_b32 v9, 0 :: v_dual_bitop2_b32 v8, 7, v0 bitop3:0x40
	s_clause 0x2
	s_load_b256 s[4:11], s[0:1], 0x18
	s_load_b64 s[2:3], s[0:1], 0x40
	s_load_b32 s13, s[0:1], 0x50
	v_xor_b32_e32 v7, 2, v1
	v_xor_b32_e32 v0, 4, v1
	s_ashr_i32 s19, s16, 31
	s_mov_b32 s18, s16
	v_cmp_neq_f64_e32 vcc_lo, 0, v[4:5]
	s_lshl_b64 s[18:19], s[18:19], 3
	s_wait_xcnt 0x0
	v_cmp_gt_i32_e64 s0, 32, v0
	s_delay_alu instid0(VALU_DEP_1) | instskip(SKIP_1) | instid1(VALU_DEP_2)
	v_dual_cndmask_b32 v11, v1, v0, s0 :: v_dual_bitop2_b32 v10, 1, v1 bitop3:0x14
	v_cmp_gt_i32_e64 s0, 32, v7
	v_lshlrev_b32_e32 v18, 2, v11
	s_delay_alu instid0(VALU_DEP_2) | instskip(NEXT) | instid1(VALU_DEP_4)
	v_cndmask_b32_e64 v7, v1, v7, s0
	v_cmp_gt_i32_e64 s0, 32, v10
	s_wait_kmcnt 0x0
	s_lshl_b32 s13, s13, 5
	s_sub_nc_u64 s[10:11], s[10:11], s[18:19]
	s_mov_b32 s18, s17
	v_dual_lshlrev_b32 v19, 2, v7 :: v_dual_cndmask_b32 v10, v1, v10, s0
	v_sub_nc_u64_e64 v[0:1], v[8:9], s[16:17]
	v_cmp_eq_u32_e64 s0, 7, v8
	s_delay_alu instid0(VALU_DEP_3)
	v_lshlrev_b32_e32 v20, 2, v10
	s_branch .LBB310_9
.LBB310_7:                              ;   in Loop: Header=BB310_9 Depth=1
	s_wait_xcnt 0x0
	s_or_b32 exec_lo, exec_lo, s19
	global_store_b64 v[10:11], v[8:9], off
.LBB310_8:                              ;   in Loop: Header=BB310_9 Depth=1
	s_wait_xcnt 0x0
	s_or_b32 exec_lo, exec_lo, s1
	v_add_nc_u32_e32 v6, s13, v6
	s_delay_alu instid0(VALU_DEP_1) | instskip(SKIP_1) | instid1(SALU_CYCLE_1)
	v_cmp_le_i32_e64 s1, s12, v6
	s_or_b32 s18, s1, s18
	s_and_not1_b32 exec_lo, exec_lo, s18
	s_cbranch_execz .LBB310_16
.LBB310_9:                              ; =>This Loop Header: Depth=1
                                        ;     Child Loop BB310_11 Depth 2
	s_clause 0x1
	global_load_b64 v[8:9], v6, s[4:5] scale_offset
	global_load_b64 v[12:13], v6, s[14:15] scale_offset
	s_mov_b32 s19, exec_lo
	s_wait_loadcnt_dscnt 0x100
	v_sub_nc_u64_e64 v[10:11], v[8:9], s[16:17]
	s_wait_loadcnt 0x0
	v_add_nc_u64_e32 v[12:13], v[12:13], v[0:1]
	v_mov_b64_e32 v[8:9], 0
	s_wait_xcnt 0x0
	s_delay_alu instid0(VALU_DEP_2)
	v_cmpx_lt_i64_e64 v[12:13], v[10:11]
	s_cbranch_execz .LBB310_13
; %bb.10:                               ;   in Loop: Header=BB310_9 Depth=1
	v_lshlrev_b64_e32 v[8:9], 2, v[12:13]
	s_mov_b32 s20, 0
	s_delay_alu instid0(VALU_DEP_1)
	v_add_nc_u64_e32 v[14:15], s[8:9], v[8:9]
	v_add_nc_u64_e32 v[16:17], s[6:7], v[8:9]
	v_mov_b64_e32 v[8:9], 0
.LBB310_11:                             ;   Parent Loop BB310_9 Depth=1
                                        ; =>  This Inner Loop Header: Depth=2
	global_load_b32 v7, v[16:17], off
	global_load_b32 v21, v[14:15], off
	v_add_nc_u64_e32 v[12:13], 8, v[12:13]
	s_wait_xcnt 0x0
	v_add_nc_u64_e32 v[14:15], 32, v[14:15]
	v_add_nc_u64_e32 v[16:17], 32, v[16:17]
	s_delay_alu instid0(VALU_DEP_3)
	v_cmp_ge_i64_e64 s1, v[12:13], v[10:11]
	s_or_b32 s20, s1, s20
	s_wait_loadcnt 0x1
	global_load_b64 v[22:23], v7, s[10:11] scale_offset
	s_wait_loadcnt 0x1
	v_cvt_f64_f32_e32 v[24:25], v21
	s_delay_alu instid0(VALU_DEP_1) | instskip(SKIP_1) | instid1(VALU_DEP_1)
	v_mul_f64_e32 v[24:25], v[2:3], v[24:25]
	s_wait_loadcnt 0x0
	v_fmac_f64_e32 v[8:9], v[24:25], v[22:23]
	s_wait_xcnt 0x0
	s_and_not1_b32 exec_lo, exec_lo, s20
	s_cbranch_execnz .LBB310_11
; %bb.12:                               ;   in Loop: Header=BB310_9 Depth=1
	s_or_b32 exec_lo, exec_lo, s20
.LBB310_13:                             ;   in Loop: Header=BB310_9 Depth=1
	s_delay_alu instid0(SALU_CYCLE_1)
	s_or_b32 exec_lo, exec_lo, s19
	ds_bpermute_b32 v10, v18, v8
	ds_bpermute_b32 v11, v18, v9
	v_ashrrev_i32_e32 v7, 31, v6
	s_wait_dscnt 0x0
	v_add_f64_e32 v[8:9], v[8:9], v[10:11]
	ds_bpermute_b32 v10, v19, v8
	ds_bpermute_b32 v11, v19, v9
	s_wait_dscnt 0x0
	v_add_f64_e32 v[8:9], v[8:9], v[10:11]
	ds_bpermute_b32 v10, v20, v8
	ds_bpermute_b32 v11, v20, v9
	s_and_saveexec_b32 s1, s0
	s_cbranch_execz .LBB310_8
; %bb.14:                               ;   in Loop: Header=BB310_9 Depth=1
	s_wait_dscnt 0x0
	v_add_f64_e32 v[8:9], v[8:9], v[10:11]
	v_lshl_add_u64 v[10:11], v[6:7], 3, s[2:3]
	s_and_saveexec_b32 s19, vcc_lo
	s_cbranch_execz .LBB310_7
; %bb.15:                               ;   in Loop: Header=BB310_9 Depth=1
	global_load_b64 v[12:13], v[10:11], off
	s_wait_loadcnt 0x0
	v_fmac_f64_e32 v[8:9], v[4:5], v[12:13]
	s_branch .LBB310_7
.LBB310_16:
	s_endpgm
	.section	.rodata,"a",@progbits
	.p2align	6, 0x0
	.amdhsa_kernel _ZN9rocsparseL21csrmvn_general_kernelILj256ELj8ElifdddEEvbT2_NS_24const_host_device_scalarIT6_EEPKT1_S7_PKS1_PKT3_PKT4_S4_PT5_21rocsparse_index_base_b
		.amdhsa_group_segment_fixed_size 0
		.amdhsa_private_segment_fixed_size 0
		.amdhsa_kernarg_size 336
		.amdhsa_user_sgpr_count 2
		.amdhsa_user_sgpr_dispatch_ptr 0
		.amdhsa_user_sgpr_queue_ptr 0
		.amdhsa_user_sgpr_kernarg_segment_ptr 1
		.amdhsa_user_sgpr_dispatch_id 0
		.amdhsa_user_sgpr_kernarg_preload_length 0
		.amdhsa_user_sgpr_kernarg_preload_offset 0
		.amdhsa_user_sgpr_private_segment_size 0
		.amdhsa_wavefront_size32 1
		.amdhsa_uses_dynamic_stack 0
		.amdhsa_enable_private_segment 0
		.amdhsa_system_sgpr_workgroup_id_x 1
		.amdhsa_system_sgpr_workgroup_id_y 0
		.amdhsa_system_sgpr_workgroup_id_z 0
		.amdhsa_system_sgpr_workgroup_info 0
		.amdhsa_system_vgpr_workitem_id 0
		.amdhsa_next_free_vgpr 26
		.amdhsa_next_free_sgpr 21
		.amdhsa_named_barrier_count 0
		.amdhsa_reserve_vcc 1
		.amdhsa_float_round_mode_32 0
		.amdhsa_float_round_mode_16_64 0
		.amdhsa_float_denorm_mode_32 3
		.amdhsa_float_denorm_mode_16_64 3
		.amdhsa_fp16_overflow 0
		.amdhsa_memory_ordered 1
		.amdhsa_forward_progress 1
		.amdhsa_inst_pref_size 7
		.amdhsa_round_robin_scheduling 0
		.amdhsa_exception_fp_ieee_invalid_op 0
		.amdhsa_exception_fp_denorm_src 0
		.amdhsa_exception_fp_ieee_div_zero 0
		.amdhsa_exception_fp_ieee_overflow 0
		.amdhsa_exception_fp_ieee_underflow 0
		.amdhsa_exception_fp_ieee_inexact 0
		.amdhsa_exception_int_div_zero 0
	.end_amdhsa_kernel
	.section	.text._ZN9rocsparseL21csrmvn_general_kernelILj256ELj8ElifdddEEvbT2_NS_24const_host_device_scalarIT6_EEPKT1_S7_PKS1_PKT3_PKT4_S4_PT5_21rocsparse_index_base_b,"axG",@progbits,_ZN9rocsparseL21csrmvn_general_kernelILj256ELj8ElifdddEEvbT2_NS_24const_host_device_scalarIT6_EEPKT1_S7_PKS1_PKT3_PKT4_S4_PT5_21rocsparse_index_base_b,comdat
.Lfunc_end310:
	.size	_ZN9rocsparseL21csrmvn_general_kernelILj256ELj8ElifdddEEvbT2_NS_24const_host_device_scalarIT6_EEPKT1_S7_PKS1_PKT3_PKT4_S4_PT5_21rocsparse_index_base_b, .Lfunc_end310-_ZN9rocsparseL21csrmvn_general_kernelILj256ELj8ElifdddEEvbT2_NS_24const_host_device_scalarIT6_EEPKT1_S7_PKS1_PKT3_PKT4_S4_PT5_21rocsparse_index_base_b
                                        ; -- End function
	.set _ZN9rocsparseL21csrmvn_general_kernelILj256ELj8ElifdddEEvbT2_NS_24const_host_device_scalarIT6_EEPKT1_S7_PKS1_PKT3_PKT4_S4_PT5_21rocsparse_index_base_b.num_vgpr, 26
	.set _ZN9rocsparseL21csrmvn_general_kernelILj256ELj8ElifdddEEvbT2_NS_24const_host_device_scalarIT6_EEPKT1_S7_PKS1_PKT3_PKT4_S4_PT5_21rocsparse_index_base_b.num_agpr, 0
	.set _ZN9rocsparseL21csrmvn_general_kernelILj256ELj8ElifdddEEvbT2_NS_24const_host_device_scalarIT6_EEPKT1_S7_PKS1_PKT3_PKT4_S4_PT5_21rocsparse_index_base_b.numbered_sgpr, 21
	.set _ZN9rocsparseL21csrmvn_general_kernelILj256ELj8ElifdddEEvbT2_NS_24const_host_device_scalarIT6_EEPKT1_S7_PKS1_PKT3_PKT4_S4_PT5_21rocsparse_index_base_b.num_named_barrier, 0
	.set _ZN9rocsparseL21csrmvn_general_kernelILj256ELj8ElifdddEEvbT2_NS_24const_host_device_scalarIT6_EEPKT1_S7_PKS1_PKT3_PKT4_S4_PT5_21rocsparse_index_base_b.private_seg_size, 0
	.set _ZN9rocsparseL21csrmvn_general_kernelILj256ELj8ElifdddEEvbT2_NS_24const_host_device_scalarIT6_EEPKT1_S7_PKS1_PKT3_PKT4_S4_PT5_21rocsparse_index_base_b.uses_vcc, 1
	.set _ZN9rocsparseL21csrmvn_general_kernelILj256ELj8ElifdddEEvbT2_NS_24const_host_device_scalarIT6_EEPKT1_S7_PKS1_PKT3_PKT4_S4_PT5_21rocsparse_index_base_b.uses_flat_scratch, 0
	.set _ZN9rocsparseL21csrmvn_general_kernelILj256ELj8ElifdddEEvbT2_NS_24const_host_device_scalarIT6_EEPKT1_S7_PKS1_PKT3_PKT4_S4_PT5_21rocsparse_index_base_b.has_dyn_sized_stack, 0
	.set _ZN9rocsparseL21csrmvn_general_kernelILj256ELj8ElifdddEEvbT2_NS_24const_host_device_scalarIT6_EEPKT1_S7_PKS1_PKT3_PKT4_S4_PT5_21rocsparse_index_base_b.has_recursion, 0
	.set _ZN9rocsparseL21csrmvn_general_kernelILj256ELj8ElifdddEEvbT2_NS_24const_host_device_scalarIT6_EEPKT1_S7_PKS1_PKT3_PKT4_S4_PT5_21rocsparse_index_base_b.has_indirect_call, 0
	.section	.AMDGPU.csdata,"",@progbits
; Kernel info:
; codeLenInByte = 816
; TotalNumSgprs: 23
; NumVgprs: 26
; ScratchSize: 0
; MemoryBound: 1
; FloatMode: 240
; IeeeMode: 1
; LDSByteSize: 0 bytes/workgroup (compile time only)
; SGPRBlocks: 0
; VGPRBlocks: 1
; NumSGPRsForWavesPerEU: 23
; NumVGPRsForWavesPerEU: 26
; NamedBarCnt: 0
; Occupancy: 16
; WaveLimiterHint : 1
; COMPUTE_PGM_RSRC2:SCRATCH_EN: 0
; COMPUTE_PGM_RSRC2:USER_SGPR: 2
; COMPUTE_PGM_RSRC2:TRAP_HANDLER: 0
; COMPUTE_PGM_RSRC2:TGID_X_EN: 1
; COMPUTE_PGM_RSRC2:TGID_Y_EN: 0
; COMPUTE_PGM_RSRC2:TGID_Z_EN: 0
; COMPUTE_PGM_RSRC2:TIDIG_COMP_CNT: 0
	.section	.text._ZN9rocsparseL21csrmvn_general_kernelILj256ELj16ElifdddEEvbT2_NS_24const_host_device_scalarIT6_EEPKT1_S7_PKS1_PKT3_PKT4_S4_PT5_21rocsparse_index_base_b,"axG",@progbits,_ZN9rocsparseL21csrmvn_general_kernelILj256ELj16ElifdddEEvbT2_NS_24const_host_device_scalarIT6_EEPKT1_S7_PKS1_PKT3_PKT4_S4_PT5_21rocsparse_index_base_b,comdat
	.globl	_ZN9rocsparseL21csrmvn_general_kernelILj256ELj16ElifdddEEvbT2_NS_24const_host_device_scalarIT6_EEPKT1_S7_PKS1_PKT3_PKT4_S4_PT5_21rocsparse_index_base_b ; -- Begin function _ZN9rocsparseL21csrmvn_general_kernelILj256ELj16ElifdddEEvbT2_NS_24const_host_device_scalarIT6_EEPKT1_S7_PKS1_PKT3_PKT4_S4_PT5_21rocsparse_index_base_b
	.p2align	8
	.type	_ZN9rocsparseL21csrmvn_general_kernelILj256ELj16ElifdddEEvbT2_NS_24const_host_device_scalarIT6_EEPKT1_S7_PKS1_PKT3_PKT4_S4_PT5_21rocsparse_index_base_b,@function
_ZN9rocsparseL21csrmvn_general_kernelILj256ELj16ElifdddEEvbT2_NS_24const_host_device_scalarIT6_EEPKT1_S7_PKS1_PKT3_PKT4_S4_PT5_21rocsparse_index_base_b: ; @_ZN9rocsparseL21csrmvn_general_kernelILj256ELj16ElifdddEEvbT2_NS_24const_host_device_scalarIT6_EEPKT1_S7_PKS1_PKT3_PKT4_S4_PT5_21rocsparse_index_base_b
; %bb.0:
	s_clause 0x2
	s_load_b64 s[16:17], s[0:1], 0x48
	s_load_b128 s[12:15], s[0:1], 0x8
	s_load_b64 s[2:3], s[0:1], 0x38
	s_wait_kmcnt 0x0
	s_bitcmp1_b32 s17, 0
	v_mov_b64_e32 v[2:3], s[12:13]
	s_cselect_b32 s4, -1, 0
	s_delay_alu instid0(SALU_CYCLE_1)
	s_and_b32 vcc_lo, exec_lo, s4
	s_xor_b32 s4, s4, -1
	s_cbranch_vccnz .LBB311_2
; %bb.1:
	v_mov_b32_e32 v1, 0
	flat_load_b64 v[2:3], v1, s[12:13]
.LBB311_2:
	v_mov_b64_e32 v[4:5], s[2:3]
	s_and_not1_b32 vcc_lo, exec_lo, s4
	s_cbranch_vccnz .LBB311_4
; %bb.3:
	s_wait_xcnt 0x0
	v_mov_b32_e32 v1, 0
	flat_load_b64 v[4:5], v1, s[2:3]
.LBB311_4:
	s_wait_loadcnt_dscnt 0x0
	v_cmp_neq_f64_e32 vcc_lo, 0, v[2:3]
	s_delay_alu instid0(VALU_DEP_2) | instskip(SKIP_1) | instid1(SALU_CYCLE_1)
	v_cmp_neq_f64_e64 s2, 1.0, v[4:5]
	s_or_b32 s2, vcc_lo, s2
	s_and_saveexec_b32 s3, s2
	s_cbranch_execz .LBB311_16
; %bb.5:
	s_bfe_u32 s2, ttmp6, 0x4000c
	s_load_b32 s12, s[0:1], 0x4
	s_add_co_i32 s2, s2, 1
	s_and_b32 s3, ttmp6, 15
	s_mul_i32 s2, ttmp9, s2
	s_getreg_b32 s4, hwreg(HW_REG_IB_STS2, 6, 4)
	s_add_co_i32 s3, s3, s2
	s_cmp_eq_u32 s4, 0
	s_mov_b32 s17, 0
	s_cselect_b32 s2, ttmp9, s3
	s_delay_alu instid0(SALU_CYCLE_1) | instskip(NEXT) | instid1(VALU_DEP_1)
	v_lshl_or_b32 v1, s2, 8, v0
	v_lshrrev_b32_e32 v6, 4, v1
	s_wait_kmcnt 0x0
	s_delay_alu instid0(VALU_DEP_1)
	v_cmp_gt_i32_e32 vcc_lo, s12, v6
	s_and_b32 exec_lo, exec_lo, vcc_lo
	s_cbranch_execz .LBB311_16
; %bb.6:
	v_dual_mov_b32 v9, 0 :: v_dual_bitop2_b32 v8, 15, v0 bitop3:0x40
	v_mbcnt_lo_u32_b32 v7, -1, 0
	s_clause 0x2
	s_load_b256 s[4:11], s[0:1], 0x18
	s_load_b64 s[2:3], s[0:1], 0x40
	s_load_b32 s13, s[0:1], 0x50
	s_ashr_i32 s19, s16, 31
	s_mov_b32 s18, s16
	v_sub_nc_u64_e64 v[0:1], v[8:9], s[16:17]
	v_xor_b32_e32 v10, 4, v7
	v_xor_b32_e32 v9, 8, v7
	s_lshl_b64 s[18:19], s[18:19], 3
	v_cmp_neq_f64_e32 vcc_lo, 0, v[4:5]
	s_wait_xcnt 0x0
	s_delay_alu instid0(VALU_DEP_2) | instskip(NEXT) | instid1(VALU_DEP_1)
	v_cmp_gt_i32_e64 s0, 32, v9
	v_dual_cndmask_b32 v9, v7, v9, s0 :: v_dual_bitop2_b32 v12, 1, v7 bitop3:0x14
	v_cmp_gt_i32_e64 s0, 32, v10
	s_wait_kmcnt 0x0
	s_sub_nc_u64 s[10:11], s[10:11], s[18:19]
	s_mov_b32 s18, s17
	v_dual_lshlrev_b32 v18, 2, v9 :: v_dual_bitop2_b32 v11, 2, v7 bitop3:0x14
	v_cndmask_b32_e64 v10, v7, v10, s0
	s_lshl_b32 s13, s13, 4
	s_delay_alu instid0(VALU_DEP_2) | instskip(NEXT) | instid1(VALU_DEP_1)
	v_cmp_gt_i32_e64 s0, 32, v11
	v_dual_lshlrev_b32 v19, 2, v10 :: v_dual_cndmask_b32 v11, v7, v11, s0
	v_cmp_gt_i32_e64 s0, 32, v12
	s_delay_alu instid0(VALU_DEP_1) | instskip(SKIP_1) | instid1(VALU_DEP_2)
	v_dual_lshlrev_b32 v20, 2, v11 :: v_dual_cndmask_b32 v7, v7, v12, s0
	v_cmp_eq_u32_e64 s0, 15, v8
	v_lshlrev_b32_e32 v21, 2, v7
	s_branch .LBB311_9
.LBB311_7:                              ;   in Loop: Header=BB311_9 Depth=1
	s_wait_xcnt 0x0
	s_or_b32 exec_lo, exec_lo, s19
	global_store_b64 v[10:11], v[8:9], off
.LBB311_8:                              ;   in Loop: Header=BB311_9 Depth=1
	s_wait_xcnt 0x0
	s_or_b32 exec_lo, exec_lo, s1
	v_add_nc_u32_e32 v6, s13, v6
	s_delay_alu instid0(VALU_DEP_1) | instskip(SKIP_1) | instid1(SALU_CYCLE_1)
	v_cmp_le_i32_e64 s1, s12, v6
	s_or_b32 s18, s1, s18
	s_and_not1_b32 exec_lo, exec_lo, s18
	s_cbranch_execz .LBB311_16
.LBB311_9:                              ; =>This Loop Header: Depth=1
                                        ;     Child Loop BB311_11 Depth 2
	s_clause 0x1
	global_load_b64 v[8:9], v6, s[4:5] scale_offset
	global_load_b64 v[12:13], v6, s[14:15] scale_offset
	s_mov_b32 s19, exec_lo
	s_wait_loadcnt_dscnt 0x100
	v_sub_nc_u64_e64 v[10:11], v[8:9], s[16:17]
	s_wait_loadcnt 0x0
	v_add_nc_u64_e32 v[12:13], v[12:13], v[0:1]
	v_mov_b64_e32 v[8:9], 0
	s_wait_xcnt 0x0
	s_delay_alu instid0(VALU_DEP_2)
	v_cmpx_lt_i64_e64 v[12:13], v[10:11]
	s_cbranch_execz .LBB311_13
; %bb.10:                               ;   in Loop: Header=BB311_9 Depth=1
	v_lshlrev_b64_e32 v[8:9], 2, v[12:13]
	s_mov_b32 s20, 0
	s_delay_alu instid0(VALU_DEP_1)
	v_add_nc_u64_e32 v[14:15], s[8:9], v[8:9]
	v_add_nc_u64_e32 v[16:17], s[6:7], v[8:9]
	v_mov_b64_e32 v[8:9], 0
.LBB311_11:                             ;   Parent Loop BB311_9 Depth=1
                                        ; =>  This Inner Loop Header: Depth=2
	global_load_b32 v7, v[16:17], off
	global_load_b32 v24, v[14:15], off
	v_add_nc_u64_e32 v[12:13], 16, v[12:13]
	s_wait_xcnt 0x0
	v_add_nc_u64_e32 v[14:15], 64, v[14:15]
	v_add_nc_u64_e32 v[16:17], 64, v[16:17]
	s_delay_alu instid0(VALU_DEP_3)
	v_cmp_ge_i64_e64 s1, v[12:13], v[10:11]
	s_or_b32 s20, s1, s20
	s_wait_loadcnt 0x1
	global_load_b64 v[22:23], v7, s[10:11] scale_offset
	s_wait_loadcnt 0x1
	v_cvt_f64_f32_e32 v[24:25], v24
	s_delay_alu instid0(VALU_DEP_1) | instskip(SKIP_1) | instid1(VALU_DEP_1)
	v_mul_f64_e32 v[24:25], v[2:3], v[24:25]
	s_wait_loadcnt 0x0
	v_fmac_f64_e32 v[8:9], v[24:25], v[22:23]
	s_wait_xcnt 0x0
	s_and_not1_b32 exec_lo, exec_lo, s20
	s_cbranch_execnz .LBB311_11
; %bb.12:                               ;   in Loop: Header=BB311_9 Depth=1
	s_or_b32 exec_lo, exec_lo, s20
.LBB311_13:                             ;   in Loop: Header=BB311_9 Depth=1
	s_delay_alu instid0(SALU_CYCLE_1)
	s_or_b32 exec_lo, exec_lo, s19
	ds_bpermute_b32 v10, v18, v8
	ds_bpermute_b32 v11, v18, v9
	v_ashrrev_i32_e32 v7, 31, v6
	s_wait_dscnt 0x0
	v_add_f64_e32 v[8:9], v[8:9], v[10:11]
	ds_bpermute_b32 v10, v19, v8
	ds_bpermute_b32 v11, v19, v9
	s_wait_dscnt 0x0
	v_add_f64_e32 v[8:9], v[8:9], v[10:11]
	ds_bpermute_b32 v10, v20, v8
	ds_bpermute_b32 v11, v20, v9
	;; [unrolled: 4-line block ×3, first 2 shown]
	s_and_saveexec_b32 s1, s0
	s_cbranch_execz .LBB311_8
; %bb.14:                               ;   in Loop: Header=BB311_9 Depth=1
	s_wait_dscnt 0x0
	v_add_f64_e32 v[8:9], v[8:9], v[10:11]
	v_lshl_add_u64 v[10:11], v[6:7], 3, s[2:3]
	s_and_saveexec_b32 s19, vcc_lo
	s_cbranch_execz .LBB311_7
; %bb.15:                               ;   in Loop: Header=BB311_9 Depth=1
	global_load_b64 v[12:13], v[10:11], off
	s_wait_loadcnt 0x0
	v_fmac_f64_e32 v[8:9], v[4:5], v[12:13]
	s_branch .LBB311_7
.LBB311_16:
	s_endpgm
	.section	.rodata,"a",@progbits
	.p2align	6, 0x0
	.amdhsa_kernel _ZN9rocsparseL21csrmvn_general_kernelILj256ELj16ElifdddEEvbT2_NS_24const_host_device_scalarIT6_EEPKT1_S7_PKS1_PKT3_PKT4_S4_PT5_21rocsparse_index_base_b
		.amdhsa_group_segment_fixed_size 0
		.amdhsa_private_segment_fixed_size 0
		.amdhsa_kernarg_size 336
		.amdhsa_user_sgpr_count 2
		.amdhsa_user_sgpr_dispatch_ptr 0
		.amdhsa_user_sgpr_queue_ptr 0
		.amdhsa_user_sgpr_kernarg_segment_ptr 1
		.amdhsa_user_sgpr_dispatch_id 0
		.amdhsa_user_sgpr_kernarg_preload_length 0
		.amdhsa_user_sgpr_kernarg_preload_offset 0
		.amdhsa_user_sgpr_private_segment_size 0
		.amdhsa_wavefront_size32 1
		.amdhsa_uses_dynamic_stack 0
		.amdhsa_enable_private_segment 0
		.amdhsa_system_sgpr_workgroup_id_x 1
		.amdhsa_system_sgpr_workgroup_id_y 0
		.amdhsa_system_sgpr_workgroup_id_z 0
		.amdhsa_system_sgpr_workgroup_info 0
		.amdhsa_system_vgpr_workitem_id 0
		.amdhsa_next_free_vgpr 26
		.amdhsa_next_free_sgpr 21
		.amdhsa_named_barrier_count 0
		.amdhsa_reserve_vcc 1
		.amdhsa_float_round_mode_32 0
		.amdhsa_float_round_mode_16_64 0
		.amdhsa_float_denorm_mode_32 3
		.amdhsa_float_denorm_mode_16_64 3
		.amdhsa_fp16_overflow 0
		.amdhsa_memory_ordered 1
		.amdhsa_forward_progress 1
		.amdhsa_inst_pref_size 7
		.amdhsa_round_robin_scheduling 0
		.amdhsa_exception_fp_ieee_invalid_op 0
		.amdhsa_exception_fp_denorm_src 0
		.amdhsa_exception_fp_ieee_div_zero 0
		.amdhsa_exception_fp_ieee_overflow 0
		.amdhsa_exception_fp_ieee_underflow 0
		.amdhsa_exception_fp_ieee_inexact 0
		.amdhsa_exception_int_div_zero 0
	.end_amdhsa_kernel
	.section	.text._ZN9rocsparseL21csrmvn_general_kernelILj256ELj16ElifdddEEvbT2_NS_24const_host_device_scalarIT6_EEPKT1_S7_PKS1_PKT3_PKT4_S4_PT5_21rocsparse_index_base_b,"axG",@progbits,_ZN9rocsparseL21csrmvn_general_kernelILj256ELj16ElifdddEEvbT2_NS_24const_host_device_scalarIT6_EEPKT1_S7_PKS1_PKT3_PKT4_S4_PT5_21rocsparse_index_base_b,comdat
.Lfunc_end311:
	.size	_ZN9rocsparseL21csrmvn_general_kernelILj256ELj16ElifdddEEvbT2_NS_24const_host_device_scalarIT6_EEPKT1_S7_PKS1_PKT3_PKT4_S4_PT5_21rocsparse_index_base_b, .Lfunc_end311-_ZN9rocsparseL21csrmvn_general_kernelILj256ELj16ElifdddEEvbT2_NS_24const_host_device_scalarIT6_EEPKT1_S7_PKS1_PKT3_PKT4_S4_PT5_21rocsparse_index_base_b
                                        ; -- End function
	.set _ZN9rocsparseL21csrmvn_general_kernelILj256ELj16ElifdddEEvbT2_NS_24const_host_device_scalarIT6_EEPKT1_S7_PKS1_PKT3_PKT4_S4_PT5_21rocsparse_index_base_b.num_vgpr, 26
	.set _ZN9rocsparseL21csrmvn_general_kernelILj256ELj16ElifdddEEvbT2_NS_24const_host_device_scalarIT6_EEPKT1_S7_PKS1_PKT3_PKT4_S4_PT5_21rocsparse_index_base_b.num_agpr, 0
	.set _ZN9rocsparseL21csrmvn_general_kernelILj256ELj16ElifdddEEvbT2_NS_24const_host_device_scalarIT6_EEPKT1_S7_PKS1_PKT3_PKT4_S4_PT5_21rocsparse_index_base_b.numbered_sgpr, 21
	.set _ZN9rocsparseL21csrmvn_general_kernelILj256ELj16ElifdddEEvbT2_NS_24const_host_device_scalarIT6_EEPKT1_S7_PKS1_PKT3_PKT4_S4_PT5_21rocsparse_index_base_b.num_named_barrier, 0
	.set _ZN9rocsparseL21csrmvn_general_kernelILj256ELj16ElifdddEEvbT2_NS_24const_host_device_scalarIT6_EEPKT1_S7_PKS1_PKT3_PKT4_S4_PT5_21rocsparse_index_base_b.private_seg_size, 0
	.set _ZN9rocsparseL21csrmvn_general_kernelILj256ELj16ElifdddEEvbT2_NS_24const_host_device_scalarIT6_EEPKT1_S7_PKS1_PKT3_PKT4_S4_PT5_21rocsparse_index_base_b.uses_vcc, 1
	.set _ZN9rocsparseL21csrmvn_general_kernelILj256ELj16ElifdddEEvbT2_NS_24const_host_device_scalarIT6_EEPKT1_S7_PKS1_PKT3_PKT4_S4_PT5_21rocsparse_index_base_b.uses_flat_scratch, 0
	.set _ZN9rocsparseL21csrmvn_general_kernelILj256ELj16ElifdddEEvbT2_NS_24const_host_device_scalarIT6_EEPKT1_S7_PKS1_PKT3_PKT4_S4_PT5_21rocsparse_index_base_b.has_dyn_sized_stack, 0
	.set _ZN9rocsparseL21csrmvn_general_kernelILj256ELj16ElifdddEEvbT2_NS_24const_host_device_scalarIT6_EEPKT1_S7_PKS1_PKT3_PKT4_S4_PT5_21rocsparse_index_base_b.has_recursion, 0
	.set _ZN9rocsparseL21csrmvn_general_kernelILj256ELj16ElifdddEEvbT2_NS_24const_host_device_scalarIT6_EEPKT1_S7_PKS1_PKT3_PKT4_S4_PT5_21rocsparse_index_base_b.has_indirect_call, 0
	.section	.AMDGPU.csdata,"",@progbits
; Kernel info:
; codeLenInByte = 868
; TotalNumSgprs: 23
; NumVgprs: 26
; ScratchSize: 0
; MemoryBound: 1
; FloatMode: 240
; IeeeMode: 1
; LDSByteSize: 0 bytes/workgroup (compile time only)
; SGPRBlocks: 0
; VGPRBlocks: 1
; NumSGPRsForWavesPerEU: 23
; NumVGPRsForWavesPerEU: 26
; NamedBarCnt: 0
; Occupancy: 16
; WaveLimiterHint : 1
; COMPUTE_PGM_RSRC2:SCRATCH_EN: 0
; COMPUTE_PGM_RSRC2:USER_SGPR: 2
; COMPUTE_PGM_RSRC2:TRAP_HANDLER: 0
; COMPUTE_PGM_RSRC2:TGID_X_EN: 1
; COMPUTE_PGM_RSRC2:TGID_Y_EN: 0
; COMPUTE_PGM_RSRC2:TGID_Z_EN: 0
; COMPUTE_PGM_RSRC2:TIDIG_COMP_CNT: 0
	.section	.text._ZN9rocsparseL21csrmvn_general_kernelILj256ELj32ElifdddEEvbT2_NS_24const_host_device_scalarIT6_EEPKT1_S7_PKS1_PKT3_PKT4_S4_PT5_21rocsparse_index_base_b,"axG",@progbits,_ZN9rocsparseL21csrmvn_general_kernelILj256ELj32ElifdddEEvbT2_NS_24const_host_device_scalarIT6_EEPKT1_S7_PKS1_PKT3_PKT4_S4_PT5_21rocsparse_index_base_b,comdat
	.globl	_ZN9rocsparseL21csrmvn_general_kernelILj256ELj32ElifdddEEvbT2_NS_24const_host_device_scalarIT6_EEPKT1_S7_PKS1_PKT3_PKT4_S4_PT5_21rocsparse_index_base_b ; -- Begin function _ZN9rocsparseL21csrmvn_general_kernelILj256ELj32ElifdddEEvbT2_NS_24const_host_device_scalarIT6_EEPKT1_S7_PKS1_PKT3_PKT4_S4_PT5_21rocsparse_index_base_b
	.p2align	8
	.type	_ZN9rocsparseL21csrmvn_general_kernelILj256ELj32ElifdddEEvbT2_NS_24const_host_device_scalarIT6_EEPKT1_S7_PKS1_PKT3_PKT4_S4_PT5_21rocsparse_index_base_b,@function
_ZN9rocsparseL21csrmvn_general_kernelILj256ELj32ElifdddEEvbT2_NS_24const_host_device_scalarIT6_EEPKT1_S7_PKS1_PKT3_PKT4_S4_PT5_21rocsparse_index_base_b: ; @_ZN9rocsparseL21csrmvn_general_kernelILj256ELj32ElifdddEEvbT2_NS_24const_host_device_scalarIT6_EEPKT1_S7_PKS1_PKT3_PKT4_S4_PT5_21rocsparse_index_base_b
; %bb.0:
	s_clause 0x2
	s_load_b64 s[16:17], s[0:1], 0x48
	s_load_b128 s[12:15], s[0:1], 0x8
	s_load_b64 s[2:3], s[0:1], 0x38
	s_wait_kmcnt 0x0
	s_bitcmp1_b32 s17, 0
	v_mov_b64_e32 v[2:3], s[12:13]
	s_cselect_b32 s4, -1, 0
	s_delay_alu instid0(SALU_CYCLE_1)
	s_and_b32 vcc_lo, exec_lo, s4
	s_xor_b32 s4, s4, -1
	s_cbranch_vccnz .LBB312_2
; %bb.1:
	v_mov_b32_e32 v1, 0
	flat_load_b64 v[2:3], v1, s[12:13]
.LBB312_2:
	v_mov_b64_e32 v[4:5], s[2:3]
	s_and_not1_b32 vcc_lo, exec_lo, s4
	s_cbranch_vccnz .LBB312_4
; %bb.3:
	s_wait_xcnt 0x0
	v_mov_b32_e32 v1, 0
	flat_load_b64 v[4:5], v1, s[2:3]
.LBB312_4:
	s_wait_loadcnt_dscnt 0x0
	v_cmp_neq_f64_e32 vcc_lo, 0, v[2:3]
	s_delay_alu instid0(VALU_DEP_2) | instskip(SKIP_1) | instid1(SALU_CYCLE_1)
	v_cmp_neq_f64_e64 s2, 1.0, v[4:5]
	s_or_b32 s2, vcc_lo, s2
	s_and_saveexec_b32 s3, s2
	s_cbranch_execz .LBB312_16
; %bb.5:
	s_bfe_u32 s2, ttmp6, 0x4000c
	s_load_b32 s12, s[0:1], 0x4
	s_add_co_i32 s2, s2, 1
	s_and_b32 s3, ttmp6, 15
	s_mul_i32 s2, ttmp9, s2
	s_getreg_b32 s4, hwreg(HW_REG_IB_STS2, 6, 4)
	s_add_co_i32 s3, s3, s2
	s_cmp_eq_u32 s4, 0
	s_mov_b32 s17, 0
	s_cselect_b32 s2, ttmp9, s3
	s_delay_alu instid0(SALU_CYCLE_1) | instskip(NEXT) | instid1(VALU_DEP_1)
	v_lshl_or_b32 v1, s2, 8, v0
	v_lshrrev_b32_e32 v6, 5, v1
	s_wait_kmcnt 0x0
	s_delay_alu instid0(VALU_DEP_1)
	v_cmp_gt_i32_e32 vcc_lo, s12, v6
	s_and_b32 exec_lo, exec_lo, vcc_lo
	s_cbranch_execz .LBB312_16
; %bb.6:
	v_dual_mov_b32 v9, 0 :: v_dual_bitop2_b32 v8, 31, v0 bitop3:0x40
	v_mbcnt_lo_u32_b32 v7, -1, 0
	s_clause 0x2
	s_load_b256 s[4:11], s[0:1], 0x18
	s_load_b64 s[2:3], s[0:1], 0x40
	s_load_b32 s13, s[0:1], 0x50
	s_wait_xcnt 0x0
	s_ashr_i32 s1, s16, 31
	v_sub_nc_u64_e64 v[0:1], v[8:9], s[16:17]
	v_xor_b32_e32 v9, 8, v7
	v_xor_b32_e32 v10, 16, v7
	s_mov_b32 s0, s16
	v_cmp_neq_f64_e32 vcc_lo, 0, v[4:5]
	s_lshl_b64 s[18:19], s[0:1], 3
	s_delay_alu instid0(VALU_DEP_2) | instskip(NEXT) | instid1(VALU_DEP_1)
	v_cmp_gt_i32_e64 s0, 32, v10
	v_cndmask_b32_e64 v10, v7, v10, s0
	v_cmp_gt_i32_e64 s0, 32, v9
	s_delay_alu instid0(VALU_DEP_2) | instskip(SKIP_1) | instid1(VALU_DEP_3)
	v_dual_lshlrev_b32 v18, 2, v10 :: v_dual_bitop2_b32 v13, 1, v7 bitop3:0x14
	v_xor_b32_e32 v12, 2, v7
	v_dual_cndmask_b32 v9, v7, v9, s0 :: v_dual_bitop2_b32 v11, 4, v7 bitop3:0x14
	s_wait_kmcnt 0x0
	s_lshl_b32 s13, s13, 3
	s_sub_nc_u64 s[10:11], s[10:11], s[18:19]
	s_mov_b32 s18, s17
	v_cmp_gt_i32_e64 s0, 32, v11
	s_delay_alu instid0(VALU_DEP_1) | instskip(SKIP_1) | instid1(VALU_DEP_1)
	v_dual_lshlrev_b32 v19, 2, v9 :: v_dual_cndmask_b32 v11, v7, v11, s0
	v_cmp_gt_i32_e64 s0, 32, v12
	v_cndmask_b32_e64 v12, v7, v12, s0
	v_cmp_gt_i32_e64 s0, 32, v13
	s_delay_alu instid0(VALU_DEP_2) | instskip(NEXT) | instid1(VALU_DEP_2)
	v_dual_lshlrev_b32 v20, 2, v11 :: v_dual_lshlrev_b32 v21, 2, v12
	v_cndmask_b32_e64 v7, v7, v13, s0
	v_cmp_eq_u32_e64 s0, 31, v8
	s_delay_alu instid0(VALU_DEP_2)
	v_lshlrev_b32_e32 v22, 2, v7
	s_branch .LBB312_9
.LBB312_7:                              ;   in Loop: Header=BB312_9 Depth=1
	s_wait_xcnt 0x0
	s_or_b32 exec_lo, exec_lo, s19
	global_store_b64 v[10:11], v[8:9], off
.LBB312_8:                              ;   in Loop: Header=BB312_9 Depth=1
	s_wait_xcnt 0x0
	s_or_b32 exec_lo, exec_lo, s1
	v_add_nc_u32_e32 v6, s13, v6
	s_delay_alu instid0(VALU_DEP_1) | instskip(SKIP_1) | instid1(SALU_CYCLE_1)
	v_cmp_le_i32_e64 s1, s12, v6
	s_or_b32 s18, s1, s18
	s_and_not1_b32 exec_lo, exec_lo, s18
	s_cbranch_execz .LBB312_16
.LBB312_9:                              ; =>This Loop Header: Depth=1
                                        ;     Child Loop BB312_11 Depth 2
	s_clause 0x1
	global_load_b64 v[8:9], v6, s[4:5] scale_offset
	global_load_b64 v[12:13], v6, s[14:15] scale_offset
	s_mov_b32 s19, exec_lo
	s_wait_loadcnt_dscnt 0x100
	v_sub_nc_u64_e64 v[10:11], v[8:9], s[16:17]
	s_wait_loadcnt 0x0
	v_add_nc_u64_e32 v[12:13], v[12:13], v[0:1]
	v_mov_b64_e32 v[8:9], 0
	s_wait_xcnt 0x0
	s_delay_alu instid0(VALU_DEP_2)
	v_cmpx_lt_i64_e64 v[12:13], v[10:11]
	s_cbranch_execz .LBB312_13
; %bb.10:                               ;   in Loop: Header=BB312_9 Depth=1
	v_lshlrev_b64_e32 v[8:9], 2, v[12:13]
	s_mov_b32 s20, 0
	s_delay_alu instid0(VALU_DEP_1)
	v_add_nc_u64_e32 v[14:15], s[8:9], v[8:9]
	v_add_nc_u64_e32 v[16:17], s[6:7], v[8:9]
	v_mov_b64_e32 v[8:9], 0
.LBB312_11:                             ;   Parent Loop BB312_9 Depth=1
                                        ; =>  This Inner Loop Header: Depth=2
	global_load_b32 v7, v[16:17], off
	global_load_b32 v23, v[14:15], off
	v_add_nc_u64_e32 v[12:13], 32, v[12:13]
	s_wait_xcnt 0x0
	v_add_nc_u64_e32 v[14:15], 0x80, v[14:15]
	v_add_nc_u64_e32 v[16:17], 0x80, v[16:17]
	s_delay_alu instid0(VALU_DEP_3)
	v_cmp_ge_i64_e64 s1, v[12:13], v[10:11]
	s_or_b32 s20, s1, s20
	s_wait_loadcnt 0x1
	global_load_b64 v[24:25], v7, s[10:11] scale_offset
	s_wait_loadcnt 0x1
	v_cvt_f64_f32_e32 v[26:27], v23
	s_delay_alu instid0(VALU_DEP_1) | instskip(SKIP_1) | instid1(VALU_DEP_1)
	v_mul_f64_e32 v[26:27], v[2:3], v[26:27]
	s_wait_loadcnt 0x0
	v_fmac_f64_e32 v[8:9], v[26:27], v[24:25]
	s_wait_xcnt 0x0
	s_and_not1_b32 exec_lo, exec_lo, s20
	s_cbranch_execnz .LBB312_11
; %bb.12:                               ;   in Loop: Header=BB312_9 Depth=1
	s_or_b32 exec_lo, exec_lo, s20
.LBB312_13:                             ;   in Loop: Header=BB312_9 Depth=1
	s_delay_alu instid0(SALU_CYCLE_1)
	s_or_b32 exec_lo, exec_lo, s19
	ds_bpermute_b32 v10, v18, v8
	ds_bpermute_b32 v11, v18, v9
	v_ashrrev_i32_e32 v7, 31, v6
	s_wait_dscnt 0x0
	v_add_f64_e32 v[8:9], v[8:9], v[10:11]
	ds_bpermute_b32 v10, v19, v8
	ds_bpermute_b32 v11, v19, v9
	s_wait_dscnt 0x0
	v_add_f64_e32 v[8:9], v[8:9], v[10:11]
	ds_bpermute_b32 v10, v20, v8
	ds_bpermute_b32 v11, v20, v9
	;; [unrolled: 4-line block ×4, first 2 shown]
	s_and_saveexec_b32 s1, s0
	s_cbranch_execz .LBB312_8
; %bb.14:                               ;   in Loop: Header=BB312_9 Depth=1
	s_wait_dscnt 0x0
	v_add_f64_e32 v[8:9], v[8:9], v[10:11]
	v_lshl_add_u64 v[10:11], v[6:7], 3, s[2:3]
	s_and_saveexec_b32 s19, vcc_lo
	s_cbranch_execz .LBB312_7
; %bb.15:                               ;   in Loop: Header=BB312_9 Depth=1
	global_load_b64 v[12:13], v[10:11], off
	s_wait_loadcnt 0x0
	v_fmac_f64_e32 v[8:9], v[4:5], v[12:13]
	s_branch .LBB312_7
.LBB312_16:
	s_endpgm
	.section	.rodata,"a",@progbits
	.p2align	6, 0x0
	.amdhsa_kernel _ZN9rocsparseL21csrmvn_general_kernelILj256ELj32ElifdddEEvbT2_NS_24const_host_device_scalarIT6_EEPKT1_S7_PKS1_PKT3_PKT4_S4_PT5_21rocsparse_index_base_b
		.amdhsa_group_segment_fixed_size 0
		.amdhsa_private_segment_fixed_size 0
		.amdhsa_kernarg_size 336
		.amdhsa_user_sgpr_count 2
		.amdhsa_user_sgpr_dispatch_ptr 0
		.amdhsa_user_sgpr_queue_ptr 0
		.amdhsa_user_sgpr_kernarg_segment_ptr 1
		.amdhsa_user_sgpr_dispatch_id 0
		.amdhsa_user_sgpr_kernarg_preload_length 0
		.amdhsa_user_sgpr_kernarg_preload_offset 0
		.amdhsa_user_sgpr_private_segment_size 0
		.amdhsa_wavefront_size32 1
		.amdhsa_uses_dynamic_stack 0
		.amdhsa_enable_private_segment 0
		.amdhsa_system_sgpr_workgroup_id_x 1
		.amdhsa_system_sgpr_workgroup_id_y 0
		.amdhsa_system_sgpr_workgroup_id_z 0
		.amdhsa_system_sgpr_workgroup_info 0
		.amdhsa_system_vgpr_workitem_id 0
		.amdhsa_next_free_vgpr 28
		.amdhsa_next_free_sgpr 21
		.amdhsa_named_barrier_count 0
		.amdhsa_reserve_vcc 1
		.amdhsa_float_round_mode_32 0
		.amdhsa_float_round_mode_16_64 0
		.amdhsa_float_denorm_mode_32 3
		.amdhsa_float_denorm_mode_16_64 3
		.amdhsa_fp16_overflow 0
		.amdhsa_memory_ordered 1
		.amdhsa_forward_progress 1
		.amdhsa_inst_pref_size 8
		.amdhsa_round_robin_scheduling 0
		.amdhsa_exception_fp_ieee_invalid_op 0
		.amdhsa_exception_fp_denorm_src 0
		.amdhsa_exception_fp_ieee_div_zero 0
		.amdhsa_exception_fp_ieee_overflow 0
		.amdhsa_exception_fp_ieee_underflow 0
		.amdhsa_exception_fp_ieee_inexact 0
		.amdhsa_exception_int_div_zero 0
	.end_amdhsa_kernel
	.section	.text._ZN9rocsparseL21csrmvn_general_kernelILj256ELj32ElifdddEEvbT2_NS_24const_host_device_scalarIT6_EEPKT1_S7_PKS1_PKT3_PKT4_S4_PT5_21rocsparse_index_base_b,"axG",@progbits,_ZN9rocsparseL21csrmvn_general_kernelILj256ELj32ElifdddEEvbT2_NS_24const_host_device_scalarIT6_EEPKT1_S7_PKS1_PKT3_PKT4_S4_PT5_21rocsparse_index_base_b,comdat
.Lfunc_end312:
	.size	_ZN9rocsparseL21csrmvn_general_kernelILj256ELj32ElifdddEEvbT2_NS_24const_host_device_scalarIT6_EEPKT1_S7_PKS1_PKT3_PKT4_S4_PT5_21rocsparse_index_base_b, .Lfunc_end312-_ZN9rocsparseL21csrmvn_general_kernelILj256ELj32ElifdddEEvbT2_NS_24const_host_device_scalarIT6_EEPKT1_S7_PKS1_PKT3_PKT4_S4_PT5_21rocsparse_index_base_b
                                        ; -- End function
	.set _ZN9rocsparseL21csrmvn_general_kernelILj256ELj32ElifdddEEvbT2_NS_24const_host_device_scalarIT6_EEPKT1_S7_PKS1_PKT3_PKT4_S4_PT5_21rocsparse_index_base_b.num_vgpr, 28
	.set _ZN9rocsparseL21csrmvn_general_kernelILj256ELj32ElifdddEEvbT2_NS_24const_host_device_scalarIT6_EEPKT1_S7_PKS1_PKT3_PKT4_S4_PT5_21rocsparse_index_base_b.num_agpr, 0
	.set _ZN9rocsparseL21csrmvn_general_kernelILj256ELj32ElifdddEEvbT2_NS_24const_host_device_scalarIT6_EEPKT1_S7_PKS1_PKT3_PKT4_S4_PT5_21rocsparse_index_base_b.numbered_sgpr, 21
	.set _ZN9rocsparseL21csrmvn_general_kernelILj256ELj32ElifdddEEvbT2_NS_24const_host_device_scalarIT6_EEPKT1_S7_PKS1_PKT3_PKT4_S4_PT5_21rocsparse_index_base_b.num_named_barrier, 0
	.set _ZN9rocsparseL21csrmvn_general_kernelILj256ELj32ElifdddEEvbT2_NS_24const_host_device_scalarIT6_EEPKT1_S7_PKS1_PKT3_PKT4_S4_PT5_21rocsparse_index_base_b.private_seg_size, 0
	.set _ZN9rocsparseL21csrmvn_general_kernelILj256ELj32ElifdddEEvbT2_NS_24const_host_device_scalarIT6_EEPKT1_S7_PKS1_PKT3_PKT4_S4_PT5_21rocsparse_index_base_b.uses_vcc, 1
	.set _ZN9rocsparseL21csrmvn_general_kernelILj256ELj32ElifdddEEvbT2_NS_24const_host_device_scalarIT6_EEPKT1_S7_PKS1_PKT3_PKT4_S4_PT5_21rocsparse_index_base_b.uses_flat_scratch, 0
	.set _ZN9rocsparseL21csrmvn_general_kernelILj256ELj32ElifdddEEvbT2_NS_24const_host_device_scalarIT6_EEPKT1_S7_PKS1_PKT3_PKT4_S4_PT5_21rocsparse_index_base_b.has_dyn_sized_stack, 0
	.set _ZN9rocsparseL21csrmvn_general_kernelILj256ELj32ElifdddEEvbT2_NS_24const_host_device_scalarIT6_EEPKT1_S7_PKS1_PKT3_PKT4_S4_PT5_21rocsparse_index_base_b.has_recursion, 0
	.set _ZN9rocsparseL21csrmvn_general_kernelILj256ELj32ElifdddEEvbT2_NS_24const_host_device_scalarIT6_EEPKT1_S7_PKS1_PKT3_PKT4_S4_PT5_21rocsparse_index_base_b.has_indirect_call, 0
	.section	.AMDGPU.csdata,"",@progbits
; Kernel info:
; codeLenInByte = 936
; TotalNumSgprs: 23
; NumVgprs: 28
; ScratchSize: 0
; MemoryBound: 1
; FloatMode: 240
; IeeeMode: 1
; LDSByteSize: 0 bytes/workgroup (compile time only)
; SGPRBlocks: 0
; VGPRBlocks: 1
; NumSGPRsForWavesPerEU: 23
; NumVGPRsForWavesPerEU: 28
; NamedBarCnt: 0
; Occupancy: 16
; WaveLimiterHint : 1
; COMPUTE_PGM_RSRC2:SCRATCH_EN: 0
; COMPUTE_PGM_RSRC2:USER_SGPR: 2
; COMPUTE_PGM_RSRC2:TRAP_HANDLER: 0
; COMPUTE_PGM_RSRC2:TGID_X_EN: 1
; COMPUTE_PGM_RSRC2:TGID_Y_EN: 0
; COMPUTE_PGM_RSRC2:TGID_Z_EN: 0
; COMPUTE_PGM_RSRC2:TIDIG_COMP_CNT: 0
	.section	.text._ZN9rocsparseL21csrmvn_general_kernelILj256ELj64ElifdddEEvbT2_NS_24const_host_device_scalarIT6_EEPKT1_S7_PKS1_PKT3_PKT4_S4_PT5_21rocsparse_index_base_b,"axG",@progbits,_ZN9rocsparseL21csrmvn_general_kernelILj256ELj64ElifdddEEvbT2_NS_24const_host_device_scalarIT6_EEPKT1_S7_PKS1_PKT3_PKT4_S4_PT5_21rocsparse_index_base_b,comdat
	.globl	_ZN9rocsparseL21csrmvn_general_kernelILj256ELj64ElifdddEEvbT2_NS_24const_host_device_scalarIT6_EEPKT1_S7_PKS1_PKT3_PKT4_S4_PT5_21rocsparse_index_base_b ; -- Begin function _ZN9rocsparseL21csrmvn_general_kernelILj256ELj64ElifdddEEvbT2_NS_24const_host_device_scalarIT6_EEPKT1_S7_PKS1_PKT3_PKT4_S4_PT5_21rocsparse_index_base_b
	.p2align	8
	.type	_ZN9rocsparseL21csrmvn_general_kernelILj256ELj64ElifdddEEvbT2_NS_24const_host_device_scalarIT6_EEPKT1_S7_PKS1_PKT3_PKT4_S4_PT5_21rocsparse_index_base_b,@function
_ZN9rocsparseL21csrmvn_general_kernelILj256ELj64ElifdddEEvbT2_NS_24const_host_device_scalarIT6_EEPKT1_S7_PKS1_PKT3_PKT4_S4_PT5_21rocsparse_index_base_b: ; @_ZN9rocsparseL21csrmvn_general_kernelILj256ELj64ElifdddEEvbT2_NS_24const_host_device_scalarIT6_EEPKT1_S7_PKS1_PKT3_PKT4_S4_PT5_21rocsparse_index_base_b
; %bb.0:
	s_clause 0x2
	s_load_b64 s[16:17], s[0:1], 0x48
	s_load_b128 s[12:15], s[0:1], 0x8
	s_load_b64 s[2:3], s[0:1], 0x38
	s_wait_kmcnt 0x0
	s_bitcmp1_b32 s17, 0
	v_mov_b64_e32 v[2:3], s[12:13]
	s_cselect_b32 s4, -1, 0
	s_delay_alu instid0(SALU_CYCLE_1)
	s_and_b32 vcc_lo, exec_lo, s4
	s_xor_b32 s4, s4, -1
	s_cbranch_vccnz .LBB313_2
; %bb.1:
	v_mov_b32_e32 v1, 0
	flat_load_b64 v[2:3], v1, s[12:13]
.LBB313_2:
	v_mov_b64_e32 v[4:5], s[2:3]
	s_and_not1_b32 vcc_lo, exec_lo, s4
	s_cbranch_vccnz .LBB313_4
; %bb.3:
	s_wait_xcnt 0x0
	v_mov_b32_e32 v1, 0
	flat_load_b64 v[4:5], v1, s[2:3]
.LBB313_4:
	s_wait_loadcnt_dscnt 0x0
	v_cmp_neq_f64_e32 vcc_lo, 0, v[2:3]
	s_delay_alu instid0(VALU_DEP_2) | instskip(SKIP_1) | instid1(SALU_CYCLE_1)
	v_cmp_neq_f64_e64 s2, 1.0, v[4:5]
	s_or_b32 s2, vcc_lo, s2
	s_and_saveexec_b32 s3, s2
	s_cbranch_execz .LBB313_16
; %bb.5:
	s_bfe_u32 s2, ttmp6, 0x4000c
	s_load_b32 s12, s[0:1], 0x4
	s_add_co_i32 s2, s2, 1
	s_and_b32 s3, ttmp6, 15
	s_mul_i32 s2, ttmp9, s2
	s_getreg_b32 s4, hwreg(HW_REG_IB_STS2, 6, 4)
	s_add_co_i32 s3, s3, s2
	s_cmp_eq_u32 s4, 0
	s_mov_b32 s17, 0
	s_cselect_b32 s2, ttmp9, s3
	s_delay_alu instid0(SALU_CYCLE_1) | instskip(NEXT) | instid1(VALU_DEP_1)
	v_lshl_or_b32 v1, s2, 8, v0
	v_lshrrev_b32_e32 v6, 6, v1
	s_wait_kmcnt 0x0
	s_delay_alu instid0(VALU_DEP_1)
	v_cmp_gt_i32_e32 vcc_lo, s12, v6
	s_and_b32 exec_lo, exec_lo, vcc_lo
	s_cbranch_execz .LBB313_16
; %bb.6:
	v_mbcnt_lo_u32_b32 v7, -1, 0
	s_clause 0x2
	s_load_b256 s[4:11], s[0:1], 0x18
	s_load_b64 s[2:3], s[0:1], 0x40
	s_load_b32 s13, s[0:1], 0x50
	s_wait_xcnt 0x0
	s_ashr_i32 s1, s16, 31
	v_cmp_neq_f64_e32 vcc_lo, 0, v[4:5]
	v_dual_mov_b32 v9, 0 :: v_dual_bitop2_b32 v1, 32, v7 bitop3:0x54
	v_xor_b32_e32 v12, 2, v7
	s_delay_alu instid0(VALU_DEP_2) | instskip(NEXT) | instid1(VALU_DEP_1)
	v_cmp_gt_i32_e64 s0, 32, v1
	v_dual_cndmask_b32 v10, v7, v1, s0 :: v_dual_bitop2_b32 v8, 63, v0 bitop3:0x40
	v_xor_b32_e32 v11, 16, v7
	s_mov_b32 s0, s16
	s_delay_alu instid0(VALU_DEP_2)
	v_sub_nc_u64_e64 v[0:1], v[8:9], s[16:17]
	s_lshl_b64 s[18:19], s[0:1], 3
	v_dual_lshlrev_b32 v18, 2, v10 :: v_dual_bitop2_b32 v9, 8, v7 bitop3:0x14
	v_cmp_gt_i32_e64 s0, 32, v11
	s_wait_kmcnt 0x0
	s_lshl_b32 s13, s13, 2
	s_sub_nc_u64 s[10:11], s[10:11], s[18:19]
	s_mov_b32 s18, s17
	v_cndmask_b32_e64 v10, v7, v11, s0
	v_cmp_gt_i32_e64 s0, 32, v9
	s_delay_alu instid0(VALU_DEP_1) | instskip(NEXT) | instid1(VALU_DEP_1)
	v_dual_cndmask_b32 v9, v7, v9, s0 :: v_dual_bitop2_b32 v13, 1, v7 bitop3:0x14
	v_dual_lshlrev_b32 v19, 2, v10 :: v_dual_lshlrev_b32 v20, 2, v9
	v_xor_b32_e32 v11, 4, v7
	s_delay_alu instid0(VALU_DEP_1) | instskip(NEXT) | instid1(VALU_DEP_1)
	v_cmp_gt_i32_e64 s0, 32, v11
	v_cndmask_b32_e64 v11, v7, v11, s0
	v_cmp_gt_i32_e64 s0, 32, v12
	s_delay_alu instid0(VALU_DEP_1) | instskip(SKIP_1) | instid1(VALU_DEP_1)
	v_cndmask_b32_e64 v12, v7, v12, s0
	v_cmp_gt_i32_e64 s0, 32, v13
	v_dual_lshlrev_b32 v22, 2, v12 :: v_dual_cndmask_b32 v7, v7, v13, s0
	v_lshlrev_b32_e32 v21, 2, v11
	v_cmp_eq_u32_e64 s0, 63, v8
	s_delay_alu instid0(VALU_DEP_3)
	v_lshlrev_b32_e32 v23, 2, v7
	s_branch .LBB313_9
.LBB313_7:                              ;   in Loop: Header=BB313_9 Depth=1
	s_wait_xcnt 0x0
	s_or_b32 exec_lo, exec_lo, s19
	global_store_b64 v[10:11], v[8:9], off
.LBB313_8:                              ;   in Loop: Header=BB313_9 Depth=1
	s_wait_xcnt 0x0
	s_or_b32 exec_lo, exec_lo, s1
	v_add_nc_u32_e32 v6, s13, v6
	s_delay_alu instid0(VALU_DEP_1) | instskip(SKIP_1) | instid1(SALU_CYCLE_1)
	v_cmp_le_i32_e64 s1, s12, v6
	s_or_b32 s18, s1, s18
	s_and_not1_b32 exec_lo, exec_lo, s18
	s_cbranch_execz .LBB313_16
.LBB313_9:                              ; =>This Loop Header: Depth=1
                                        ;     Child Loop BB313_11 Depth 2
	s_clause 0x1
	global_load_b64 v[8:9], v6, s[4:5] scale_offset
	global_load_b64 v[12:13], v6, s[14:15] scale_offset
	s_mov_b32 s19, exec_lo
	s_wait_loadcnt_dscnt 0x100
	v_sub_nc_u64_e64 v[10:11], v[8:9], s[16:17]
	s_wait_loadcnt 0x0
	v_add_nc_u64_e32 v[12:13], v[12:13], v[0:1]
	v_mov_b64_e32 v[8:9], 0
	s_wait_xcnt 0x0
	s_delay_alu instid0(VALU_DEP_2)
	v_cmpx_lt_i64_e64 v[12:13], v[10:11]
	s_cbranch_execz .LBB313_13
; %bb.10:                               ;   in Loop: Header=BB313_9 Depth=1
	v_lshlrev_b64_e32 v[8:9], 2, v[12:13]
	s_mov_b32 s20, 0
	s_delay_alu instid0(VALU_DEP_1)
	v_add_nc_u64_e32 v[14:15], s[8:9], v[8:9]
	v_add_nc_u64_e32 v[16:17], s[6:7], v[8:9]
	v_mov_b64_e32 v[8:9], 0
.LBB313_11:                             ;   Parent Loop BB313_9 Depth=1
                                        ; =>  This Inner Loop Header: Depth=2
	global_load_b32 v7, v[16:17], off
	global_load_b32 v26, v[14:15], off
	v_add_nc_u64_e32 v[12:13], 64, v[12:13]
	s_wait_xcnt 0x0
	v_add_nc_u64_e32 v[14:15], 0x100, v[14:15]
	v_add_nc_u64_e32 v[16:17], 0x100, v[16:17]
	s_delay_alu instid0(VALU_DEP_3)
	v_cmp_ge_i64_e64 s1, v[12:13], v[10:11]
	s_or_b32 s20, s1, s20
	s_wait_loadcnt 0x1
	global_load_b64 v[24:25], v7, s[10:11] scale_offset
	s_wait_loadcnt 0x1
	v_cvt_f64_f32_e32 v[26:27], v26
	s_delay_alu instid0(VALU_DEP_1) | instskip(SKIP_1) | instid1(VALU_DEP_1)
	v_mul_f64_e32 v[26:27], v[2:3], v[26:27]
	s_wait_loadcnt 0x0
	v_fmac_f64_e32 v[8:9], v[26:27], v[24:25]
	s_wait_xcnt 0x0
	s_and_not1_b32 exec_lo, exec_lo, s20
	s_cbranch_execnz .LBB313_11
; %bb.12:                               ;   in Loop: Header=BB313_9 Depth=1
	s_or_b32 exec_lo, exec_lo, s20
.LBB313_13:                             ;   in Loop: Header=BB313_9 Depth=1
	s_delay_alu instid0(SALU_CYCLE_1)
	s_or_b32 exec_lo, exec_lo, s19
	ds_bpermute_b32 v10, v18, v8
	ds_bpermute_b32 v11, v18, v9
	v_ashrrev_i32_e32 v7, 31, v6
	s_wait_dscnt 0x0
	v_add_f64_e32 v[8:9], v[8:9], v[10:11]
	ds_bpermute_b32 v10, v19, v8
	ds_bpermute_b32 v11, v19, v9
	s_wait_dscnt 0x0
	v_add_f64_e32 v[8:9], v[8:9], v[10:11]
	ds_bpermute_b32 v10, v20, v8
	ds_bpermute_b32 v11, v20, v9
	;; [unrolled: 4-line block ×5, first 2 shown]
	s_and_saveexec_b32 s1, s0
	s_cbranch_execz .LBB313_8
; %bb.14:                               ;   in Loop: Header=BB313_9 Depth=1
	s_wait_dscnt 0x0
	v_add_f64_e32 v[8:9], v[8:9], v[10:11]
	v_lshl_add_u64 v[10:11], v[6:7], 3, s[2:3]
	s_and_saveexec_b32 s19, vcc_lo
	s_cbranch_execz .LBB313_7
; %bb.15:                               ;   in Loop: Header=BB313_9 Depth=1
	global_load_b64 v[12:13], v[10:11], off
	s_wait_loadcnt 0x0
	v_fmac_f64_e32 v[8:9], v[4:5], v[12:13]
	s_branch .LBB313_7
.LBB313_16:
	s_endpgm
	.section	.rodata,"a",@progbits
	.p2align	6, 0x0
	.amdhsa_kernel _ZN9rocsparseL21csrmvn_general_kernelILj256ELj64ElifdddEEvbT2_NS_24const_host_device_scalarIT6_EEPKT1_S7_PKS1_PKT3_PKT4_S4_PT5_21rocsparse_index_base_b
		.amdhsa_group_segment_fixed_size 0
		.amdhsa_private_segment_fixed_size 0
		.amdhsa_kernarg_size 336
		.amdhsa_user_sgpr_count 2
		.amdhsa_user_sgpr_dispatch_ptr 0
		.amdhsa_user_sgpr_queue_ptr 0
		.amdhsa_user_sgpr_kernarg_segment_ptr 1
		.amdhsa_user_sgpr_dispatch_id 0
		.amdhsa_user_sgpr_kernarg_preload_length 0
		.amdhsa_user_sgpr_kernarg_preload_offset 0
		.amdhsa_user_sgpr_private_segment_size 0
		.amdhsa_wavefront_size32 1
		.amdhsa_uses_dynamic_stack 0
		.amdhsa_enable_private_segment 0
		.amdhsa_system_sgpr_workgroup_id_x 1
		.amdhsa_system_sgpr_workgroup_id_y 0
		.amdhsa_system_sgpr_workgroup_id_z 0
		.amdhsa_system_sgpr_workgroup_info 0
		.amdhsa_system_vgpr_workitem_id 0
		.amdhsa_next_free_vgpr 28
		.amdhsa_next_free_sgpr 21
		.amdhsa_named_barrier_count 0
		.amdhsa_reserve_vcc 1
		.amdhsa_float_round_mode_32 0
		.amdhsa_float_round_mode_16_64 0
		.amdhsa_float_denorm_mode_32 3
		.amdhsa_float_denorm_mode_16_64 3
		.amdhsa_fp16_overflow 0
		.amdhsa_memory_ordered 1
		.amdhsa_forward_progress 1
		.amdhsa_inst_pref_size 8
		.amdhsa_round_robin_scheduling 0
		.amdhsa_exception_fp_ieee_invalid_op 0
		.amdhsa_exception_fp_denorm_src 0
		.amdhsa_exception_fp_ieee_div_zero 0
		.amdhsa_exception_fp_ieee_overflow 0
		.amdhsa_exception_fp_ieee_underflow 0
		.amdhsa_exception_fp_ieee_inexact 0
		.amdhsa_exception_int_div_zero 0
	.end_amdhsa_kernel
	.section	.text._ZN9rocsparseL21csrmvn_general_kernelILj256ELj64ElifdddEEvbT2_NS_24const_host_device_scalarIT6_EEPKT1_S7_PKS1_PKT3_PKT4_S4_PT5_21rocsparse_index_base_b,"axG",@progbits,_ZN9rocsparseL21csrmvn_general_kernelILj256ELj64ElifdddEEvbT2_NS_24const_host_device_scalarIT6_EEPKT1_S7_PKS1_PKT3_PKT4_S4_PT5_21rocsparse_index_base_b,comdat
.Lfunc_end313:
	.size	_ZN9rocsparseL21csrmvn_general_kernelILj256ELj64ElifdddEEvbT2_NS_24const_host_device_scalarIT6_EEPKT1_S7_PKS1_PKT3_PKT4_S4_PT5_21rocsparse_index_base_b, .Lfunc_end313-_ZN9rocsparseL21csrmvn_general_kernelILj256ELj64ElifdddEEvbT2_NS_24const_host_device_scalarIT6_EEPKT1_S7_PKS1_PKT3_PKT4_S4_PT5_21rocsparse_index_base_b
                                        ; -- End function
	.set _ZN9rocsparseL21csrmvn_general_kernelILj256ELj64ElifdddEEvbT2_NS_24const_host_device_scalarIT6_EEPKT1_S7_PKS1_PKT3_PKT4_S4_PT5_21rocsparse_index_base_b.num_vgpr, 28
	.set _ZN9rocsparseL21csrmvn_general_kernelILj256ELj64ElifdddEEvbT2_NS_24const_host_device_scalarIT6_EEPKT1_S7_PKS1_PKT3_PKT4_S4_PT5_21rocsparse_index_base_b.num_agpr, 0
	.set _ZN9rocsparseL21csrmvn_general_kernelILj256ELj64ElifdddEEvbT2_NS_24const_host_device_scalarIT6_EEPKT1_S7_PKS1_PKT3_PKT4_S4_PT5_21rocsparse_index_base_b.numbered_sgpr, 21
	.set _ZN9rocsparseL21csrmvn_general_kernelILj256ELj64ElifdddEEvbT2_NS_24const_host_device_scalarIT6_EEPKT1_S7_PKS1_PKT3_PKT4_S4_PT5_21rocsparse_index_base_b.num_named_barrier, 0
	.set _ZN9rocsparseL21csrmvn_general_kernelILj256ELj64ElifdddEEvbT2_NS_24const_host_device_scalarIT6_EEPKT1_S7_PKS1_PKT3_PKT4_S4_PT5_21rocsparse_index_base_b.private_seg_size, 0
	.set _ZN9rocsparseL21csrmvn_general_kernelILj256ELj64ElifdddEEvbT2_NS_24const_host_device_scalarIT6_EEPKT1_S7_PKS1_PKT3_PKT4_S4_PT5_21rocsparse_index_base_b.uses_vcc, 1
	.set _ZN9rocsparseL21csrmvn_general_kernelILj256ELj64ElifdddEEvbT2_NS_24const_host_device_scalarIT6_EEPKT1_S7_PKS1_PKT3_PKT4_S4_PT5_21rocsparse_index_base_b.uses_flat_scratch, 0
	.set _ZN9rocsparseL21csrmvn_general_kernelILj256ELj64ElifdddEEvbT2_NS_24const_host_device_scalarIT6_EEPKT1_S7_PKS1_PKT3_PKT4_S4_PT5_21rocsparse_index_base_b.has_dyn_sized_stack, 0
	.set _ZN9rocsparseL21csrmvn_general_kernelILj256ELj64ElifdddEEvbT2_NS_24const_host_device_scalarIT6_EEPKT1_S7_PKS1_PKT3_PKT4_S4_PT5_21rocsparse_index_base_b.has_recursion, 0
	.set _ZN9rocsparseL21csrmvn_general_kernelILj256ELj64ElifdddEEvbT2_NS_24const_host_device_scalarIT6_EEPKT1_S7_PKS1_PKT3_PKT4_S4_PT5_21rocsparse_index_base_b.has_indirect_call, 0
	.section	.AMDGPU.csdata,"",@progbits
; Kernel info:
; codeLenInByte = 988
; TotalNumSgprs: 23
; NumVgprs: 28
; ScratchSize: 0
; MemoryBound: 1
; FloatMode: 240
; IeeeMode: 1
; LDSByteSize: 0 bytes/workgroup (compile time only)
; SGPRBlocks: 0
; VGPRBlocks: 1
; NumSGPRsForWavesPerEU: 23
; NumVGPRsForWavesPerEU: 28
; NamedBarCnt: 0
; Occupancy: 16
; WaveLimiterHint : 1
; COMPUTE_PGM_RSRC2:SCRATCH_EN: 0
; COMPUTE_PGM_RSRC2:USER_SGPR: 2
; COMPUTE_PGM_RSRC2:TRAP_HANDLER: 0
; COMPUTE_PGM_RSRC2:TGID_X_EN: 1
; COMPUTE_PGM_RSRC2:TGID_Y_EN: 0
; COMPUTE_PGM_RSRC2:TGID_Z_EN: 0
; COMPUTE_PGM_RSRC2:TIDIG_COMP_CNT: 0
	.section	.text._ZN9rocsparseL21csrmvt_general_kernelILj256ELj4ElifdddEEvbbT2_NS_24const_host_device_scalarIT6_EEPKT1_S7_PKS1_PKT3_PKT4_PT5_21rocsparse_index_base_b,"axG",@progbits,_ZN9rocsparseL21csrmvt_general_kernelILj256ELj4ElifdddEEvbbT2_NS_24const_host_device_scalarIT6_EEPKT1_S7_PKS1_PKT3_PKT4_PT5_21rocsparse_index_base_b,comdat
	.globl	_ZN9rocsparseL21csrmvt_general_kernelILj256ELj4ElifdddEEvbbT2_NS_24const_host_device_scalarIT6_EEPKT1_S7_PKS1_PKT3_PKT4_PT5_21rocsparse_index_base_b ; -- Begin function _ZN9rocsparseL21csrmvt_general_kernelILj256ELj4ElifdddEEvbbT2_NS_24const_host_device_scalarIT6_EEPKT1_S7_PKS1_PKT3_PKT4_PT5_21rocsparse_index_base_b
	.p2align	8
	.type	_ZN9rocsparseL21csrmvt_general_kernelILj256ELj4ElifdddEEvbbT2_NS_24const_host_device_scalarIT6_EEPKT1_S7_PKS1_PKT3_PKT4_PT5_21rocsparse_index_base_b,@function
_ZN9rocsparseL21csrmvt_general_kernelILj256ELj4ElifdddEEvbbT2_NS_24const_host_device_scalarIT6_EEPKT1_S7_PKS1_PKT3_PKT4_PT5_21rocsparse_index_base_b: ; @_ZN9rocsparseL21csrmvt_general_kernelILj256ELj4ElifdddEEvbbT2_NS_24const_host_device_scalarIT6_EEPKT1_S7_PKS1_PKT3_PKT4_PT5_21rocsparse_index_base_b
; %bb.0:
	s_clause 0x1
	s_load_b64 s[2:3], s[0:1], 0x40
	s_load_b128 s[12:15], s[0:1], 0x8
	s_wait_kmcnt 0x0
	s_bitcmp1_b32 s3, 0
	v_mov_b64_e32 v[2:3], s[12:13]
	s_cselect_b32 s3, -1, 0
	s_delay_alu instid0(SALU_CYCLE_1)
	s_and_b32 vcc_lo, exec_lo, s3
	s_cbranch_vccnz .LBB314_2
; %bb.1:
	v_mov_b32_e32 v1, 0
	flat_load_b64 v[2:3], v1, s[12:13]
.LBB314_2:
	s_mov_b32 s3, exec_lo
	s_wait_loadcnt_dscnt 0x0
	s_delay_alu instid0(VALU_DEP_1)
	v_cmpx_neq_f64_e32 0, v[2:3]
	s_cbranch_execz .LBB314_20
; %bb.3:
	s_clause 0x3
	s_load_b64 s[12:13], s[0:1], 0x0
	s_load_b32 s3, s[0:1], 0x48
	s_load_b64 s[16:17], s[0:1], 0x38
	s_load_b256 s[4:11], s[0:1], 0x18
	s_wait_xcnt 0x0
	s_bfe_u32 s0, ttmp6, 0x4000c
	s_and_b32 s18, ttmp6, 15
	s_add_co_i32 s0, s0, 1
	s_getreg_b32 s19, hwreg(HW_REG_IB_STS2, 6, 4)
	s_mul_i32 s0, ttmp9, s0
	s_delay_alu instid0(SALU_CYCLE_1)
	s_add_co_i32 s18, s18, s0
	s_wait_kmcnt 0x0
	s_and_b32 s12, s12, 1
	s_lshl_b32 s1, s3, 6
	s_cmp_eq_u32 s19, 0
	s_mov_b32 s3, -1
	s_cselect_b32 s0, ttmp9, s18
	s_cmp_eq_u32 s12, 0
	v_lshl_or_b32 v1, s0, 8, v0
	s_delay_alu instid0(VALU_DEP_1) | instskip(NEXT) | instid1(VALU_DEP_1)
	v_dual_lshrrev_b32 v4, 2, v1 :: v_dual_bitop2_b32 v0, 3, v0 bitop3:0x40
	v_cmp_gt_i32_e64 s0, s13, v4
	s_cbranch_scc0 .LBB314_11
; %bb.4:
	s_and_saveexec_b32 s12, s0
	s_cbranch_execz .LBB314_10
; %bb.5:
	v_dual_mov_b32 v1, 0 :: v_dual_mov_b32 v8, v4
	s_mov_b32 s3, 0
	s_delay_alu instid0(SALU_CYCLE_1) | instskip(NEXT) | instid1(VALU_DEP_1)
	s_mov_b32 s18, s3
	v_sub_nc_u64_e64 v[6:7], v[0:1], s[2:3]
	s_branch .LBB314_7
.LBB314_6:                              ;   in Loop: Header=BB314_7 Depth=1
	s_or_b32 exec_lo, exec_lo, s19
	v_add_nc_u32_e32 v8, s1, v8
	s_delay_alu instid0(VALU_DEP_1) | instskip(SKIP_1) | instid1(SALU_CYCLE_1)
	v_cmp_le_i32_e32 vcc_lo, s13, v8
	s_or_b32 s18, vcc_lo, s18
	s_and_not1_b32 exec_lo, exec_lo, s18
	s_cbranch_execz .LBB314_10
.LBB314_7:                              ; =>This Loop Header: Depth=1
                                        ;     Child Loop BB314_9 Depth 2
	s_clause 0x1
	global_load_b64 v[10:11], v8, s[4:5] scale_offset
	global_load_b64 v[12:13], v8, s[14:15] scale_offset
	s_mov_b32 s19, exec_lo
	s_wait_loadcnt 0x1
	v_sub_nc_u64_e64 v[10:11], v[10:11], s[2:3]
	s_wait_loadcnt 0x0
	v_add_nc_u64_e32 v[12:13], v[12:13], v[6:7]
	s_wait_xcnt 0x0
	s_delay_alu instid0(VALU_DEP_1)
	v_cmpx_lt_i64_e64 v[12:13], v[10:11]
	s_cbranch_execz .LBB314_6
; %bb.8:                                ;   in Loop: Header=BB314_7 Depth=1
	v_ashrrev_i32_e32 v9, 31, v8
	v_lshlrev_b64_e32 v[18:19], 2, v[12:13]
	s_mov_b32 s20, 0
	s_delay_alu instid0(VALU_DEP_2) | instskip(NEXT) | instid1(VALU_DEP_2)
	v_lshl_add_u64 v[14:15], v[8:9], 3, s[10:11]
	v_add_nc_u64_e32 v[16:17], s[6:7], v[18:19]
	v_add_nc_u64_e32 v[18:19], s[8:9], v[18:19]
	global_load_b64 v[14:15], v[14:15], off
	s_wait_loadcnt 0x0
	s_wait_xcnt 0x0
	v_mul_f64_e32 v[14:15], v[2:3], v[14:15]
.LBB314_9:                              ;   Parent Loop BB314_7 Depth=1
                                        ; =>  This Inner Loop Header: Depth=2
	global_load_b32 v1, v[18:19], off
	global_load_b32 v5, v[16:17], off
	v_add_nc_u64_e32 v[12:13], 4, v[12:13]
	s_wait_xcnt 0x0
	v_add_nc_u64_e32 v[16:17], 16, v[16:17]
	v_add_nc_u64_e32 v[18:19], 16, v[18:19]
	s_delay_alu instid0(VALU_DEP_3)
	v_cmp_ge_i64_e32 vcc_lo, v[12:13], v[10:11]
	s_or_b32 s20, vcc_lo, s20
	s_wait_loadcnt 0x1
	v_cvt_f64_f32_e32 v[20:21], v1
	s_wait_loadcnt 0x0
	v_subrev_nc_u32_e32 v1, s2, v5
	s_delay_alu instid0(VALU_DEP_2)
	v_mul_f64_e32 v[20:21], v[14:15], v[20:21]
	global_atomic_add_f64 v1, v[20:21], s[16:17] scale_offset scope:SCOPE_DEV
	s_wait_xcnt 0x0
	s_and_not1_b32 exec_lo, exec_lo, s20
	s_cbranch_execnz .LBB314_9
	s_branch .LBB314_6
.LBB314_10:
	s_or_b32 exec_lo, exec_lo, s12
	s_mov_b32 s3, 0
.LBB314_11:
	s_delay_alu instid0(SALU_CYCLE_1)
	s_and_not1_b32 vcc_lo, exec_lo, s3
	s_cbranch_vccnz .LBB314_20
; %bb.12:
	s_and_b32 exec_lo, exec_lo, s0
	s_cbranch_execz .LBB314_20
; %bb.13:
	v_mov_b32_e32 v1, 0
	s_mov_b32 s3, 0
	s_delay_alu instid0(SALU_CYCLE_1) | instskip(NEXT) | instid1(VALU_DEP_1)
	s_mov_b32 s0, s3
	v_sub_nc_u64_e64 v[0:1], v[0:1], s[2:3]
	s_branch .LBB314_15
.LBB314_14:                             ;   in Loop: Header=BB314_15 Depth=1
	s_or_b32 exec_lo, exec_lo, s12
	v_add_nc_u32_e32 v4, s1, v4
	s_delay_alu instid0(VALU_DEP_1) | instskip(SKIP_1) | instid1(SALU_CYCLE_1)
	v_cmp_le_i32_e32 vcc_lo, s13, v4
	s_or_b32 s0, vcc_lo, s0
	s_and_not1_b32 exec_lo, exec_lo, s0
	s_cbranch_execz .LBB314_20
.LBB314_15:                             ; =>This Loop Header: Depth=1
                                        ;     Child Loop BB314_18 Depth 2
	s_clause 0x1
	global_load_b64 v[6:7], v4, s[4:5] scale_offset
	global_load_b64 v[8:9], v4, s[14:15] scale_offset
	s_mov_b32 s12, exec_lo
	s_wait_loadcnt 0x1
	v_sub_nc_u64_e64 v[6:7], v[6:7], s[2:3]
	s_wait_loadcnt 0x0
	v_add_nc_u64_e32 v[8:9], v[8:9], v[0:1]
	s_wait_xcnt 0x0
	s_delay_alu instid0(VALU_DEP_1)
	v_cmpx_lt_i64_e64 v[8:9], v[6:7]
	s_cbranch_execz .LBB314_14
; %bb.16:                               ;   in Loop: Header=BB314_15 Depth=1
	v_ashrrev_i32_e32 v5, 31, v4
	v_lshlrev_b64_e32 v[14:15], 2, v[8:9]
	s_mov_b32 s18, 0
	s_delay_alu instid0(VALU_DEP_2) | instskip(NEXT) | instid1(VALU_DEP_2)
	v_lshl_add_u64 v[10:11], v[4:5], 3, s[10:11]
	v_add_nc_u64_e32 v[12:13], s[6:7], v[14:15]
	v_add_nc_u64_e32 v[14:15], s[8:9], v[14:15]
	global_load_b64 v[10:11], v[10:11], off
	s_wait_loadcnt 0x0
	v_mul_f64_e32 v[10:11], v[2:3], v[10:11]
	s_branch .LBB314_18
.LBB314_17:                             ;   in Loop: Header=BB314_18 Depth=2
	s_wait_xcnt 0x0
	s_or_b32 exec_lo, exec_lo, s19
	v_add_nc_u64_e32 v[8:9], 4, v[8:9]
	v_add_nc_u64_e32 v[12:13], 16, v[12:13]
	;; [unrolled: 1-line block ×3, first 2 shown]
	s_delay_alu instid0(VALU_DEP_3) | instskip(SKIP_1) | instid1(SALU_CYCLE_1)
	v_cmp_ge_i64_e32 vcc_lo, v[8:9], v[6:7]
	s_or_b32 s18, vcc_lo, s18
	s_and_not1_b32 exec_lo, exec_lo, s18
	s_cbranch_execz .LBB314_14
.LBB314_18:                             ;   Parent Loop BB314_15 Depth=1
                                        ; =>  This Inner Loop Header: Depth=2
	global_load_b32 v5, v[12:13], off
	s_mov_b32 s19, exec_lo
	s_wait_loadcnt 0x0
	v_subrev_nc_u32_e32 v5, s2, v5
	s_wait_xcnt 0x0
	s_delay_alu instid0(VALU_DEP_1)
	v_cmpx_ne_u32_e64 v5, v4
	s_cbranch_execz .LBB314_17
; %bb.19:                               ;   in Loop: Header=BB314_18 Depth=2
	global_load_b32 v16, v[14:15], off
	s_wait_loadcnt 0x0
	v_cvt_f64_f32_e32 v[16:17], v16
	s_delay_alu instid0(VALU_DEP_1)
	v_mul_f64_e32 v[16:17], v[10:11], v[16:17]
	s_wait_xcnt 0x0
	global_atomic_add_f64 v5, v[16:17], s[16:17] scale_offset scope:SCOPE_DEV
	s_branch .LBB314_17
.LBB314_20:
	s_endpgm
	.section	.rodata,"a",@progbits
	.p2align	6, 0x0
	.amdhsa_kernel _ZN9rocsparseL21csrmvt_general_kernelILj256ELj4ElifdddEEvbbT2_NS_24const_host_device_scalarIT6_EEPKT1_S7_PKS1_PKT3_PKT4_PT5_21rocsparse_index_base_b
		.amdhsa_group_segment_fixed_size 0
		.amdhsa_private_segment_fixed_size 0
		.amdhsa_kernarg_size 328
		.amdhsa_user_sgpr_count 2
		.amdhsa_user_sgpr_dispatch_ptr 0
		.amdhsa_user_sgpr_queue_ptr 0
		.amdhsa_user_sgpr_kernarg_segment_ptr 1
		.amdhsa_user_sgpr_dispatch_id 0
		.amdhsa_user_sgpr_kernarg_preload_length 0
		.amdhsa_user_sgpr_kernarg_preload_offset 0
		.amdhsa_user_sgpr_private_segment_size 0
		.amdhsa_wavefront_size32 1
		.amdhsa_uses_dynamic_stack 0
		.amdhsa_enable_private_segment 0
		.amdhsa_system_sgpr_workgroup_id_x 1
		.amdhsa_system_sgpr_workgroup_id_y 0
		.amdhsa_system_sgpr_workgroup_id_z 0
		.amdhsa_system_sgpr_workgroup_info 0
		.amdhsa_system_vgpr_workitem_id 0
		.amdhsa_next_free_vgpr 22
		.amdhsa_next_free_sgpr 21
		.amdhsa_named_barrier_count 0
		.amdhsa_reserve_vcc 1
		.amdhsa_float_round_mode_32 0
		.amdhsa_float_round_mode_16_64 0
		.amdhsa_float_denorm_mode_32 3
		.amdhsa_float_denorm_mode_16_64 3
		.amdhsa_fp16_overflow 0
		.amdhsa_memory_ordered 1
		.amdhsa_forward_progress 1
		.amdhsa_inst_pref_size 7
		.amdhsa_round_robin_scheduling 0
		.amdhsa_exception_fp_ieee_invalid_op 0
		.amdhsa_exception_fp_denorm_src 0
		.amdhsa_exception_fp_ieee_div_zero 0
		.amdhsa_exception_fp_ieee_overflow 0
		.amdhsa_exception_fp_ieee_underflow 0
		.amdhsa_exception_fp_ieee_inexact 0
		.amdhsa_exception_int_div_zero 0
	.end_amdhsa_kernel
	.section	.text._ZN9rocsparseL21csrmvt_general_kernelILj256ELj4ElifdddEEvbbT2_NS_24const_host_device_scalarIT6_EEPKT1_S7_PKS1_PKT3_PKT4_PT5_21rocsparse_index_base_b,"axG",@progbits,_ZN9rocsparseL21csrmvt_general_kernelILj256ELj4ElifdddEEvbbT2_NS_24const_host_device_scalarIT6_EEPKT1_S7_PKS1_PKT3_PKT4_PT5_21rocsparse_index_base_b,comdat
.Lfunc_end314:
	.size	_ZN9rocsparseL21csrmvt_general_kernelILj256ELj4ElifdddEEvbbT2_NS_24const_host_device_scalarIT6_EEPKT1_S7_PKS1_PKT3_PKT4_PT5_21rocsparse_index_base_b, .Lfunc_end314-_ZN9rocsparseL21csrmvt_general_kernelILj256ELj4ElifdddEEvbbT2_NS_24const_host_device_scalarIT6_EEPKT1_S7_PKS1_PKT3_PKT4_PT5_21rocsparse_index_base_b
                                        ; -- End function
	.set _ZN9rocsparseL21csrmvt_general_kernelILj256ELj4ElifdddEEvbbT2_NS_24const_host_device_scalarIT6_EEPKT1_S7_PKS1_PKT3_PKT4_PT5_21rocsparse_index_base_b.num_vgpr, 22
	.set _ZN9rocsparseL21csrmvt_general_kernelILj256ELj4ElifdddEEvbbT2_NS_24const_host_device_scalarIT6_EEPKT1_S7_PKS1_PKT3_PKT4_PT5_21rocsparse_index_base_b.num_agpr, 0
	.set _ZN9rocsparseL21csrmvt_general_kernelILj256ELj4ElifdddEEvbbT2_NS_24const_host_device_scalarIT6_EEPKT1_S7_PKS1_PKT3_PKT4_PT5_21rocsparse_index_base_b.numbered_sgpr, 21
	.set _ZN9rocsparseL21csrmvt_general_kernelILj256ELj4ElifdddEEvbbT2_NS_24const_host_device_scalarIT6_EEPKT1_S7_PKS1_PKT3_PKT4_PT5_21rocsparse_index_base_b.num_named_barrier, 0
	.set _ZN9rocsparseL21csrmvt_general_kernelILj256ELj4ElifdddEEvbbT2_NS_24const_host_device_scalarIT6_EEPKT1_S7_PKS1_PKT3_PKT4_PT5_21rocsparse_index_base_b.private_seg_size, 0
	.set _ZN9rocsparseL21csrmvt_general_kernelILj256ELj4ElifdddEEvbbT2_NS_24const_host_device_scalarIT6_EEPKT1_S7_PKS1_PKT3_PKT4_PT5_21rocsparse_index_base_b.uses_vcc, 1
	.set _ZN9rocsparseL21csrmvt_general_kernelILj256ELj4ElifdddEEvbbT2_NS_24const_host_device_scalarIT6_EEPKT1_S7_PKS1_PKT3_PKT4_PT5_21rocsparse_index_base_b.uses_flat_scratch, 0
	.set _ZN9rocsparseL21csrmvt_general_kernelILj256ELj4ElifdddEEvbbT2_NS_24const_host_device_scalarIT6_EEPKT1_S7_PKS1_PKT3_PKT4_PT5_21rocsparse_index_base_b.has_dyn_sized_stack, 0
	.set _ZN9rocsparseL21csrmvt_general_kernelILj256ELj4ElifdddEEvbbT2_NS_24const_host_device_scalarIT6_EEPKT1_S7_PKS1_PKT3_PKT4_PT5_21rocsparse_index_base_b.has_recursion, 0
	.set _ZN9rocsparseL21csrmvt_general_kernelILj256ELj4ElifdddEEvbbT2_NS_24const_host_device_scalarIT6_EEPKT1_S7_PKS1_PKT3_PKT4_PT5_21rocsparse_index_base_b.has_indirect_call, 0
	.section	.AMDGPU.csdata,"",@progbits
; Kernel info:
; codeLenInByte = 868
; TotalNumSgprs: 23
; NumVgprs: 22
; ScratchSize: 0
; MemoryBound: 0
; FloatMode: 240
; IeeeMode: 1
; LDSByteSize: 0 bytes/workgroup (compile time only)
; SGPRBlocks: 0
; VGPRBlocks: 1
; NumSGPRsForWavesPerEU: 23
; NumVGPRsForWavesPerEU: 22
; NamedBarCnt: 0
; Occupancy: 16
; WaveLimiterHint : 1
; COMPUTE_PGM_RSRC2:SCRATCH_EN: 0
; COMPUTE_PGM_RSRC2:USER_SGPR: 2
; COMPUTE_PGM_RSRC2:TRAP_HANDLER: 0
; COMPUTE_PGM_RSRC2:TGID_X_EN: 1
; COMPUTE_PGM_RSRC2:TGID_Y_EN: 0
; COMPUTE_PGM_RSRC2:TGID_Z_EN: 0
; COMPUTE_PGM_RSRC2:TIDIG_COMP_CNT: 0
	.section	.text._ZN9rocsparseL21csrmvt_general_kernelILj256ELj8ElifdddEEvbbT2_NS_24const_host_device_scalarIT6_EEPKT1_S7_PKS1_PKT3_PKT4_PT5_21rocsparse_index_base_b,"axG",@progbits,_ZN9rocsparseL21csrmvt_general_kernelILj256ELj8ElifdddEEvbbT2_NS_24const_host_device_scalarIT6_EEPKT1_S7_PKS1_PKT3_PKT4_PT5_21rocsparse_index_base_b,comdat
	.globl	_ZN9rocsparseL21csrmvt_general_kernelILj256ELj8ElifdddEEvbbT2_NS_24const_host_device_scalarIT6_EEPKT1_S7_PKS1_PKT3_PKT4_PT5_21rocsparse_index_base_b ; -- Begin function _ZN9rocsparseL21csrmvt_general_kernelILj256ELj8ElifdddEEvbbT2_NS_24const_host_device_scalarIT6_EEPKT1_S7_PKS1_PKT3_PKT4_PT5_21rocsparse_index_base_b
	.p2align	8
	.type	_ZN9rocsparseL21csrmvt_general_kernelILj256ELj8ElifdddEEvbbT2_NS_24const_host_device_scalarIT6_EEPKT1_S7_PKS1_PKT3_PKT4_PT5_21rocsparse_index_base_b,@function
_ZN9rocsparseL21csrmvt_general_kernelILj256ELj8ElifdddEEvbbT2_NS_24const_host_device_scalarIT6_EEPKT1_S7_PKS1_PKT3_PKT4_PT5_21rocsparse_index_base_b: ; @_ZN9rocsparseL21csrmvt_general_kernelILj256ELj8ElifdddEEvbbT2_NS_24const_host_device_scalarIT6_EEPKT1_S7_PKS1_PKT3_PKT4_PT5_21rocsparse_index_base_b
; %bb.0:
	s_clause 0x1
	s_load_b64 s[2:3], s[0:1], 0x40
	s_load_b128 s[12:15], s[0:1], 0x8
	s_wait_kmcnt 0x0
	s_bitcmp1_b32 s3, 0
	v_mov_b64_e32 v[2:3], s[12:13]
	s_cselect_b32 s3, -1, 0
	s_delay_alu instid0(SALU_CYCLE_1)
	s_and_b32 vcc_lo, exec_lo, s3
	s_cbranch_vccnz .LBB315_2
; %bb.1:
	v_mov_b32_e32 v1, 0
	flat_load_b64 v[2:3], v1, s[12:13]
.LBB315_2:
	s_mov_b32 s3, exec_lo
	s_wait_loadcnt_dscnt 0x0
	s_delay_alu instid0(VALU_DEP_1)
	v_cmpx_neq_f64_e32 0, v[2:3]
	s_cbranch_execz .LBB315_20
; %bb.3:
	s_clause 0x3
	s_load_b64 s[12:13], s[0:1], 0x0
	s_load_b32 s3, s[0:1], 0x48
	s_load_b64 s[16:17], s[0:1], 0x38
	s_load_b256 s[4:11], s[0:1], 0x18
	s_wait_xcnt 0x0
	s_bfe_u32 s0, ttmp6, 0x4000c
	s_and_b32 s18, ttmp6, 15
	s_add_co_i32 s0, s0, 1
	s_getreg_b32 s19, hwreg(HW_REG_IB_STS2, 6, 4)
	s_mul_i32 s0, ttmp9, s0
	s_delay_alu instid0(SALU_CYCLE_1)
	s_add_co_i32 s18, s18, s0
	s_wait_kmcnt 0x0
	s_and_b32 s12, s12, 1
	s_lshl_b32 s1, s3, 5
	s_cmp_eq_u32 s19, 0
	s_mov_b32 s3, -1
	s_cselect_b32 s0, ttmp9, s18
	s_cmp_eq_u32 s12, 0
	v_lshl_or_b32 v1, s0, 8, v0
	s_delay_alu instid0(VALU_DEP_1) | instskip(NEXT) | instid1(VALU_DEP_1)
	v_dual_lshrrev_b32 v4, 3, v1 :: v_dual_bitop2_b32 v0, 7, v0 bitop3:0x40
	v_cmp_gt_i32_e64 s0, s13, v4
	s_cbranch_scc0 .LBB315_11
; %bb.4:
	s_and_saveexec_b32 s12, s0
	s_cbranch_execz .LBB315_10
; %bb.5:
	v_dual_mov_b32 v1, 0 :: v_dual_mov_b32 v8, v4
	s_mov_b32 s3, 0
	s_delay_alu instid0(SALU_CYCLE_1) | instskip(NEXT) | instid1(VALU_DEP_1)
	s_mov_b32 s18, s3
	v_sub_nc_u64_e64 v[6:7], v[0:1], s[2:3]
	s_branch .LBB315_7
.LBB315_6:                              ;   in Loop: Header=BB315_7 Depth=1
	s_or_b32 exec_lo, exec_lo, s19
	v_add_nc_u32_e32 v8, s1, v8
	s_delay_alu instid0(VALU_DEP_1) | instskip(SKIP_1) | instid1(SALU_CYCLE_1)
	v_cmp_le_i32_e32 vcc_lo, s13, v8
	s_or_b32 s18, vcc_lo, s18
	s_and_not1_b32 exec_lo, exec_lo, s18
	s_cbranch_execz .LBB315_10
.LBB315_7:                              ; =>This Loop Header: Depth=1
                                        ;     Child Loop BB315_9 Depth 2
	s_clause 0x1
	global_load_b64 v[10:11], v8, s[4:5] scale_offset
	global_load_b64 v[12:13], v8, s[14:15] scale_offset
	s_mov_b32 s19, exec_lo
	s_wait_loadcnt 0x1
	v_sub_nc_u64_e64 v[10:11], v[10:11], s[2:3]
	s_wait_loadcnt 0x0
	v_add_nc_u64_e32 v[12:13], v[12:13], v[6:7]
	s_wait_xcnt 0x0
	s_delay_alu instid0(VALU_DEP_1)
	v_cmpx_lt_i64_e64 v[12:13], v[10:11]
	s_cbranch_execz .LBB315_6
; %bb.8:                                ;   in Loop: Header=BB315_7 Depth=1
	v_ashrrev_i32_e32 v9, 31, v8
	v_lshlrev_b64_e32 v[18:19], 2, v[12:13]
	s_mov_b32 s20, 0
	s_delay_alu instid0(VALU_DEP_2) | instskip(NEXT) | instid1(VALU_DEP_2)
	v_lshl_add_u64 v[14:15], v[8:9], 3, s[10:11]
	v_add_nc_u64_e32 v[16:17], s[6:7], v[18:19]
	v_add_nc_u64_e32 v[18:19], s[8:9], v[18:19]
	global_load_b64 v[14:15], v[14:15], off
	s_wait_loadcnt 0x0
	s_wait_xcnt 0x0
	v_mul_f64_e32 v[14:15], v[2:3], v[14:15]
.LBB315_9:                              ;   Parent Loop BB315_7 Depth=1
                                        ; =>  This Inner Loop Header: Depth=2
	global_load_b32 v1, v[18:19], off
	global_load_b32 v5, v[16:17], off
	v_add_nc_u64_e32 v[12:13], 8, v[12:13]
	s_wait_xcnt 0x0
	v_add_nc_u64_e32 v[16:17], 32, v[16:17]
	v_add_nc_u64_e32 v[18:19], 32, v[18:19]
	s_delay_alu instid0(VALU_DEP_3)
	v_cmp_ge_i64_e32 vcc_lo, v[12:13], v[10:11]
	s_or_b32 s20, vcc_lo, s20
	s_wait_loadcnt 0x1
	v_cvt_f64_f32_e32 v[20:21], v1
	s_wait_loadcnt 0x0
	v_subrev_nc_u32_e32 v1, s2, v5
	s_delay_alu instid0(VALU_DEP_2)
	v_mul_f64_e32 v[20:21], v[14:15], v[20:21]
	global_atomic_add_f64 v1, v[20:21], s[16:17] scale_offset scope:SCOPE_DEV
	s_wait_xcnt 0x0
	s_and_not1_b32 exec_lo, exec_lo, s20
	s_cbranch_execnz .LBB315_9
	s_branch .LBB315_6
.LBB315_10:
	s_or_b32 exec_lo, exec_lo, s12
	s_mov_b32 s3, 0
.LBB315_11:
	s_delay_alu instid0(SALU_CYCLE_1)
	s_and_not1_b32 vcc_lo, exec_lo, s3
	s_cbranch_vccnz .LBB315_20
; %bb.12:
	s_and_b32 exec_lo, exec_lo, s0
	s_cbranch_execz .LBB315_20
; %bb.13:
	v_mov_b32_e32 v1, 0
	s_mov_b32 s3, 0
	s_delay_alu instid0(SALU_CYCLE_1) | instskip(NEXT) | instid1(VALU_DEP_1)
	s_mov_b32 s0, s3
	v_sub_nc_u64_e64 v[0:1], v[0:1], s[2:3]
	s_branch .LBB315_15
.LBB315_14:                             ;   in Loop: Header=BB315_15 Depth=1
	s_or_b32 exec_lo, exec_lo, s12
	v_add_nc_u32_e32 v4, s1, v4
	s_delay_alu instid0(VALU_DEP_1) | instskip(SKIP_1) | instid1(SALU_CYCLE_1)
	v_cmp_le_i32_e32 vcc_lo, s13, v4
	s_or_b32 s0, vcc_lo, s0
	s_and_not1_b32 exec_lo, exec_lo, s0
	s_cbranch_execz .LBB315_20
.LBB315_15:                             ; =>This Loop Header: Depth=1
                                        ;     Child Loop BB315_18 Depth 2
	s_clause 0x1
	global_load_b64 v[6:7], v4, s[4:5] scale_offset
	global_load_b64 v[8:9], v4, s[14:15] scale_offset
	s_mov_b32 s12, exec_lo
	s_wait_loadcnt 0x1
	v_sub_nc_u64_e64 v[6:7], v[6:7], s[2:3]
	s_wait_loadcnt 0x0
	v_add_nc_u64_e32 v[8:9], v[8:9], v[0:1]
	s_wait_xcnt 0x0
	s_delay_alu instid0(VALU_DEP_1)
	v_cmpx_lt_i64_e64 v[8:9], v[6:7]
	s_cbranch_execz .LBB315_14
; %bb.16:                               ;   in Loop: Header=BB315_15 Depth=1
	v_ashrrev_i32_e32 v5, 31, v4
	v_lshlrev_b64_e32 v[14:15], 2, v[8:9]
	s_mov_b32 s18, 0
	s_delay_alu instid0(VALU_DEP_2) | instskip(NEXT) | instid1(VALU_DEP_2)
	v_lshl_add_u64 v[10:11], v[4:5], 3, s[10:11]
	v_add_nc_u64_e32 v[12:13], s[6:7], v[14:15]
	v_add_nc_u64_e32 v[14:15], s[8:9], v[14:15]
	global_load_b64 v[10:11], v[10:11], off
	s_wait_loadcnt 0x0
	v_mul_f64_e32 v[10:11], v[2:3], v[10:11]
	s_branch .LBB315_18
.LBB315_17:                             ;   in Loop: Header=BB315_18 Depth=2
	s_wait_xcnt 0x0
	s_or_b32 exec_lo, exec_lo, s19
	v_add_nc_u64_e32 v[8:9], 8, v[8:9]
	v_add_nc_u64_e32 v[12:13], 32, v[12:13]
	;; [unrolled: 1-line block ×3, first 2 shown]
	s_delay_alu instid0(VALU_DEP_3) | instskip(SKIP_1) | instid1(SALU_CYCLE_1)
	v_cmp_ge_i64_e32 vcc_lo, v[8:9], v[6:7]
	s_or_b32 s18, vcc_lo, s18
	s_and_not1_b32 exec_lo, exec_lo, s18
	s_cbranch_execz .LBB315_14
.LBB315_18:                             ;   Parent Loop BB315_15 Depth=1
                                        ; =>  This Inner Loop Header: Depth=2
	global_load_b32 v5, v[12:13], off
	s_mov_b32 s19, exec_lo
	s_wait_loadcnt 0x0
	v_subrev_nc_u32_e32 v5, s2, v5
	s_wait_xcnt 0x0
	s_delay_alu instid0(VALU_DEP_1)
	v_cmpx_ne_u32_e64 v5, v4
	s_cbranch_execz .LBB315_17
; %bb.19:                               ;   in Loop: Header=BB315_18 Depth=2
	global_load_b32 v16, v[14:15], off
	s_wait_loadcnt 0x0
	v_cvt_f64_f32_e32 v[16:17], v16
	s_delay_alu instid0(VALU_DEP_1)
	v_mul_f64_e32 v[16:17], v[10:11], v[16:17]
	s_wait_xcnt 0x0
	global_atomic_add_f64 v5, v[16:17], s[16:17] scale_offset scope:SCOPE_DEV
	s_branch .LBB315_17
.LBB315_20:
	s_endpgm
	.section	.rodata,"a",@progbits
	.p2align	6, 0x0
	.amdhsa_kernel _ZN9rocsparseL21csrmvt_general_kernelILj256ELj8ElifdddEEvbbT2_NS_24const_host_device_scalarIT6_EEPKT1_S7_PKS1_PKT3_PKT4_PT5_21rocsparse_index_base_b
		.amdhsa_group_segment_fixed_size 0
		.amdhsa_private_segment_fixed_size 0
		.amdhsa_kernarg_size 328
		.amdhsa_user_sgpr_count 2
		.amdhsa_user_sgpr_dispatch_ptr 0
		.amdhsa_user_sgpr_queue_ptr 0
		.amdhsa_user_sgpr_kernarg_segment_ptr 1
		.amdhsa_user_sgpr_dispatch_id 0
		.amdhsa_user_sgpr_kernarg_preload_length 0
		.amdhsa_user_sgpr_kernarg_preload_offset 0
		.amdhsa_user_sgpr_private_segment_size 0
		.amdhsa_wavefront_size32 1
		.amdhsa_uses_dynamic_stack 0
		.amdhsa_enable_private_segment 0
		.amdhsa_system_sgpr_workgroup_id_x 1
		.amdhsa_system_sgpr_workgroup_id_y 0
		.amdhsa_system_sgpr_workgroup_id_z 0
		.amdhsa_system_sgpr_workgroup_info 0
		.amdhsa_system_vgpr_workitem_id 0
		.amdhsa_next_free_vgpr 22
		.amdhsa_next_free_sgpr 21
		.amdhsa_named_barrier_count 0
		.amdhsa_reserve_vcc 1
		.amdhsa_float_round_mode_32 0
		.amdhsa_float_round_mode_16_64 0
		.amdhsa_float_denorm_mode_32 3
		.amdhsa_float_denorm_mode_16_64 3
		.amdhsa_fp16_overflow 0
		.amdhsa_memory_ordered 1
		.amdhsa_forward_progress 1
		.amdhsa_inst_pref_size 7
		.amdhsa_round_robin_scheduling 0
		.amdhsa_exception_fp_ieee_invalid_op 0
		.amdhsa_exception_fp_denorm_src 0
		.amdhsa_exception_fp_ieee_div_zero 0
		.amdhsa_exception_fp_ieee_overflow 0
		.amdhsa_exception_fp_ieee_underflow 0
		.amdhsa_exception_fp_ieee_inexact 0
		.amdhsa_exception_int_div_zero 0
	.end_amdhsa_kernel
	.section	.text._ZN9rocsparseL21csrmvt_general_kernelILj256ELj8ElifdddEEvbbT2_NS_24const_host_device_scalarIT6_EEPKT1_S7_PKS1_PKT3_PKT4_PT5_21rocsparse_index_base_b,"axG",@progbits,_ZN9rocsparseL21csrmvt_general_kernelILj256ELj8ElifdddEEvbbT2_NS_24const_host_device_scalarIT6_EEPKT1_S7_PKS1_PKT3_PKT4_PT5_21rocsparse_index_base_b,comdat
.Lfunc_end315:
	.size	_ZN9rocsparseL21csrmvt_general_kernelILj256ELj8ElifdddEEvbbT2_NS_24const_host_device_scalarIT6_EEPKT1_S7_PKS1_PKT3_PKT4_PT5_21rocsparse_index_base_b, .Lfunc_end315-_ZN9rocsparseL21csrmvt_general_kernelILj256ELj8ElifdddEEvbbT2_NS_24const_host_device_scalarIT6_EEPKT1_S7_PKS1_PKT3_PKT4_PT5_21rocsparse_index_base_b
                                        ; -- End function
	.set _ZN9rocsparseL21csrmvt_general_kernelILj256ELj8ElifdddEEvbbT2_NS_24const_host_device_scalarIT6_EEPKT1_S7_PKS1_PKT3_PKT4_PT5_21rocsparse_index_base_b.num_vgpr, 22
	.set _ZN9rocsparseL21csrmvt_general_kernelILj256ELj8ElifdddEEvbbT2_NS_24const_host_device_scalarIT6_EEPKT1_S7_PKS1_PKT3_PKT4_PT5_21rocsparse_index_base_b.num_agpr, 0
	.set _ZN9rocsparseL21csrmvt_general_kernelILj256ELj8ElifdddEEvbbT2_NS_24const_host_device_scalarIT6_EEPKT1_S7_PKS1_PKT3_PKT4_PT5_21rocsparse_index_base_b.numbered_sgpr, 21
	.set _ZN9rocsparseL21csrmvt_general_kernelILj256ELj8ElifdddEEvbbT2_NS_24const_host_device_scalarIT6_EEPKT1_S7_PKS1_PKT3_PKT4_PT5_21rocsparse_index_base_b.num_named_barrier, 0
	.set _ZN9rocsparseL21csrmvt_general_kernelILj256ELj8ElifdddEEvbbT2_NS_24const_host_device_scalarIT6_EEPKT1_S7_PKS1_PKT3_PKT4_PT5_21rocsparse_index_base_b.private_seg_size, 0
	.set _ZN9rocsparseL21csrmvt_general_kernelILj256ELj8ElifdddEEvbbT2_NS_24const_host_device_scalarIT6_EEPKT1_S7_PKS1_PKT3_PKT4_PT5_21rocsparse_index_base_b.uses_vcc, 1
	.set _ZN9rocsparseL21csrmvt_general_kernelILj256ELj8ElifdddEEvbbT2_NS_24const_host_device_scalarIT6_EEPKT1_S7_PKS1_PKT3_PKT4_PT5_21rocsparse_index_base_b.uses_flat_scratch, 0
	.set _ZN9rocsparseL21csrmvt_general_kernelILj256ELj8ElifdddEEvbbT2_NS_24const_host_device_scalarIT6_EEPKT1_S7_PKS1_PKT3_PKT4_PT5_21rocsparse_index_base_b.has_dyn_sized_stack, 0
	.set _ZN9rocsparseL21csrmvt_general_kernelILj256ELj8ElifdddEEvbbT2_NS_24const_host_device_scalarIT6_EEPKT1_S7_PKS1_PKT3_PKT4_PT5_21rocsparse_index_base_b.has_recursion, 0
	.set _ZN9rocsparseL21csrmvt_general_kernelILj256ELj8ElifdddEEvbbT2_NS_24const_host_device_scalarIT6_EEPKT1_S7_PKS1_PKT3_PKT4_PT5_21rocsparse_index_base_b.has_indirect_call, 0
	.section	.AMDGPU.csdata,"",@progbits
; Kernel info:
; codeLenInByte = 868
; TotalNumSgprs: 23
; NumVgprs: 22
; ScratchSize: 0
; MemoryBound: 0
; FloatMode: 240
; IeeeMode: 1
; LDSByteSize: 0 bytes/workgroup (compile time only)
; SGPRBlocks: 0
; VGPRBlocks: 1
; NumSGPRsForWavesPerEU: 23
; NumVGPRsForWavesPerEU: 22
; NamedBarCnt: 0
; Occupancy: 16
; WaveLimiterHint : 1
; COMPUTE_PGM_RSRC2:SCRATCH_EN: 0
; COMPUTE_PGM_RSRC2:USER_SGPR: 2
; COMPUTE_PGM_RSRC2:TRAP_HANDLER: 0
; COMPUTE_PGM_RSRC2:TGID_X_EN: 1
; COMPUTE_PGM_RSRC2:TGID_Y_EN: 0
; COMPUTE_PGM_RSRC2:TGID_Z_EN: 0
; COMPUTE_PGM_RSRC2:TIDIG_COMP_CNT: 0
	.section	.text._ZN9rocsparseL21csrmvt_general_kernelILj256ELj16ElifdddEEvbbT2_NS_24const_host_device_scalarIT6_EEPKT1_S7_PKS1_PKT3_PKT4_PT5_21rocsparse_index_base_b,"axG",@progbits,_ZN9rocsparseL21csrmvt_general_kernelILj256ELj16ElifdddEEvbbT2_NS_24const_host_device_scalarIT6_EEPKT1_S7_PKS1_PKT3_PKT4_PT5_21rocsparse_index_base_b,comdat
	.globl	_ZN9rocsparseL21csrmvt_general_kernelILj256ELj16ElifdddEEvbbT2_NS_24const_host_device_scalarIT6_EEPKT1_S7_PKS1_PKT3_PKT4_PT5_21rocsparse_index_base_b ; -- Begin function _ZN9rocsparseL21csrmvt_general_kernelILj256ELj16ElifdddEEvbbT2_NS_24const_host_device_scalarIT6_EEPKT1_S7_PKS1_PKT3_PKT4_PT5_21rocsparse_index_base_b
	.p2align	8
	.type	_ZN9rocsparseL21csrmvt_general_kernelILj256ELj16ElifdddEEvbbT2_NS_24const_host_device_scalarIT6_EEPKT1_S7_PKS1_PKT3_PKT4_PT5_21rocsparse_index_base_b,@function
_ZN9rocsparseL21csrmvt_general_kernelILj256ELj16ElifdddEEvbbT2_NS_24const_host_device_scalarIT6_EEPKT1_S7_PKS1_PKT3_PKT4_PT5_21rocsparse_index_base_b: ; @_ZN9rocsparseL21csrmvt_general_kernelILj256ELj16ElifdddEEvbbT2_NS_24const_host_device_scalarIT6_EEPKT1_S7_PKS1_PKT3_PKT4_PT5_21rocsparse_index_base_b
; %bb.0:
	s_clause 0x1
	s_load_b64 s[2:3], s[0:1], 0x40
	s_load_b128 s[12:15], s[0:1], 0x8
	s_wait_kmcnt 0x0
	s_bitcmp1_b32 s3, 0
	v_mov_b64_e32 v[2:3], s[12:13]
	s_cselect_b32 s3, -1, 0
	s_delay_alu instid0(SALU_CYCLE_1)
	s_and_b32 vcc_lo, exec_lo, s3
	s_cbranch_vccnz .LBB316_2
; %bb.1:
	v_mov_b32_e32 v1, 0
	flat_load_b64 v[2:3], v1, s[12:13]
.LBB316_2:
	s_mov_b32 s3, exec_lo
	s_wait_loadcnt_dscnt 0x0
	s_delay_alu instid0(VALU_DEP_1)
	v_cmpx_neq_f64_e32 0, v[2:3]
	s_cbranch_execz .LBB316_20
; %bb.3:
	s_clause 0x3
	s_load_b64 s[12:13], s[0:1], 0x0
	s_load_b32 s3, s[0:1], 0x48
	s_load_b64 s[16:17], s[0:1], 0x38
	s_load_b256 s[4:11], s[0:1], 0x18
	s_wait_xcnt 0x0
	s_bfe_u32 s0, ttmp6, 0x4000c
	s_and_b32 s18, ttmp6, 15
	s_add_co_i32 s0, s0, 1
	s_getreg_b32 s19, hwreg(HW_REG_IB_STS2, 6, 4)
	s_mul_i32 s0, ttmp9, s0
	s_delay_alu instid0(SALU_CYCLE_1)
	s_add_co_i32 s18, s18, s0
	s_wait_kmcnt 0x0
	s_and_b32 s12, s12, 1
	s_lshl_b32 s1, s3, 4
	s_cmp_eq_u32 s19, 0
	s_mov_b32 s3, -1
	s_cselect_b32 s0, ttmp9, s18
	s_cmp_eq_u32 s12, 0
	v_lshl_or_b32 v1, s0, 8, v0
	s_delay_alu instid0(VALU_DEP_1) | instskip(NEXT) | instid1(VALU_DEP_1)
	v_dual_lshrrev_b32 v4, 4, v1 :: v_dual_bitop2_b32 v0, 15, v0 bitop3:0x40
	v_cmp_gt_i32_e64 s0, s13, v4
	s_cbranch_scc0 .LBB316_11
; %bb.4:
	s_and_saveexec_b32 s12, s0
	s_cbranch_execz .LBB316_10
; %bb.5:
	v_dual_mov_b32 v1, 0 :: v_dual_mov_b32 v8, v4
	s_mov_b32 s3, 0
	s_delay_alu instid0(SALU_CYCLE_1) | instskip(NEXT) | instid1(VALU_DEP_1)
	s_mov_b32 s18, s3
	v_sub_nc_u64_e64 v[6:7], v[0:1], s[2:3]
	s_branch .LBB316_7
.LBB316_6:                              ;   in Loop: Header=BB316_7 Depth=1
	s_or_b32 exec_lo, exec_lo, s19
	v_add_nc_u32_e32 v8, s1, v8
	s_delay_alu instid0(VALU_DEP_1) | instskip(SKIP_1) | instid1(SALU_CYCLE_1)
	v_cmp_le_i32_e32 vcc_lo, s13, v8
	s_or_b32 s18, vcc_lo, s18
	s_and_not1_b32 exec_lo, exec_lo, s18
	s_cbranch_execz .LBB316_10
.LBB316_7:                              ; =>This Loop Header: Depth=1
                                        ;     Child Loop BB316_9 Depth 2
	s_clause 0x1
	global_load_b64 v[10:11], v8, s[4:5] scale_offset
	global_load_b64 v[12:13], v8, s[14:15] scale_offset
	s_mov_b32 s19, exec_lo
	s_wait_loadcnt 0x1
	v_sub_nc_u64_e64 v[10:11], v[10:11], s[2:3]
	s_wait_loadcnt 0x0
	v_add_nc_u64_e32 v[12:13], v[12:13], v[6:7]
	s_wait_xcnt 0x0
	s_delay_alu instid0(VALU_DEP_1)
	v_cmpx_lt_i64_e64 v[12:13], v[10:11]
	s_cbranch_execz .LBB316_6
; %bb.8:                                ;   in Loop: Header=BB316_7 Depth=1
	v_ashrrev_i32_e32 v9, 31, v8
	v_lshlrev_b64_e32 v[18:19], 2, v[12:13]
	s_mov_b32 s20, 0
	s_delay_alu instid0(VALU_DEP_2) | instskip(NEXT) | instid1(VALU_DEP_2)
	v_lshl_add_u64 v[14:15], v[8:9], 3, s[10:11]
	v_add_nc_u64_e32 v[16:17], s[6:7], v[18:19]
	v_add_nc_u64_e32 v[18:19], s[8:9], v[18:19]
	global_load_b64 v[14:15], v[14:15], off
	s_wait_loadcnt 0x0
	s_wait_xcnt 0x0
	v_mul_f64_e32 v[14:15], v[2:3], v[14:15]
.LBB316_9:                              ;   Parent Loop BB316_7 Depth=1
                                        ; =>  This Inner Loop Header: Depth=2
	global_load_b32 v1, v[18:19], off
	global_load_b32 v5, v[16:17], off
	v_add_nc_u64_e32 v[12:13], 16, v[12:13]
	s_wait_xcnt 0x0
	v_add_nc_u64_e32 v[16:17], 64, v[16:17]
	v_add_nc_u64_e32 v[18:19], 64, v[18:19]
	s_delay_alu instid0(VALU_DEP_3)
	v_cmp_ge_i64_e32 vcc_lo, v[12:13], v[10:11]
	s_or_b32 s20, vcc_lo, s20
	s_wait_loadcnt 0x1
	v_cvt_f64_f32_e32 v[20:21], v1
	s_wait_loadcnt 0x0
	v_subrev_nc_u32_e32 v1, s2, v5
	s_delay_alu instid0(VALU_DEP_2)
	v_mul_f64_e32 v[20:21], v[14:15], v[20:21]
	global_atomic_add_f64 v1, v[20:21], s[16:17] scale_offset scope:SCOPE_DEV
	s_wait_xcnt 0x0
	s_and_not1_b32 exec_lo, exec_lo, s20
	s_cbranch_execnz .LBB316_9
	s_branch .LBB316_6
.LBB316_10:
	s_or_b32 exec_lo, exec_lo, s12
	s_mov_b32 s3, 0
.LBB316_11:
	s_delay_alu instid0(SALU_CYCLE_1)
	s_and_not1_b32 vcc_lo, exec_lo, s3
	s_cbranch_vccnz .LBB316_20
; %bb.12:
	s_and_b32 exec_lo, exec_lo, s0
	s_cbranch_execz .LBB316_20
; %bb.13:
	v_mov_b32_e32 v1, 0
	s_mov_b32 s3, 0
	s_delay_alu instid0(SALU_CYCLE_1) | instskip(NEXT) | instid1(VALU_DEP_1)
	s_mov_b32 s0, s3
	v_sub_nc_u64_e64 v[0:1], v[0:1], s[2:3]
	s_branch .LBB316_15
.LBB316_14:                             ;   in Loop: Header=BB316_15 Depth=1
	s_or_b32 exec_lo, exec_lo, s12
	v_add_nc_u32_e32 v4, s1, v4
	s_delay_alu instid0(VALU_DEP_1) | instskip(SKIP_1) | instid1(SALU_CYCLE_1)
	v_cmp_le_i32_e32 vcc_lo, s13, v4
	s_or_b32 s0, vcc_lo, s0
	s_and_not1_b32 exec_lo, exec_lo, s0
	s_cbranch_execz .LBB316_20
.LBB316_15:                             ; =>This Loop Header: Depth=1
                                        ;     Child Loop BB316_18 Depth 2
	s_clause 0x1
	global_load_b64 v[6:7], v4, s[4:5] scale_offset
	global_load_b64 v[8:9], v4, s[14:15] scale_offset
	s_mov_b32 s12, exec_lo
	s_wait_loadcnt 0x1
	v_sub_nc_u64_e64 v[6:7], v[6:7], s[2:3]
	s_wait_loadcnt 0x0
	v_add_nc_u64_e32 v[8:9], v[8:9], v[0:1]
	s_wait_xcnt 0x0
	s_delay_alu instid0(VALU_DEP_1)
	v_cmpx_lt_i64_e64 v[8:9], v[6:7]
	s_cbranch_execz .LBB316_14
; %bb.16:                               ;   in Loop: Header=BB316_15 Depth=1
	v_ashrrev_i32_e32 v5, 31, v4
	v_lshlrev_b64_e32 v[14:15], 2, v[8:9]
	s_mov_b32 s18, 0
	s_delay_alu instid0(VALU_DEP_2) | instskip(NEXT) | instid1(VALU_DEP_2)
	v_lshl_add_u64 v[10:11], v[4:5], 3, s[10:11]
	v_add_nc_u64_e32 v[12:13], s[6:7], v[14:15]
	v_add_nc_u64_e32 v[14:15], s[8:9], v[14:15]
	global_load_b64 v[10:11], v[10:11], off
	s_wait_loadcnt 0x0
	v_mul_f64_e32 v[10:11], v[2:3], v[10:11]
	s_branch .LBB316_18
.LBB316_17:                             ;   in Loop: Header=BB316_18 Depth=2
	s_wait_xcnt 0x0
	s_or_b32 exec_lo, exec_lo, s19
	v_add_nc_u64_e32 v[8:9], 16, v[8:9]
	v_add_nc_u64_e32 v[12:13], 64, v[12:13]
	;; [unrolled: 1-line block ×3, first 2 shown]
	s_delay_alu instid0(VALU_DEP_3) | instskip(SKIP_1) | instid1(SALU_CYCLE_1)
	v_cmp_ge_i64_e32 vcc_lo, v[8:9], v[6:7]
	s_or_b32 s18, vcc_lo, s18
	s_and_not1_b32 exec_lo, exec_lo, s18
	s_cbranch_execz .LBB316_14
.LBB316_18:                             ;   Parent Loop BB316_15 Depth=1
                                        ; =>  This Inner Loop Header: Depth=2
	global_load_b32 v5, v[12:13], off
	s_mov_b32 s19, exec_lo
	s_wait_loadcnt 0x0
	v_subrev_nc_u32_e32 v5, s2, v5
	s_wait_xcnt 0x0
	s_delay_alu instid0(VALU_DEP_1)
	v_cmpx_ne_u32_e64 v5, v4
	s_cbranch_execz .LBB316_17
; %bb.19:                               ;   in Loop: Header=BB316_18 Depth=2
	global_load_b32 v16, v[14:15], off
	s_wait_loadcnt 0x0
	v_cvt_f64_f32_e32 v[16:17], v16
	s_delay_alu instid0(VALU_DEP_1)
	v_mul_f64_e32 v[16:17], v[10:11], v[16:17]
	s_wait_xcnt 0x0
	global_atomic_add_f64 v5, v[16:17], s[16:17] scale_offset scope:SCOPE_DEV
	s_branch .LBB316_17
.LBB316_20:
	s_endpgm
	.section	.rodata,"a",@progbits
	.p2align	6, 0x0
	.amdhsa_kernel _ZN9rocsparseL21csrmvt_general_kernelILj256ELj16ElifdddEEvbbT2_NS_24const_host_device_scalarIT6_EEPKT1_S7_PKS1_PKT3_PKT4_PT5_21rocsparse_index_base_b
		.amdhsa_group_segment_fixed_size 0
		.amdhsa_private_segment_fixed_size 0
		.amdhsa_kernarg_size 328
		.amdhsa_user_sgpr_count 2
		.amdhsa_user_sgpr_dispatch_ptr 0
		.amdhsa_user_sgpr_queue_ptr 0
		.amdhsa_user_sgpr_kernarg_segment_ptr 1
		.amdhsa_user_sgpr_dispatch_id 0
		.amdhsa_user_sgpr_kernarg_preload_length 0
		.amdhsa_user_sgpr_kernarg_preload_offset 0
		.amdhsa_user_sgpr_private_segment_size 0
		.amdhsa_wavefront_size32 1
		.amdhsa_uses_dynamic_stack 0
		.amdhsa_enable_private_segment 0
		.amdhsa_system_sgpr_workgroup_id_x 1
		.amdhsa_system_sgpr_workgroup_id_y 0
		.amdhsa_system_sgpr_workgroup_id_z 0
		.amdhsa_system_sgpr_workgroup_info 0
		.amdhsa_system_vgpr_workitem_id 0
		.amdhsa_next_free_vgpr 22
		.amdhsa_next_free_sgpr 21
		.amdhsa_named_barrier_count 0
		.amdhsa_reserve_vcc 1
		.amdhsa_float_round_mode_32 0
		.amdhsa_float_round_mode_16_64 0
		.amdhsa_float_denorm_mode_32 3
		.amdhsa_float_denorm_mode_16_64 3
		.amdhsa_fp16_overflow 0
		.amdhsa_memory_ordered 1
		.amdhsa_forward_progress 1
		.amdhsa_inst_pref_size 7
		.amdhsa_round_robin_scheduling 0
		.amdhsa_exception_fp_ieee_invalid_op 0
		.amdhsa_exception_fp_denorm_src 0
		.amdhsa_exception_fp_ieee_div_zero 0
		.amdhsa_exception_fp_ieee_overflow 0
		.amdhsa_exception_fp_ieee_underflow 0
		.amdhsa_exception_fp_ieee_inexact 0
		.amdhsa_exception_int_div_zero 0
	.end_amdhsa_kernel
	.section	.text._ZN9rocsparseL21csrmvt_general_kernelILj256ELj16ElifdddEEvbbT2_NS_24const_host_device_scalarIT6_EEPKT1_S7_PKS1_PKT3_PKT4_PT5_21rocsparse_index_base_b,"axG",@progbits,_ZN9rocsparseL21csrmvt_general_kernelILj256ELj16ElifdddEEvbbT2_NS_24const_host_device_scalarIT6_EEPKT1_S7_PKS1_PKT3_PKT4_PT5_21rocsparse_index_base_b,comdat
.Lfunc_end316:
	.size	_ZN9rocsparseL21csrmvt_general_kernelILj256ELj16ElifdddEEvbbT2_NS_24const_host_device_scalarIT6_EEPKT1_S7_PKS1_PKT3_PKT4_PT5_21rocsparse_index_base_b, .Lfunc_end316-_ZN9rocsparseL21csrmvt_general_kernelILj256ELj16ElifdddEEvbbT2_NS_24const_host_device_scalarIT6_EEPKT1_S7_PKS1_PKT3_PKT4_PT5_21rocsparse_index_base_b
                                        ; -- End function
	.set _ZN9rocsparseL21csrmvt_general_kernelILj256ELj16ElifdddEEvbbT2_NS_24const_host_device_scalarIT6_EEPKT1_S7_PKS1_PKT3_PKT4_PT5_21rocsparse_index_base_b.num_vgpr, 22
	.set _ZN9rocsparseL21csrmvt_general_kernelILj256ELj16ElifdddEEvbbT2_NS_24const_host_device_scalarIT6_EEPKT1_S7_PKS1_PKT3_PKT4_PT5_21rocsparse_index_base_b.num_agpr, 0
	.set _ZN9rocsparseL21csrmvt_general_kernelILj256ELj16ElifdddEEvbbT2_NS_24const_host_device_scalarIT6_EEPKT1_S7_PKS1_PKT3_PKT4_PT5_21rocsparse_index_base_b.numbered_sgpr, 21
	.set _ZN9rocsparseL21csrmvt_general_kernelILj256ELj16ElifdddEEvbbT2_NS_24const_host_device_scalarIT6_EEPKT1_S7_PKS1_PKT3_PKT4_PT5_21rocsparse_index_base_b.num_named_barrier, 0
	.set _ZN9rocsparseL21csrmvt_general_kernelILj256ELj16ElifdddEEvbbT2_NS_24const_host_device_scalarIT6_EEPKT1_S7_PKS1_PKT3_PKT4_PT5_21rocsparse_index_base_b.private_seg_size, 0
	.set _ZN9rocsparseL21csrmvt_general_kernelILj256ELj16ElifdddEEvbbT2_NS_24const_host_device_scalarIT6_EEPKT1_S7_PKS1_PKT3_PKT4_PT5_21rocsparse_index_base_b.uses_vcc, 1
	.set _ZN9rocsparseL21csrmvt_general_kernelILj256ELj16ElifdddEEvbbT2_NS_24const_host_device_scalarIT6_EEPKT1_S7_PKS1_PKT3_PKT4_PT5_21rocsparse_index_base_b.uses_flat_scratch, 0
	.set _ZN9rocsparseL21csrmvt_general_kernelILj256ELj16ElifdddEEvbbT2_NS_24const_host_device_scalarIT6_EEPKT1_S7_PKS1_PKT3_PKT4_PT5_21rocsparse_index_base_b.has_dyn_sized_stack, 0
	.set _ZN9rocsparseL21csrmvt_general_kernelILj256ELj16ElifdddEEvbbT2_NS_24const_host_device_scalarIT6_EEPKT1_S7_PKS1_PKT3_PKT4_PT5_21rocsparse_index_base_b.has_recursion, 0
	.set _ZN9rocsparseL21csrmvt_general_kernelILj256ELj16ElifdddEEvbbT2_NS_24const_host_device_scalarIT6_EEPKT1_S7_PKS1_PKT3_PKT4_PT5_21rocsparse_index_base_b.has_indirect_call, 0
	.section	.AMDGPU.csdata,"",@progbits
; Kernel info:
; codeLenInByte = 868
; TotalNumSgprs: 23
; NumVgprs: 22
; ScratchSize: 0
; MemoryBound: 0
; FloatMode: 240
; IeeeMode: 1
; LDSByteSize: 0 bytes/workgroup (compile time only)
; SGPRBlocks: 0
; VGPRBlocks: 1
; NumSGPRsForWavesPerEU: 23
; NumVGPRsForWavesPerEU: 22
; NamedBarCnt: 0
; Occupancy: 16
; WaveLimiterHint : 1
; COMPUTE_PGM_RSRC2:SCRATCH_EN: 0
; COMPUTE_PGM_RSRC2:USER_SGPR: 2
; COMPUTE_PGM_RSRC2:TRAP_HANDLER: 0
; COMPUTE_PGM_RSRC2:TGID_X_EN: 1
; COMPUTE_PGM_RSRC2:TGID_Y_EN: 0
; COMPUTE_PGM_RSRC2:TGID_Z_EN: 0
; COMPUTE_PGM_RSRC2:TIDIG_COMP_CNT: 0
	.section	.text._ZN9rocsparseL21csrmvt_general_kernelILj256ELj32ElifdddEEvbbT2_NS_24const_host_device_scalarIT6_EEPKT1_S7_PKS1_PKT3_PKT4_PT5_21rocsparse_index_base_b,"axG",@progbits,_ZN9rocsparseL21csrmvt_general_kernelILj256ELj32ElifdddEEvbbT2_NS_24const_host_device_scalarIT6_EEPKT1_S7_PKS1_PKT3_PKT4_PT5_21rocsparse_index_base_b,comdat
	.globl	_ZN9rocsparseL21csrmvt_general_kernelILj256ELj32ElifdddEEvbbT2_NS_24const_host_device_scalarIT6_EEPKT1_S7_PKS1_PKT3_PKT4_PT5_21rocsparse_index_base_b ; -- Begin function _ZN9rocsparseL21csrmvt_general_kernelILj256ELj32ElifdddEEvbbT2_NS_24const_host_device_scalarIT6_EEPKT1_S7_PKS1_PKT3_PKT4_PT5_21rocsparse_index_base_b
	.p2align	8
	.type	_ZN9rocsparseL21csrmvt_general_kernelILj256ELj32ElifdddEEvbbT2_NS_24const_host_device_scalarIT6_EEPKT1_S7_PKS1_PKT3_PKT4_PT5_21rocsparse_index_base_b,@function
_ZN9rocsparseL21csrmvt_general_kernelILj256ELj32ElifdddEEvbbT2_NS_24const_host_device_scalarIT6_EEPKT1_S7_PKS1_PKT3_PKT4_PT5_21rocsparse_index_base_b: ; @_ZN9rocsparseL21csrmvt_general_kernelILj256ELj32ElifdddEEvbbT2_NS_24const_host_device_scalarIT6_EEPKT1_S7_PKS1_PKT3_PKT4_PT5_21rocsparse_index_base_b
; %bb.0:
	s_clause 0x1
	s_load_b64 s[2:3], s[0:1], 0x40
	s_load_b128 s[12:15], s[0:1], 0x8
	s_wait_kmcnt 0x0
	s_bitcmp1_b32 s3, 0
	v_mov_b64_e32 v[2:3], s[12:13]
	s_cselect_b32 s3, -1, 0
	s_delay_alu instid0(SALU_CYCLE_1)
	s_and_b32 vcc_lo, exec_lo, s3
	s_cbranch_vccnz .LBB317_2
; %bb.1:
	v_mov_b32_e32 v1, 0
	flat_load_b64 v[2:3], v1, s[12:13]
.LBB317_2:
	s_mov_b32 s3, exec_lo
	s_wait_loadcnt_dscnt 0x0
	s_delay_alu instid0(VALU_DEP_1)
	v_cmpx_neq_f64_e32 0, v[2:3]
	s_cbranch_execz .LBB317_20
; %bb.3:
	s_clause 0x3
	s_load_b64 s[12:13], s[0:1], 0x0
	s_load_b32 s3, s[0:1], 0x48
	s_load_b64 s[16:17], s[0:1], 0x38
	s_load_b256 s[4:11], s[0:1], 0x18
	s_wait_xcnt 0x0
	s_bfe_u32 s0, ttmp6, 0x4000c
	s_and_b32 s18, ttmp6, 15
	s_add_co_i32 s0, s0, 1
	s_getreg_b32 s19, hwreg(HW_REG_IB_STS2, 6, 4)
	s_mul_i32 s0, ttmp9, s0
	s_delay_alu instid0(SALU_CYCLE_1)
	s_add_co_i32 s18, s18, s0
	s_wait_kmcnt 0x0
	s_and_b32 s12, s12, 1
	s_lshl_b32 s1, s3, 3
	s_cmp_eq_u32 s19, 0
	s_mov_b32 s3, -1
	s_cselect_b32 s0, ttmp9, s18
	s_cmp_eq_u32 s12, 0
	v_lshl_or_b32 v1, s0, 8, v0
	s_delay_alu instid0(VALU_DEP_1) | instskip(NEXT) | instid1(VALU_DEP_1)
	v_dual_lshrrev_b32 v4, 5, v1 :: v_dual_bitop2_b32 v0, 31, v0 bitop3:0x40
	v_cmp_gt_i32_e64 s0, s13, v4
	s_cbranch_scc0 .LBB317_11
; %bb.4:
	s_and_saveexec_b32 s12, s0
	s_cbranch_execz .LBB317_10
; %bb.5:
	v_dual_mov_b32 v1, 0 :: v_dual_mov_b32 v8, v4
	s_mov_b32 s3, 0
	s_delay_alu instid0(SALU_CYCLE_1) | instskip(NEXT) | instid1(VALU_DEP_1)
	s_mov_b32 s18, s3
	v_sub_nc_u64_e64 v[6:7], v[0:1], s[2:3]
	s_branch .LBB317_7
.LBB317_6:                              ;   in Loop: Header=BB317_7 Depth=1
	s_or_b32 exec_lo, exec_lo, s19
	v_add_nc_u32_e32 v8, s1, v8
	s_delay_alu instid0(VALU_DEP_1) | instskip(SKIP_1) | instid1(SALU_CYCLE_1)
	v_cmp_le_i32_e32 vcc_lo, s13, v8
	s_or_b32 s18, vcc_lo, s18
	s_and_not1_b32 exec_lo, exec_lo, s18
	s_cbranch_execz .LBB317_10
.LBB317_7:                              ; =>This Loop Header: Depth=1
                                        ;     Child Loop BB317_9 Depth 2
	s_clause 0x1
	global_load_b64 v[10:11], v8, s[4:5] scale_offset
	global_load_b64 v[12:13], v8, s[14:15] scale_offset
	s_mov_b32 s19, exec_lo
	s_wait_loadcnt 0x1
	v_sub_nc_u64_e64 v[10:11], v[10:11], s[2:3]
	s_wait_loadcnt 0x0
	v_add_nc_u64_e32 v[12:13], v[12:13], v[6:7]
	s_wait_xcnt 0x0
	s_delay_alu instid0(VALU_DEP_1)
	v_cmpx_lt_i64_e64 v[12:13], v[10:11]
	s_cbranch_execz .LBB317_6
; %bb.8:                                ;   in Loop: Header=BB317_7 Depth=1
	v_ashrrev_i32_e32 v9, 31, v8
	v_lshlrev_b64_e32 v[18:19], 2, v[12:13]
	s_mov_b32 s20, 0
	s_delay_alu instid0(VALU_DEP_2) | instskip(NEXT) | instid1(VALU_DEP_2)
	v_lshl_add_u64 v[14:15], v[8:9], 3, s[10:11]
	v_add_nc_u64_e32 v[16:17], s[6:7], v[18:19]
	v_add_nc_u64_e32 v[18:19], s[8:9], v[18:19]
	global_load_b64 v[14:15], v[14:15], off
	s_wait_loadcnt 0x0
	s_wait_xcnt 0x0
	v_mul_f64_e32 v[14:15], v[2:3], v[14:15]
.LBB317_9:                              ;   Parent Loop BB317_7 Depth=1
                                        ; =>  This Inner Loop Header: Depth=2
	global_load_b32 v1, v[18:19], off
	global_load_b32 v5, v[16:17], off
	v_add_nc_u64_e32 v[12:13], 32, v[12:13]
	s_wait_xcnt 0x0
	v_add_nc_u64_e32 v[16:17], 0x80, v[16:17]
	v_add_nc_u64_e32 v[18:19], 0x80, v[18:19]
	s_delay_alu instid0(VALU_DEP_3)
	v_cmp_ge_i64_e32 vcc_lo, v[12:13], v[10:11]
	s_or_b32 s20, vcc_lo, s20
	s_wait_loadcnt 0x1
	v_cvt_f64_f32_e32 v[20:21], v1
	s_wait_loadcnt 0x0
	v_subrev_nc_u32_e32 v1, s2, v5
	s_delay_alu instid0(VALU_DEP_2)
	v_mul_f64_e32 v[20:21], v[14:15], v[20:21]
	global_atomic_add_f64 v1, v[20:21], s[16:17] scale_offset scope:SCOPE_DEV
	s_wait_xcnt 0x0
	s_and_not1_b32 exec_lo, exec_lo, s20
	s_cbranch_execnz .LBB317_9
	s_branch .LBB317_6
.LBB317_10:
	s_or_b32 exec_lo, exec_lo, s12
	s_mov_b32 s3, 0
.LBB317_11:
	s_delay_alu instid0(SALU_CYCLE_1)
	s_and_not1_b32 vcc_lo, exec_lo, s3
	s_cbranch_vccnz .LBB317_20
; %bb.12:
	s_and_b32 exec_lo, exec_lo, s0
	s_cbranch_execz .LBB317_20
; %bb.13:
	v_mov_b32_e32 v1, 0
	s_mov_b32 s3, 0
	s_delay_alu instid0(SALU_CYCLE_1) | instskip(NEXT) | instid1(VALU_DEP_1)
	s_mov_b32 s0, s3
	v_sub_nc_u64_e64 v[0:1], v[0:1], s[2:3]
	s_branch .LBB317_15
.LBB317_14:                             ;   in Loop: Header=BB317_15 Depth=1
	s_or_b32 exec_lo, exec_lo, s12
	v_add_nc_u32_e32 v4, s1, v4
	s_delay_alu instid0(VALU_DEP_1) | instskip(SKIP_1) | instid1(SALU_CYCLE_1)
	v_cmp_le_i32_e32 vcc_lo, s13, v4
	s_or_b32 s0, vcc_lo, s0
	s_and_not1_b32 exec_lo, exec_lo, s0
	s_cbranch_execz .LBB317_20
.LBB317_15:                             ; =>This Loop Header: Depth=1
                                        ;     Child Loop BB317_18 Depth 2
	s_clause 0x1
	global_load_b64 v[6:7], v4, s[4:5] scale_offset
	global_load_b64 v[8:9], v4, s[14:15] scale_offset
	s_mov_b32 s12, exec_lo
	s_wait_loadcnt 0x1
	v_sub_nc_u64_e64 v[6:7], v[6:7], s[2:3]
	s_wait_loadcnt 0x0
	v_add_nc_u64_e32 v[8:9], v[8:9], v[0:1]
	s_wait_xcnt 0x0
	s_delay_alu instid0(VALU_DEP_1)
	v_cmpx_lt_i64_e64 v[8:9], v[6:7]
	s_cbranch_execz .LBB317_14
; %bb.16:                               ;   in Loop: Header=BB317_15 Depth=1
	v_ashrrev_i32_e32 v5, 31, v4
	v_lshlrev_b64_e32 v[14:15], 2, v[8:9]
	s_mov_b32 s18, 0
	s_delay_alu instid0(VALU_DEP_2) | instskip(NEXT) | instid1(VALU_DEP_2)
	v_lshl_add_u64 v[10:11], v[4:5], 3, s[10:11]
	v_add_nc_u64_e32 v[12:13], s[6:7], v[14:15]
	v_add_nc_u64_e32 v[14:15], s[8:9], v[14:15]
	global_load_b64 v[10:11], v[10:11], off
	s_wait_loadcnt 0x0
	v_mul_f64_e32 v[10:11], v[2:3], v[10:11]
	s_branch .LBB317_18
.LBB317_17:                             ;   in Loop: Header=BB317_18 Depth=2
	s_wait_xcnt 0x0
	s_or_b32 exec_lo, exec_lo, s19
	v_add_nc_u64_e32 v[8:9], 32, v[8:9]
	v_add_nc_u64_e32 v[12:13], 0x80, v[12:13]
	;; [unrolled: 1-line block ×3, first 2 shown]
	s_delay_alu instid0(VALU_DEP_3) | instskip(SKIP_1) | instid1(SALU_CYCLE_1)
	v_cmp_ge_i64_e32 vcc_lo, v[8:9], v[6:7]
	s_or_b32 s18, vcc_lo, s18
	s_and_not1_b32 exec_lo, exec_lo, s18
	s_cbranch_execz .LBB317_14
.LBB317_18:                             ;   Parent Loop BB317_15 Depth=1
                                        ; =>  This Inner Loop Header: Depth=2
	global_load_b32 v5, v[12:13], off
	s_mov_b32 s19, exec_lo
	s_wait_loadcnt 0x0
	v_subrev_nc_u32_e32 v5, s2, v5
	s_wait_xcnt 0x0
	s_delay_alu instid0(VALU_DEP_1)
	v_cmpx_ne_u32_e64 v5, v4
	s_cbranch_execz .LBB317_17
; %bb.19:                               ;   in Loop: Header=BB317_18 Depth=2
	global_load_b32 v16, v[14:15], off
	s_wait_loadcnt 0x0
	v_cvt_f64_f32_e32 v[16:17], v16
	s_delay_alu instid0(VALU_DEP_1)
	v_mul_f64_e32 v[16:17], v[10:11], v[16:17]
	s_wait_xcnt 0x0
	global_atomic_add_f64 v5, v[16:17], s[16:17] scale_offset scope:SCOPE_DEV
	s_branch .LBB317_17
.LBB317_20:
	s_endpgm
	.section	.rodata,"a",@progbits
	.p2align	6, 0x0
	.amdhsa_kernel _ZN9rocsparseL21csrmvt_general_kernelILj256ELj32ElifdddEEvbbT2_NS_24const_host_device_scalarIT6_EEPKT1_S7_PKS1_PKT3_PKT4_PT5_21rocsparse_index_base_b
		.amdhsa_group_segment_fixed_size 0
		.amdhsa_private_segment_fixed_size 0
		.amdhsa_kernarg_size 328
		.amdhsa_user_sgpr_count 2
		.amdhsa_user_sgpr_dispatch_ptr 0
		.amdhsa_user_sgpr_queue_ptr 0
		.amdhsa_user_sgpr_kernarg_segment_ptr 1
		.amdhsa_user_sgpr_dispatch_id 0
		.amdhsa_user_sgpr_kernarg_preload_length 0
		.amdhsa_user_sgpr_kernarg_preload_offset 0
		.amdhsa_user_sgpr_private_segment_size 0
		.amdhsa_wavefront_size32 1
		.amdhsa_uses_dynamic_stack 0
		.amdhsa_enable_private_segment 0
		.amdhsa_system_sgpr_workgroup_id_x 1
		.amdhsa_system_sgpr_workgroup_id_y 0
		.amdhsa_system_sgpr_workgroup_id_z 0
		.amdhsa_system_sgpr_workgroup_info 0
		.amdhsa_system_vgpr_workitem_id 0
		.amdhsa_next_free_vgpr 22
		.amdhsa_next_free_sgpr 21
		.amdhsa_named_barrier_count 0
		.amdhsa_reserve_vcc 1
		.amdhsa_float_round_mode_32 0
		.amdhsa_float_round_mode_16_64 0
		.amdhsa_float_denorm_mode_32 3
		.amdhsa_float_denorm_mode_16_64 3
		.amdhsa_fp16_overflow 0
		.amdhsa_memory_ordered 1
		.amdhsa_forward_progress 1
		.amdhsa_inst_pref_size 7
		.amdhsa_round_robin_scheduling 0
		.amdhsa_exception_fp_ieee_invalid_op 0
		.amdhsa_exception_fp_denorm_src 0
		.amdhsa_exception_fp_ieee_div_zero 0
		.amdhsa_exception_fp_ieee_overflow 0
		.amdhsa_exception_fp_ieee_underflow 0
		.amdhsa_exception_fp_ieee_inexact 0
		.amdhsa_exception_int_div_zero 0
	.end_amdhsa_kernel
	.section	.text._ZN9rocsparseL21csrmvt_general_kernelILj256ELj32ElifdddEEvbbT2_NS_24const_host_device_scalarIT6_EEPKT1_S7_PKS1_PKT3_PKT4_PT5_21rocsparse_index_base_b,"axG",@progbits,_ZN9rocsparseL21csrmvt_general_kernelILj256ELj32ElifdddEEvbbT2_NS_24const_host_device_scalarIT6_EEPKT1_S7_PKS1_PKT3_PKT4_PT5_21rocsparse_index_base_b,comdat
.Lfunc_end317:
	.size	_ZN9rocsparseL21csrmvt_general_kernelILj256ELj32ElifdddEEvbbT2_NS_24const_host_device_scalarIT6_EEPKT1_S7_PKS1_PKT3_PKT4_PT5_21rocsparse_index_base_b, .Lfunc_end317-_ZN9rocsparseL21csrmvt_general_kernelILj256ELj32ElifdddEEvbbT2_NS_24const_host_device_scalarIT6_EEPKT1_S7_PKS1_PKT3_PKT4_PT5_21rocsparse_index_base_b
                                        ; -- End function
	.set _ZN9rocsparseL21csrmvt_general_kernelILj256ELj32ElifdddEEvbbT2_NS_24const_host_device_scalarIT6_EEPKT1_S7_PKS1_PKT3_PKT4_PT5_21rocsparse_index_base_b.num_vgpr, 22
	.set _ZN9rocsparseL21csrmvt_general_kernelILj256ELj32ElifdddEEvbbT2_NS_24const_host_device_scalarIT6_EEPKT1_S7_PKS1_PKT3_PKT4_PT5_21rocsparse_index_base_b.num_agpr, 0
	.set _ZN9rocsparseL21csrmvt_general_kernelILj256ELj32ElifdddEEvbbT2_NS_24const_host_device_scalarIT6_EEPKT1_S7_PKS1_PKT3_PKT4_PT5_21rocsparse_index_base_b.numbered_sgpr, 21
	.set _ZN9rocsparseL21csrmvt_general_kernelILj256ELj32ElifdddEEvbbT2_NS_24const_host_device_scalarIT6_EEPKT1_S7_PKS1_PKT3_PKT4_PT5_21rocsparse_index_base_b.num_named_barrier, 0
	.set _ZN9rocsparseL21csrmvt_general_kernelILj256ELj32ElifdddEEvbbT2_NS_24const_host_device_scalarIT6_EEPKT1_S7_PKS1_PKT3_PKT4_PT5_21rocsparse_index_base_b.private_seg_size, 0
	.set _ZN9rocsparseL21csrmvt_general_kernelILj256ELj32ElifdddEEvbbT2_NS_24const_host_device_scalarIT6_EEPKT1_S7_PKS1_PKT3_PKT4_PT5_21rocsparse_index_base_b.uses_vcc, 1
	.set _ZN9rocsparseL21csrmvt_general_kernelILj256ELj32ElifdddEEvbbT2_NS_24const_host_device_scalarIT6_EEPKT1_S7_PKS1_PKT3_PKT4_PT5_21rocsparse_index_base_b.uses_flat_scratch, 0
	.set _ZN9rocsparseL21csrmvt_general_kernelILj256ELj32ElifdddEEvbbT2_NS_24const_host_device_scalarIT6_EEPKT1_S7_PKS1_PKT3_PKT4_PT5_21rocsparse_index_base_b.has_dyn_sized_stack, 0
	.set _ZN9rocsparseL21csrmvt_general_kernelILj256ELj32ElifdddEEvbbT2_NS_24const_host_device_scalarIT6_EEPKT1_S7_PKS1_PKT3_PKT4_PT5_21rocsparse_index_base_b.has_recursion, 0
	.set _ZN9rocsparseL21csrmvt_general_kernelILj256ELj32ElifdddEEvbbT2_NS_24const_host_device_scalarIT6_EEPKT1_S7_PKS1_PKT3_PKT4_PT5_21rocsparse_index_base_b.has_indirect_call, 0
	.section	.AMDGPU.csdata,"",@progbits
; Kernel info:
; codeLenInByte = 884
; TotalNumSgprs: 23
; NumVgprs: 22
; ScratchSize: 0
; MemoryBound: 0
; FloatMode: 240
; IeeeMode: 1
; LDSByteSize: 0 bytes/workgroup (compile time only)
; SGPRBlocks: 0
; VGPRBlocks: 1
; NumSGPRsForWavesPerEU: 23
; NumVGPRsForWavesPerEU: 22
; NamedBarCnt: 0
; Occupancy: 16
; WaveLimiterHint : 1
; COMPUTE_PGM_RSRC2:SCRATCH_EN: 0
; COMPUTE_PGM_RSRC2:USER_SGPR: 2
; COMPUTE_PGM_RSRC2:TRAP_HANDLER: 0
; COMPUTE_PGM_RSRC2:TGID_X_EN: 1
; COMPUTE_PGM_RSRC2:TGID_Y_EN: 0
; COMPUTE_PGM_RSRC2:TGID_Z_EN: 0
; COMPUTE_PGM_RSRC2:TIDIG_COMP_CNT: 0
	.section	.text._ZN9rocsparseL21csrmvt_general_kernelILj256ELj64ElifdddEEvbbT2_NS_24const_host_device_scalarIT6_EEPKT1_S7_PKS1_PKT3_PKT4_PT5_21rocsparse_index_base_b,"axG",@progbits,_ZN9rocsparseL21csrmvt_general_kernelILj256ELj64ElifdddEEvbbT2_NS_24const_host_device_scalarIT6_EEPKT1_S7_PKS1_PKT3_PKT4_PT5_21rocsparse_index_base_b,comdat
	.globl	_ZN9rocsparseL21csrmvt_general_kernelILj256ELj64ElifdddEEvbbT2_NS_24const_host_device_scalarIT6_EEPKT1_S7_PKS1_PKT3_PKT4_PT5_21rocsparse_index_base_b ; -- Begin function _ZN9rocsparseL21csrmvt_general_kernelILj256ELj64ElifdddEEvbbT2_NS_24const_host_device_scalarIT6_EEPKT1_S7_PKS1_PKT3_PKT4_PT5_21rocsparse_index_base_b
	.p2align	8
	.type	_ZN9rocsparseL21csrmvt_general_kernelILj256ELj64ElifdddEEvbbT2_NS_24const_host_device_scalarIT6_EEPKT1_S7_PKS1_PKT3_PKT4_PT5_21rocsparse_index_base_b,@function
_ZN9rocsparseL21csrmvt_general_kernelILj256ELj64ElifdddEEvbbT2_NS_24const_host_device_scalarIT6_EEPKT1_S7_PKS1_PKT3_PKT4_PT5_21rocsparse_index_base_b: ; @_ZN9rocsparseL21csrmvt_general_kernelILj256ELj64ElifdddEEvbbT2_NS_24const_host_device_scalarIT6_EEPKT1_S7_PKS1_PKT3_PKT4_PT5_21rocsparse_index_base_b
; %bb.0:
	s_clause 0x1
	s_load_b64 s[2:3], s[0:1], 0x40
	s_load_b128 s[12:15], s[0:1], 0x8
	s_wait_kmcnt 0x0
	s_bitcmp1_b32 s3, 0
	v_mov_b64_e32 v[2:3], s[12:13]
	s_cselect_b32 s3, -1, 0
	s_delay_alu instid0(SALU_CYCLE_1)
	s_and_b32 vcc_lo, exec_lo, s3
	s_cbranch_vccnz .LBB318_2
; %bb.1:
	v_mov_b32_e32 v1, 0
	flat_load_b64 v[2:3], v1, s[12:13]
.LBB318_2:
	s_mov_b32 s3, exec_lo
	s_wait_loadcnt_dscnt 0x0
	s_delay_alu instid0(VALU_DEP_1)
	v_cmpx_neq_f64_e32 0, v[2:3]
	s_cbranch_execz .LBB318_20
; %bb.3:
	s_clause 0x3
	s_load_b64 s[12:13], s[0:1], 0x0
	s_load_b32 s3, s[0:1], 0x48
	s_load_b64 s[16:17], s[0:1], 0x38
	s_load_b256 s[4:11], s[0:1], 0x18
	s_wait_xcnt 0x0
	s_bfe_u32 s0, ttmp6, 0x4000c
	s_and_b32 s18, ttmp6, 15
	s_add_co_i32 s0, s0, 1
	s_getreg_b32 s19, hwreg(HW_REG_IB_STS2, 6, 4)
	s_mul_i32 s0, ttmp9, s0
	s_delay_alu instid0(SALU_CYCLE_1)
	s_add_co_i32 s18, s18, s0
	s_wait_kmcnt 0x0
	s_and_b32 s12, s12, 1
	s_lshl_b32 s1, s3, 2
	s_cmp_eq_u32 s19, 0
	s_mov_b32 s3, -1
	s_cselect_b32 s0, ttmp9, s18
	s_cmp_eq_u32 s12, 0
	v_lshl_or_b32 v1, s0, 8, v0
	s_delay_alu instid0(VALU_DEP_1) | instskip(NEXT) | instid1(VALU_DEP_1)
	v_dual_lshrrev_b32 v4, 6, v1 :: v_dual_bitop2_b32 v0, 63, v0 bitop3:0x40
	v_cmp_gt_i32_e64 s0, s13, v4
	s_cbranch_scc0 .LBB318_11
; %bb.4:
	s_and_saveexec_b32 s12, s0
	s_cbranch_execz .LBB318_10
; %bb.5:
	v_dual_mov_b32 v1, 0 :: v_dual_mov_b32 v8, v4
	s_mov_b32 s3, 0
	s_delay_alu instid0(SALU_CYCLE_1) | instskip(NEXT) | instid1(VALU_DEP_1)
	s_mov_b32 s18, s3
	v_sub_nc_u64_e64 v[6:7], v[0:1], s[2:3]
	s_branch .LBB318_7
.LBB318_6:                              ;   in Loop: Header=BB318_7 Depth=1
	s_or_b32 exec_lo, exec_lo, s19
	v_add_nc_u32_e32 v8, s1, v8
	s_delay_alu instid0(VALU_DEP_1) | instskip(SKIP_1) | instid1(SALU_CYCLE_1)
	v_cmp_le_i32_e32 vcc_lo, s13, v8
	s_or_b32 s18, vcc_lo, s18
	s_and_not1_b32 exec_lo, exec_lo, s18
	s_cbranch_execz .LBB318_10
.LBB318_7:                              ; =>This Loop Header: Depth=1
                                        ;     Child Loop BB318_9 Depth 2
	s_clause 0x1
	global_load_b64 v[10:11], v8, s[4:5] scale_offset
	global_load_b64 v[12:13], v8, s[14:15] scale_offset
	s_mov_b32 s19, exec_lo
	s_wait_loadcnt 0x1
	v_sub_nc_u64_e64 v[10:11], v[10:11], s[2:3]
	s_wait_loadcnt 0x0
	v_add_nc_u64_e32 v[12:13], v[12:13], v[6:7]
	s_wait_xcnt 0x0
	s_delay_alu instid0(VALU_DEP_1)
	v_cmpx_lt_i64_e64 v[12:13], v[10:11]
	s_cbranch_execz .LBB318_6
; %bb.8:                                ;   in Loop: Header=BB318_7 Depth=1
	v_ashrrev_i32_e32 v9, 31, v8
	v_lshlrev_b64_e32 v[18:19], 2, v[12:13]
	s_mov_b32 s20, 0
	s_delay_alu instid0(VALU_DEP_2) | instskip(NEXT) | instid1(VALU_DEP_2)
	v_lshl_add_u64 v[14:15], v[8:9], 3, s[10:11]
	v_add_nc_u64_e32 v[16:17], s[6:7], v[18:19]
	v_add_nc_u64_e32 v[18:19], s[8:9], v[18:19]
	global_load_b64 v[14:15], v[14:15], off
	s_wait_loadcnt 0x0
	s_wait_xcnt 0x0
	v_mul_f64_e32 v[14:15], v[2:3], v[14:15]
.LBB318_9:                              ;   Parent Loop BB318_7 Depth=1
                                        ; =>  This Inner Loop Header: Depth=2
	global_load_b32 v1, v[18:19], off
	global_load_b32 v5, v[16:17], off
	v_add_nc_u64_e32 v[12:13], 64, v[12:13]
	s_wait_xcnt 0x0
	v_add_nc_u64_e32 v[16:17], 0x100, v[16:17]
	v_add_nc_u64_e32 v[18:19], 0x100, v[18:19]
	s_delay_alu instid0(VALU_DEP_3)
	v_cmp_ge_i64_e32 vcc_lo, v[12:13], v[10:11]
	s_or_b32 s20, vcc_lo, s20
	s_wait_loadcnt 0x1
	v_cvt_f64_f32_e32 v[20:21], v1
	s_wait_loadcnt 0x0
	v_subrev_nc_u32_e32 v1, s2, v5
	s_delay_alu instid0(VALU_DEP_2)
	v_mul_f64_e32 v[20:21], v[14:15], v[20:21]
	global_atomic_add_f64 v1, v[20:21], s[16:17] scale_offset scope:SCOPE_DEV
	s_wait_xcnt 0x0
	s_and_not1_b32 exec_lo, exec_lo, s20
	s_cbranch_execnz .LBB318_9
	s_branch .LBB318_6
.LBB318_10:
	s_or_b32 exec_lo, exec_lo, s12
	s_mov_b32 s3, 0
.LBB318_11:
	s_delay_alu instid0(SALU_CYCLE_1)
	s_and_not1_b32 vcc_lo, exec_lo, s3
	s_cbranch_vccnz .LBB318_20
; %bb.12:
	s_and_b32 exec_lo, exec_lo, s0
	s_cbranch_execz .LBB318_20
; %bb.13:
	v_mov_b32_e32 v1, 0
	s_mov_b32 s3, 0
	s_delay_alu instid0(SALU_CYCLE_1) | instskip(NEXT) | instid1(VALU_DEP_1)
	s_mov_b32 s0, s3
	v_sub_nc_u64_e64 v[0:1], v[0:1], s[2:3]
	s_branch .LBB318_15
.LBB318_14:                             ;   in Loop: Header=BB318_15 Depth=1
	s_or_b32 exec_lo, exec_lo, s12
	v_add_nc_u32_e32 v4, s1, v4
	s_delay_alu instid0(VALU_DEP_1) | instskip(SKIP_1) | instid1(SALU_CYCLE_1)
	v_cmp_le_i32_e32 vcc_lo, s13, v4
	s_or_b32 s0, vcc_lo, s0
	s_and_not1_b32 exec_lo, exec_lo, s0
	s_cbranch_execz .LBB318_20
.LBB318_15:                             ; =>This Loop Header: Depth=1
                                        ;     Child Loop BB318_18 Depth 2
	s_clause 0x1
	global_load_b64 v[6:7], v4, s[4:5] scale_offset
	global_load_b64 v[8:9], v4, s[14:15] scale_offset
	s_mov_b32 s12, exec_lo
	s_wait_loadcnt 0x1
	v_sub_nc_u64_e64 v[6:7], v[6:7], s[2:3]
	s_wait_loadcnt 0x0
	v_add_nc_u64_e32 v[8:9], v[8:9], v[0:1]
	s_wait_xcnt 0x0
	s_delay_alu instid0(VALU_DEP_1)
	v_cmpx_lt_i64_e64 v[8:9], v[6:7]
	s_cbranch_execz .LBB318_14
; %bb.16:                               ;   in Loop: Header=BB318_15 Depth=1
	v_ashrrev_i32_e32 v5, 31, v4
	v_lshlrev_b64_e32 v[14:15], 2, v[8:9]
	s_mov_b32 s18, 0
	s_delay_alu instid0(VALU_DEP_2) | instskip(NEXT) | instid1(VALU_DEP_2)
	v_lshl_add_u64 v[10:11], v[4:5], 3, s[10:11]
	v_add_nc_u64_e32 v[12:13], s[6:7], v[14:15]
	v_add_nc_u64_e32 v[14:15], s[8:9], v[14:15]
	global_load_b64 v[10:11], v[10:11], off
	s_wait_loadcnt 0x0
	v_mul_f64_e32 v[10:11], v[2:3], v[10:11]
	s_branch .LBB318_18
.LBB318_17:                             ;   in Loop: Header=BB318_18 Depth=2
	s_wait_xcnt 0x0
	s_or_b32 exec_lo, exec_lo, s19
	v_add_nc_u64_e32 v[8:9], 64, v[8:9]
	v_add_nc_u64_e32 v[12:13], 0x100, v[12:13]
	;; [unrolled: 1-line block ×3, first 2 shown]
	s_delay_alu instid0(VALU_DEP_3) | instskip(SKIP_1) | instid1(SALU_CYCLE_1)
	v_cmp_ge_i64_e32 vcc_lo, v[8:9], v[6:7]
	s_or_b32 s18, vcc_lo, s18
	s_and_not1_b32 exec_lo, exec_lo, s18
	s_cbranch_execz .LBB318_14
.LBB318_18:                             ;   Parent Loop BB318_15 Depth=1
                                        ; =>  This Inner Loop Header: Depth=2
	global_load_b32 v5, v[12:13], off
	s_mov_b32 s19, exec_lo
	s_wait_loadcnt 0x0
	v_subrev_nc_u32_e32 v5, s2, v5
	s_wait_xcnt 0x0
	s_delay_alu instid0(VALU_DEP_1)
	v_cmpx_ne_u32_e64 v5, v4
	s_cbranch_execz .LBB318_17
; %bb.19:                               ;   in Loop: Header=BB318_18 Depth=2
	global_load_b32 v16, v[14:15], off
	s_wait_loadcnt 0x0
	v_cvt_f64_f32_e32 v[16:17], v16
	s_delay_alu instid0(VALU_DEP_1)
	v_mul_f64_e32 v[16:17], v[10:11], v[16:17]
	s_wait_xcnt 0x0
	global_atomic_add_f64 v5, v[16:17], s[16:17] scale_offset scope:SCOPE_DEV
	s_branch .LBB318_17
.LBB318_20:
	s_endpgm
	.section	.rodata,"a",@progbits
	.p2align	6, 0x0
	.amdhsa_kernel _ZN9rocsparseL21csrmvt_general_kernelILj256ELj64ElifdddEEvbbT2_NS_24const_host_device_scalarIT6_EEPKT1_S7_PKS1_PKT3_PKT4_PT5_21rocsparse_index_base_b
		.amdhsa_group_segment_fixed_size 0
		.amdhsa_private_segment_fixed_size 0
		.amdhsa_kernarg_size 328
		.amdhsa_user_sgpr_count 2
		.amdhsa_user_sgpr_dispatch_ptr 0
		.amdhsa_user_sgpr_queue_ptr 0
		.amdhsa_user_sgpr_kernarg_segment_ptr 1
		.amdhsa_user_sgpr_dispatch_id 0
		.amdhsa_user_sgpr_kernarg_preload_length 0
		.amdhsa_user_sgpr_kernarg_preload_offset 0
		.amdhsa_user_sgpr_private_segment_size 0
		.amdhsa_wavefront_size32 1
		.amdhsa_uses_dynamic_stack 0
		.amdhsa_enable_private_segment 0
		.amdhsa_system_sgpr_workgroup_id_x 1
		.amdhsa_system_sgpr_workgroup_id_y 0
		.amdhsa_system_sgpr_workgroup_id_z 0
		.amdhsa_system_sgpr_workgroup_info 0
		.amdhsa_system_vgpr_workitem_id 0
		.amdhsa_next_free_vgpr 22
		.amdhsa_next_free_sgpr 21
		.amdhsa_named_barrier_count 0
		.amdhsa_reserve_vcc 1
		.amdhsa_float_round_mode_32 0
		.amdhsa_float_round_mode_16_64 0
		.amdhsa_float_denorm_mode_32 3
		.amdhsa_float_denorm_mode_16_64 3
		.amdhsa_fp16_overflow 0
		.amdhsa_memory_ordered 1
		.amdhsa_forward_progress 1
		.amdhsa_inst_pref_size 7
		.amdhsa_round_robin_scheduling 0
		.amdhsa_exception_fp_ieee_invalid_op 0
		.amdhsa_exception_fp_denorm_src 0
		.amdhsa_exception_fp_ieee_div_zero 0
		.amdhsa_exception_fp_ieee_overflow 0
		.amdhsa_exception_fp_ieee_underflow 0
		.amdhsa_exception_fp_ieee_inexact 0
		.amdhsa_exception_int_div_zero 0
	.end_amdhsa_kernel
	.section	.text._ZN9rocsparseL21csrmvt_general_kernelILj256ELj64ElifdddEEvbbT2_NS_24const_host_device_scalarIT6_EEPKT1_S7_PKS1_PKT3_PKT4_PT5_21rocsparse_index_base_b,"axG",@progbits,_ZN9rocsparseL21csrmvt_general_kernelILj256ELj64ElifdddEEvbbT2_NS_24const_host_device_scalarIT6_EEPKT1_S7_PKS1_PKT3_PKT4_PT5_21rocsparse_index_base_b,comdat
.Lfunc_end318:
	.size	_ZN9rocsparseL21csrmvt_general_kernelILj256ELj64ElifdddEEvbbT2_NS_24const_host_device_scalarIT6_EEPKT1_S7_PKS1_PKT3_PKT4_PT5_21rocsparse_index_base_b, .Lfunc_end318-_ZN9rocsparseL21csrmvt_general_kernelILj256ELj64ElifdddEEvbbT2_NS_24const_host_device_scalarIT6_EEPKT1_S7_PKS1_PKT3_PKT4_PT5_21rocsparse_index_base_b
                                        ; -- End function
	.set _ZN9rocsparseL21csrmvt_general_kernelILj256ELj64ElifdddEEvbbT2_NS_24const_host_device_scalarIT6_EEPKT1_S7_PKS1_PKT3_PKT4_PT5_21rocsparse_index_base_b.num_vgpr, 22
	.set _ZN9rocsparseL21csrmvt_general_kernelILj256ELj64ElifdddEEvbbT2_NS_24const_host_device_scalarIT6_EEPKT1_S7_PKS1_PKT3_PKT4_PT5_21rocsparse_index_base_b.num_agpr, 0
	.set _ZN9rocsparseL21csrmvt_general_kernelILj256ELj64ElifdddEEvbbT2_NS_24const_host_device_scalarIT6_EEPKT1_S7_PKS1_PKT3_PKT4_PT5_21rocsparse_index_base_b.numbered_sgpr, 21
	.set _ZN9rocsparseL21csrmvt_general_kernelILj256ELj64ElifdddEEvbbT2_NS_24const_host_device_scalarIT6_EEPKT1_S7_PKS1_PKT3_PKT4_PT5_21rocsparse_index_base_b.num_named_barrier, 0
	.set _ZN9rocsparseL21csrmvt_general_kernelILj256ELj64ElifdddEEvbbT2_NS_24const_host_device_scalarIT6_EEPKT1_S7_PKS1_PKT3_PKT4_PT5_21rocsparse_index_base_b.private_seg_size, 0
	.set _ZN9rocsparseL21csrmvt_general_kernelILj256ELj64ElifdddEEvbbT2_NS_24const_host_device_scalarIT6_EEPKT1_S7_PKS1_PKT3_PKT4_PT5_21rocsparse_index_base_b.uses_vcc, 1
	.set _ZN9rocsparseL21csrmvt_general_kernelILj256ELj64ElifdddEEvbbT2_NS_24const_host_device_scalarIT6_EEPKT1_S7_PKS1_PKT3_PKT4_PT5_21rocsparse_index_base_b.uses_flat_scratch, 0
	.set _ZN9rocsparseL21csrmvt_general_kernelILj256ELj64ElifdddEEvbbT2_NS_24const_host_device_scalarIT6_EEPKT1_S7_PKS1_PKT3_PKT4_PT5_21rocsparse_index_base_b.has_dyn_sized_stack, 0
	.set _ZN9rocsparseL21csrmvt_general_kernelILj256ELj64ElifdddEEvbbT2_NS_24const_host_device_scalarIT6_EEPKT1_S7_PKS1_PKT3_PKT4_PT5_21rocsparse_index_base_b.has_recursion, 0
	.set _ZN9rocsparseL21csrmvt_general_kernelILj256ELj64ElifdddEEvbbT2_NS_24const_host_device_scalarIT6_EEPKT1_S7_PKS1_PKT3_PKT4_PT5_21rocsparse_index_base_b.has_indirect_call, 0
	.section	.AMDGPU.csdata,"",@progbits
; Kernel info:
; codeLenInByte = 884
; TotalNumSgprs: 23
; NumVgprs: 22
; ScratchSize: 0
; MemoryBound: 0
; FloatMode: 240
; IeeeMode: 1
; LDSByteSize: 0 bytes/workgroup (compile time only)
; SGPRBlocks: 0
; VGPRBlocks: 1
; NumSGPRsForWavesPerEU: 23
; NumVGPRsForWavesPerEU: 22
; NamedBarCnt: 0
; Occupancy: 16
; WaveLimiterHint : 1
; COMPUTE_PGM_RSRC2:SCRATCH_EN: 0
; COMPUTE_PGM_RSRC2:USER_SGPR: 2
; COMPUTE_PGM_RSRC2:TRAP_HANDLER: 0
; COMPUTE_PGM_RSRC2:TGID_X_EN: 1
; COMPUTE_PGM_RSRC2:TGID_Y_EN: 0
; COMPUTE_PGM_RSRC2:TGID_Z_EN: 0
; COMPUTE_PGM_RSRC2:TIDIG_COMP_CNT: 0
	.section	.text._ZN9rocsparseL21csrmvn_general_kernelILj256ELj2EllfdddEEvbT2_NS_24const_host_device_scalarIT6_EEPKT1_S7_PKS1_PKT3_PKT4_S4_PT5_21rocsparse_index_base_b,"axG",@progbits,_ZN9rocsparseL21csrmvn_general_kernelILj256ELj2EllfdddEEvbT2_NS_24const_host_device_scalarIT6_EEPKT1_S7_PKS1_PKT3_PKT4_S4_PT5_21rocsparse_index_base_b,comdat
	.globl	_ZN9rocsparseL21csrmvn_general_kernelILj256ELj2EllfdddEEvbT2_NS_24const_host_device_scalarIT6_EEPKT1_S7_PKS1_PKT3_PKT4_S4_PT5_21rocsparse_index_base_b ; -- Begin function _ZN9rocsparseL21csrmvn_general_kernelILj256ELj2EllfdddEEvbT2_NS_24const_host_device_scalarIT6_EEPKT1_S7_PKS1_PKT3_PKT4_S4_PT5_21rocsparse_index_base_b
	.p2align	8
	.type	_ZN9rocsparseL21csrmvn_general_kernelILj256ELj2EllfdddEEvbT2_NS_24const_host_device_scalarIT6_EEPKT1_S7_PKS1_PKT3_PKT4_S4_PT5_21rocsparse_index_base_b,@function
_ZN9rocsparseL21csrmvn_general_kernelILj256ELj2EllfdddEEvbT2_NS_24const_host_device_scalarIT6_EEPKT1_S7_PKS1_PKT3_PKT4_S4_PT5_21rocsparse_index_base_b: ; @_ZN9rocsparseL21csrmvn_general_kernelILj256ELj2EllfdddEEvbT2_NS_24const_host_device_scalarIT6_EEPKT1_S7_PKS1_PKT3_PKT4_S4_PT5_21rocsparse_index_base_b
; %bb.0:
	s_clause 0x2
	s_load_b64 s[16:17], s[0:1], 0x50
	s_load_b256 s[4:11], s[0:1], 0x8
	s_load_b64 s[2:3], s[0:1], 0x40
	s_wait_kmcnt 0x0
	s_bitcmp1_b32 s17, 0
	v_mov_b64_e32 v[2:3], s[6:7]
	s_cselect_b32 s12, -1, 0
	s_delay_alu instid0(SALU_CYCLE_1)
	s_and_b32 vcc_lo, exec_lo, s12
	s_xor_b32 s12, s12, -1
	s_cbranch_vccnz .LBB319_2
; %bb.1:
	v_mov_b32_e32 v1, 0
	flat_load_b64 v[2:3], v1, s[6:7]
.LBB319_2:
	v_mov_b64_e32 v[4:5], s[2:3]
	s_and_not1_b32 vcc_lo, exec_lo, s12
	s_cbranch_vccnz .LBB319_4
; %bb.3:
	s_wait_xcnt 0x0
	v_mov_b32_e32 v1, 0
	flat_load_b64 v[4:5], v1, s[2:3]
.LBB319_4:
	s_wait_loadcnt_dscnt 0x0
	v_cmp_neq_f64_e32 vcc_lo, 0, v[2:3]
	s_delay_alu instid0(VALU_DEP_2) | instskip(SKIP_1) | instid1(SALU_CYCLE_1)
	v_cmp_neq_f64_e64 s2, 1.0, v[4:5]
	s_or_b32 s2, vcc_lo, s2
	s_and_saveexec_b32 s3, s2
	s_cbranch_execz .LBB319_16
; %bb.5:
	s_bfe_u32 s2, ttmp6, 0x4000c
	s_and_b32 s3, ttmp6, 15
	s_add_co_i32 s2, s2, 1
	s_getreg_b32 s6, hwreg(HW_REG_IB_STS2, 6, 4)
	s_mul_i32 s2, ttmp9, s2
	v_mov_b32_e32 v7, 0
	s_add_co_i32 s3, s3, s2
	s_cmp_eq_u32 s6, 0
	s_cselect_b32 s2, ttmp9, s3
	s_mov_b32 s3, 0
	v_lshl_or_b32 v1, s2, 8, v0
	s_delay_alu instid0(VALU_DEP_1) | instskip(NEXT) | instid1(VALU_DEP_1)
	v_lshrrev_b32_e32 v6, 1, v1
	v_cmp_gt_i64_e32 vcc_lo, s[4:5], v[6:7]
	s_and_b32 exec_lo, exec_lo, vcc_lo
	s_cbranch_execz .LBB319_16
; %bb.6:
	v_mbcnt_lo_u32_b32 v1, -1, 0
	s_clause 0x3
	s_load_b32 s2, s[0:1], 0x58
	s_load_b64 s[18:19], s[0:1], 0x38
	s_load_b64 s[6:7], s[0:1], 0x48
	s_load_b128 s[12:15], s[0:1], 0x28
	s_mov_b32 s17, s3
	s_wait_xcnt 0x0
	s_ashr_i32 s1, s16, 31
	v_dual_mov_b32 v9, v7 :: v_dual_bitop2_b32 v10, 1, v1 bitop3:0x14
	v_cmp_neq_f64_e32 vcc_lo, 0, v[4:5]
	s_delay_alu instid0(VALU_DEP_2) | instskip(NEXT) | instid1(VALU_DEP_1)
	v_cmp_gt_i32_e64 s0, 32, v10
	v_dual_cndmask_b32 v10, v1, v10, s0 :: v_dual_bitop2_b32 v8, 1, v0 bitop3:0x40
	s_mov_b32 s0, s16
	s_delay_alu instid0(VALU_DEP_1)
	v_sub_nc_u64_e64 v[0:1], v[8:9], s[16:17]
	s_lshl_b64 s[20:21], s[0:1], 3
	v_cmp_eq_u32_e64 s0, 1, v8
	v_lshlrev_b32_e32 v18, 2, v10
	s_wait_kmcnt 0x0
	s_lshl_b32 s2, s2, 7
	s_sub_nc_u64 s[18:19], s[18:19], s[20:21]
	s_mov_b32 s20, s3
	s_branch .LBB319_9
.LBB319_7:                              ;   in Loop: Header=BB319_9 Depth=1
	s_wait_xcnt 0x0
	s_or_b32 exec_lo, exec_lo, s21
	global_store_b64 v[10:11], v[8:9], off
.LBB319_8:                              ;   in Loop: Header=BB319_9 Depth=1
	s_wait_xcnt 0x0
	s_or_b32 exec_lo, exec_lo, s1
	v_add_nc_u64_e32 v[6:7], s[2:3], v[6:7]
	s_delay_alu instid0(VALU_DEP_1) | instskip(SKIP_1) | instid1(SALU_CYCLE_1)
	v_cmp_le_i64_e64 s1, s[4:5], v[6:7]
	s_or_b32 s20, s1, s20
	s_and_not1_b32 exec_lo, exec_lo, s20
	s_cbranch_execz .LBB319_16
.LBB319_9:                              ; =>This Loop Header: Depth=1
                                        ;     Child Loop BB319_11 Depth 2
	v_lshlrev_b64_e32 v[8:9], 3, v[6:7]
	s_mov_b32 s21, exec_lo
	s_wait_dscnt 0x0
	s_delay_alu instid0(VALU_DEP_1)
	v_add_nc_u64_e32 v[10:11], s[10:11], v[8:9]
	v_add_nc_u64_e32 v[8:9], s[8:9], v[8:9]
	global_load_b64 v[12:13], v[10:11], off
	global_load_b64 v[14:15], v[8:9], off
	s_wait_xcnt 0x0
	v_mov_b64_e32 v[8:9], 0
	s_wait_loadcnt 0x1
	v_sub_nc_u64_e64 v[10:11], v[12:13], s[16:17]
	s_wait_loadcnt 0x0
	v_add_nc_u64_e32 v[12:13], v[14:15], v[0:1]
	s_delay_alu instid0(VALU_DEP_1)
	v_cmpx_lt_i64_e64 v[12:13], v[10:11]
	s_cbranch_execz .LBB319_13
; %bb.10:                               ;   in Loop: Header=BB319_9 Depth=1
	v_mov_b64_e32 v[8:9], 0
	v_lshl_add_u64 v[14:15], v[12:13], 2, s[14:15]
	v_lshl_add_u64 v[16:17], v[12:13], 3, s[12:13]
	s_mov_b32 s22, 0
.LBB319_11:                             ;   Parent Loop BB319_9 Depth=1
                                        ; =>  This Inner Loop Header: Depth=2
	global_load_b64 v[20:21], v[16:17], off
	global_load_b32 v19, v[14:15], off
	v_add_nc_u64_e32 v[12:13], 2, v[12:13]
	s_wait_xcnt 0x0
	v_add_nc_u64_e32 v[14:15], 8, v[14:15]
	v_add_nc_u64_e32 v[16:17], 16, v[16:17]
	s_delay_alu instid0(VALU_DEP_3)
	v_cmp_ge_i64_e64 s1, v[12:13], v[10:11]
	s_or_b32 s22, s1, s22
	s_wait_loadcnt 0x1
	v_lshl_add_u64 v[20:21], v[20:21], 3, s[18:19]
	s_wait_loadcnt 0x0
	v_cvt_f64_f32_e32 v[22:23], v19
	global_load_b64 v[20:21], v[20:21], off
	v_mul_f64_e32 v[22:23], v[2:3], v[22:23]
	s_wait_loadcnt 0x0
	s_delay_alu instid0(VALU_DEP_1)
	v_fmac_f64_e32 v[8:9], v[22:23], v[20:21]
	s_wait_xcnt 0x0
	s_and_not1_b32 exec_lo, exec_lo, s22
	s_cbranch_execnz .LBB319_11
; %bb.12:                               ;   in Loop: Header=BB319_9 Depth=1
	s_or_b32 exec_lo, exec_lo, s22
.LBB319_13:                             ;   in Loop: Header=BB319_9 Depth=1
	s_delay_alu instid0(SALU_CYCLE_1)
	s_or_b32 exec_lo, exec_lo, s21
	ds_bpermute_b32 v10, v18, v8
	ds_bpermute_b32 v11, v18, v9
	s_and_saveexec_b32 s1, s0
	s_cbranch_execz .LBB319_8
; %bb.14:                               ;   in Loop: Header=BB319_9 Depth=1
	s_wait_dscnt 0x0
	v_add_f64_e32 v[8:9], v[8:9], v[10:11]
	v_lshl_add_u64 v[10:11], v[6:7], 3, s[6:7]
	s_and_saveexec_b32 s21, vcc_lo
	s_cbranch_execz .LBB319_7
; %bb.15:                               ;   in Loop: Header=BB319_9 Depth=1
	global_load_b64 v[12:13], v[10:11], off
	s_wait_loadcnt 0x0
	v_fmac_f64_e32 v[8:9], v[4:5], v[12:13]
	s_branch .LBB319_7
.LBB319_16:
	s_endpgm
	.section	.rodata,"a",@progbits
	.p2align	6, 0x0
	.amdhsa_kernel _ZN9rocsparseL21csrmvn_general_kernelILj256ELj2EllfdddEEvbT2_NS_24const_host_device_scalarIT6_EEPKT1_S7_PKS1_PKT3_PKT4_S4_PT5_21rocsparse_index_base_b
		.amdhsa_group_segment_fixed_size 0
		.amdhsa_private_segment_fixed_size 0
		.amdhsa_kernarg_size 344
		.amdhsa_user_sgpr_count 2
		.amdhsa_user_sgpr_dispatch_ptr 0
		.amdhsa_user_sgpr_queue_ptr 0
		.amdhsa_user_sgpr_kernarg_segment_ptr 1
		.amdhsa_user_sgpr_dispatch_id 0
		.amdhsa_user_sgpr_kernarg_preload_length 0
		.amdhsa_user_sgpr_kernarg_preload_offset 0
		.amdhsa_user_sgpr_private_segment_size 0
		.amdhsa_wavefront_size32 1
		.amdhsa_uses_dynamic_stack 0
		.amdhsa_enable_private_segment 0
		.amdhsa_system_sgpr_workgroup_id_x 1
		.amdhsa_system_sgpr_workgroup_id_y 0
		.amdhsa_system_sgpr_workgroup_id_z 0
		.amdhsa_system_sgpr_workgroup_info 0
		.amdhsa_system_vgpr_workitem_id 0
		.amdhsa_next_free_vgpr 24
		.amdhsa_next_free_sgpr 23
		.amdhsa_named_barrier_count 0
		.amdhsa_reserve_vcc 1
		.amdhsa_float_round_mode_32 0
		.amdhsa_float_round_mode_16_64 0
		.amdhsa_float_denorm_mode_32 3
		.amdhsa_float_denorm_mode_16_64 3
		.amdhsa_fp16_overflow 0
		.amdhsa_memory_ordered 1
		.amdhsa_forward_progress 1
		.amdhsa_inst_pref_size 6
		.amdhsa_round_robin_scheduling 0
		.amdhsa_exception_fp_ieee_invalid_op 0
		.amdhsa_exception_fp_denorm_src 0
		.amdhsa_exception_fp_ieee_div_zero 0
		.amdhsa_exception_fp_ieee_overflow 0
		.amdhsa_exception_fp_ieee_underflow 0
		.amdhsa_exception_fp_ieee_inexact 0
		.amdhsa_exception_int_div_zero 0
	.end_amdhsa_kernel
	.section	.text._ZN9rocsparseL21csrmvn_general_kernelILj256ELj2EllfdddEEvbT2_NS_24const_host_device_scalarIT6_EEPKT1_S7_PKS1_PKT3_PKT4_S4_PT5_21rocsparse_index_base_b,"axG",@progbits,_ZN9rocsparseL21csrmvn_general_kernelILj256ELj2EllfdddEEvbT2_NS_24const_host_device_scalarIT6_EEPKT1_S7_PKS1_PKT3_PKT4_S4_PT5_21rocsparse_index_base_b,comdat
.Lfunc_end319:
	.size	_ZN9rocsparseL21csrmvn_general_kernelILj256ELj2EllfdddEEvbT2_NS_24const_host_device_scalarIT6_EEPKT1_S7_PKS1_PKT3_PKT4_S4_PT5_21rocsparse_index_base_b, .Lfunc_end319-_ZN9rocsparseL21csrmvn_general_kernelILj256ELj2EllfdddEEvbT2_NS_24const_host_device_scalarIT6_EEPKT1_S7_PKS1_PKT3_PKT4_S4_PT5_21rocsparse_index_base_b
                                        ; -- End function
	.set _ZN9rocsparseL21csrmvn_general_kernelILj256ELj2EllfdddEEvbT2_NS_24const_host_device_scalarIT6_EEPKT1_S7_PKS1_PKT3_PKT4_S4_PT5_21rocsparse_index_base_b.num_vgpr, 24
	.set _ZN9rocsparseL21csrmvn_general_kernelILj256ELj2EllfdddEEvbT2_NS_24const_host_device_scalarIT6_EEPKT1_S7_PKS1_PKT3_PKT4_S4_PT5_21rocsparse_index_base_b.num_agpr, 0
	.set _ZN9rocsparseL21csrmvn_general_kernelILj256ELj2EllfdddEEvbT2_NS_24const_host_device_scalarIT6_EEPKT1_S7_PKS1_PKT3_PKT4_S4_PT5_21rocsparse_index_base_b.numbered_sgpr, 23
	.set _ZN9rocsparseL21csrmvn_general_kernelILj256ELj2EllfdddEEvbT2_NS_24const_host_device_scalarIT6_EEPKT1_S7_PKS1_PKT3_PKT4_S4_PT5_21rocsparse_index_base_b.num_named_barrier, 0
	.set _ZN9rocsparseL21csrmvn_general_kernelILj256ELj2EllfdddEEvbT2_NS_24const_host_device_scalarIT6_EEPKT1_S7_PKS1_PKT3_PKT4_S4_PT5_21rocsparse_index_base_b.private_seg_size, 0
	.set _ZN9rocsparseL21csrmvn_general_kernelILj256ELj2EllfdddEEvbT2_NS_24const_host_device_scalarIT6_EEPKT1_S7_PKS1_PKT3_PKT4_S4_PT5_21rocsparse_index_base_b.uses_vcc, 1
	.set _ZN9rocsparseL21csrmvn_general_kernelILj256ELj2EllfdddEEvbT2_NS_24const_host_device_scalarIT6_EEPKT1_S7_PKS1_PKT3_PKT4_S4_PT5_21rocsparse_index_base_b.uses_flat_scratch, 0
	.set _ZN9rocsparseL21csrmvn_general_kernelILj256ELj2EllfdddEEvbT2_NS_24const_host_device_scalarIT6_EEPKT1_S7_PKS1_PKT3_PKT4_S4_PT5_21rocsparse_index_base_b.has_dyn_sized_stack, 0
	.set _ZN9rocsparseL21csrmvn_general_kernelILj256ELj2EllfdddEEvbT2_NS_24const_host_device_scalarIT6_EEPKT1_S7_PKS1_PKT3_PKT4_S4_PT5_21rocsparse_index_base_b.has_recursion, 0
	.set _ZN9rocsparseL21csrmvn_general_kernelILj256ELj2EllfdddEEvbT2_NS_24const_host_device_scalarIT6_EEPKT1_S7_PKS1_PKT3_PKT4_S4_PT5_21rocsparse_index_base_b.has_indirect_call, 0
	.section	.AMDGPU.csdata,"",@progbits
; Kernel info:
; codeLenInByte = 736
; TotalNumSgprs: 25
; NumVgprs: 24
; ScratchSize: 0
; MemoryBound: 1
; FloatMode: 240
; IeeeMode: 1
; LDSByteSize: 0 bytes/workgroup (compile time only)
; SGPRBlocks: 0
; VGPRBlocks: 1
; NumSGPRsForWavesPerEU: 25
; NumVGPRsForWavesPerEU: 24
; NamedBarCnt: 0
; Occupancy: 16
; WaveLimiterHint : 1
; COMPUTE_PGM_RSRC2:SCRATCH_EN: 0
; COMPUTE_PGM_RSRC2:USER_SGPR: 2
; COMPUTE_PGM_RSRC2:TRAP_HANDLER: 0
; COMPUTE_PGM_RSRC2:TGID_X_EN: 1
; COMPUTE_PGM_RSRC2:TGID_Y_EN: 0
; COMPUTE_PGM_RSRC2:TGID_Z_EN: 0
; COMPUTE_PGM_RSRC2:TIDIG_COMP_CNT: 0
	.section	.text._ZN9rocsparseL21csrmvn_general_kernelILj256ELj4EllfdddEEvbT2_NS_24const_host_device_scalarIT6_EEPKT1_S7_PKS1_PKT3_PKT4_S4_PT5_21rocsparse_index_base_b,"axG",@progbits,_ZN9rocsparseL21csrmvn_general_kernelILj256ELj4EllfdddEEvbT2_NS_24const_host_device_scalarIT6_EEPKT1_S7_PKS1_PKT3_PKT4_S4_PT5_21rocsparse_index_base_b,comdat
	.globl	_ZN9rocsparseL21csrmvn_general_kernelILj256ELj4EllfdddEEvbT2_NS_24const_host_device_scalarIT6_EEPKT1_S7_PKS1_PKT3_PKT4_S4_PT5_21rocsparse_index_base_b ; -- Begin function _ZN9rocsparseL21csrmvn_general_kernelILj256ELj4EllfdddEEvbT2_NS_24const_host_device_scalarIT6_EEPKT1_S7_PKS1_PKT3_PKT4_S4_PT5_21rocsparse_index_base_b
	.p2align	8
	.type	_ZN9rocsparseL21csrmvn_general_kernelILj256ELj4EllfdddEEvbT2_NS_24const_host_device_scalarIT6_EEPKT1_S7_PKS1_PKT3_PKT4_S4_PT5_21rocsparse_index_base_b,@function
_ZN9rocsparseL21csrmvn_general_kernelILj256ELj4EllfdddEEvbT2_NS_24const_host_device_scalarIT6_EEPKT1_S7_PKS1_PKT3_PKT4_S4_PT5_21rocsparse_index_base_b: ; @_ZN9rocsparseL21csrmvn_general_kernelILj256ELj4EllfdddEEvbT2_NS_24const_host_device_scalarIT6_EEPKT1_S7_PKS1_PKT3_PKT4_S4_PT5_21rocsparse_index_base_b
; %bb.0:
	s_clause 0x2
	s_load_b64 s[16:17], s[0:1], 0x50
	s_load_b256 s[4:11], s[0:1], 0x8
	s_load_b64 s[2:3], s[0:1], 0x40
	s_wait_kmcnt 0x0
	s_bitcmp1_b32 s17, 0
	v_mov_b64_e32 v[2:3], s[6:7]
	s_cselect_b32 s12, -1, 0
	s_delay_alu instid0(SALU_CYCLE_1)
	s_and_b32 vcc_lo, exec_lo, s12
	s_xor_b32 s12, s12, -1
	s_cbranch_vccnz .LBB320_2
; %bb.1:
	v_mov_b32_e32 v1, 0
	flat_load_b64 v[2:3], v1, s[6:7]
.LBB320_2:
	v_mov_b64_e32 v[4:5], s[2:3]
	s_and_not1_b32 vcc_lo, exec_lo, s12
	s_cbranch_vccnz .LBB320_4
; %bb.3:
	s_wait_xcnt 0x0
	v_mov_b32_e32 v1, 0
	flat_load_b64 v[4:5], v1, s[2:3]
.LBB320_4:
	s_wait_loadcnt_dscnt 0x0
	v_cmp_neq_f64_e32 vcc_lo, 0, v[2:3]
	s_delay_alu instid0(VALU_DEP_2) | instskip(SKIP_1) | instid1(SALU_CYCLE_1)
	v_cmp_neq_f64_e64 s2, 1.0, v[4:5]
	s_or_b32 s2, vcc_lo, s2
	s_and_saveexec_b32 s3, s2
	s_cbranch_execz .LBB320_16
; %bb.5:
	s_bfe_u32 s2, ttmp6, 0x4000c
	s_and_b32 s3, ttmp6, 15
	s_add_co_i32 s2, s2, 1
	s_getreg_b32 s6, hwreg(HW_REG_IB_STS2, 6, 4)
	s_mul_i32 s2, ttmp9, s2
	v_mov_b32_e32 v7, 0
	s_add_co_i32 s3, s3, s2
	s_cmp_eq_u32 s6, 0
	s_cselect_b32 s2, ttmp9, s3
	s_mov_b32 s3, 0
	v_lshl_or_b32 v1, s2, 8, v0
	s_delay_alu instid0(VALU_DEP_1) | instskip(NEXT) | instid1(VALU_DEP_1)
	v_lshrrev_b32_e32 v6, 2, v1
	v_cmp_gt_i64_e32 vcc_lo, s[4:5], v[6:7]
	s_and_b32 exec_lo, exec_lo, vcc_lo
	s_cbranch_execz .LBB320_16
; %bb.6:
	v_mbcnt_lo_u32_b32 v1, -1, 0
	v_dual_mov_b32 v9, v7 :: v_dual_bitop2_b32 v8, 3, v0 bitop3:0x40
	s_clause 0x3
	s_load_b32 s2, s[0:1], 0x58
	s_load_b64 s[18:19], s[0:1], 0x38
	s_load_b64 s[6:7], s[0:1], 0x48
	s_load_b128 s[12:15], s[0:1], 0x28
	v_xor_b32_e32 v10, 1, v1
	v_xor_b32_e32 v0, 2, v1
	s_mov_b32 s17, s3
	s_wait_xcnt 0x0
	s_ashr_i32 s1, s16, 31
	v_cmp_neq_f64_e32 vcc_lo, 0, v[4:5]
	v_cmp_gt_i32_e64 s0, 32, v0
	s_delay_alu instid0(VALU_DEP_1) | instskip(SKIP_1) | instid1(VALU_DEP_1)
	v_cndmask_b32_e64 v11, v1, v0, s0
	v_cmp_gt_i32_e64 s0, 32, v10
	v_cndmask_b32_e64 v10, v1, v10, s0
	s_mov_b32 s0, s16
	v_sub_nc_u64_e64 v[0:1], v[8:9], s[16:17]
	s_lshl_b64 s[20:21], s[0:1], 3
	s_delay_alu instid0(VALU_DEP_2)
	v_dual_lshlrev_b32 v18, 2, v11 :: v_dual_lshlrev_b32 v19, 2, v10
	v_cmp_eq_u32_e64 s0, 3, v8
	s_wait_kmcnt 0x0
	s_lshl_b32 s2, s2, 6
	s_sub_nc_u64 s[18:19], s[18:19], s[20:21]
	s_mov_b32 s20, s3
	s_branch .LBB320_9
.LBB320_7:                              ;   in Loop: Header=BB320_9 Depth=1
	s_wait_xcnt 0x0
	s_or_b32 exec_lo, exec_lo, s21
	global_store_b64 v[10:11], v[8:9], off
.LBB320_8:                              ;   in Loop: Header=BB320_9 Depth=1
	s_wait_xcnt 0x0
	s_or_b32 exec_lo, exec_lo, s1
	v_add_nc_u64_e32 v[6:7], s[2:3], v[6:7]
	s_delay_alu instid0(VALU_DEP_1) | instskip(SKIP_1) | instid1(SALU_CYCLE_1)
	v_cmp_le_i64_e64 s1, s[4:5], v[6:7]
	s_or_b32 s20, s1, s20
	s_and_not1_b32 exec_lo, exec_lo, s20
	s_cbranch_execz .LBB320_16
.LBB320_9:                              ; =>This Loop Header: Depth=1
                                        ;     Child Loop BB320_11 Depth 2
	v_lshlrev_b64_e32 v[8:9], 3, v[6:7]
	s_mov_b32 s21, exec_lo
	s_wait_dscnt 0x0
	s_delay_alu instid0(VALU_DEP_1)
	v_add_nc_u64_e32 v[10:11], s[10:11], v[8:9]
	v_add_nc_u64_e32 v[8:9], s[8:9], v[8:9]
	global_load_b64 v[12:13], v[10:11], off
	global_load_b64 v[14:15], v[8:9], off
	s_wait_xcnt 0x0
	v_mov_b64_e32 v[8:9], 0
	s_wait_loadcnt 0x1
	v_sub_nc_u64_e64 v[10:11], v[12:13], s[16:17]
	s_wait_loadcnt 0x0
	v_add_nc_u64_e32 v[12:13], v[14:15], v[0:1]
	s_delay_alu instid0(VALU_DEP_1)
	v_cmpx_lt_i64_e64 v[12:13], v[10:11]
	s_cbranch_execz .LBB320_13
; %bb.10:                               ;   in Loop: Header=BB320_9 Depth=1
	v_mov_b64_e32 v[8:9], 0
	v_lshl_add_u64 v[14:15], v[12:13], 2, s[14:15]
	v_lshl_add_u64 v[16:17], v[12:13], 3, s[12:13]
	s_mov_b32 s22, 0
.LBB320_11:                             ;   Parent Loop BB320_9 Depth=1
                                        ; =>  This Inner Loop Header: Depth=2
	global_load_b64 v[20:21], v[16:17], off
	global_load_b32 v22, v[14:15], off
	v_add_nc_u64_e32 v[12:13], 4, v[12:13]
	s_wait_xcnt 0x0
	v_add_nc_u64_e32 v[14:15], 16, v[14:15]
	v_add_nc_u64_e32 v[16:17], 32, v[16:17]
	s_delay_alu instid0(VALU_DEP_3)
	v_cmp_ge_i64_e64 s1, v[12:13], v[10:11]
	s_or_b32 s22, s1, s22
	s_wait_loadcnt 0x1
	v_lshl_add_u64 v[20:21], v[20:21], 3, s[18:19]
	s_wait_loadcnt 0x0
	v_cvt_f64_f32_e32 v[22:23], v22
	global_load_b64 v[20:21], v[20:21], off
	v_mul_f64_e32 v[22:23], v[2:3], v[22:23]
	s_wait_loadcnt 0x0
	s_delay_alu instid0(VALU_DEP_1)
	v_fmac_f64_e32 v[8:9], v[22:23], v[20:21]
	s_wait_xcnt 0x0
	s_and_not1_b32 exec_lo, exec_lo, s22
	s_cbranch_execnz .LBB320_11
; %bb.12:                               ;   in Loop: Header=BB320_9 Depth=1
	s_or_b32 exec_lo, exec_lo, s22
.LBB320_13:                             ;   in Loop: Header=BB320_9 Depth=1
	s_delay_alu instid0(SALU_CYCLE_1)
	s_or_b32 exec_lo, exec_lo, s21
	ds_bpermute_b32 v10, v18, v8
	ds_bpermute_b32 v11, v18, v9
	s_wait_dscnt 0x0
	v_add_f64_e32 v[8:9], v[8:9], v[10:11]
	ds_bpermute_b32 v10, v19, v8
	ds_bpermute_b32 v11, v19, v9
	s_and_saveexec_b32 s1, s0
	s_cbranch_execz .LBB320_8
; %bb.14:                               ;   in Loop: Header=BB320_9 Depth=1
	s_wait_dscnt 0x0
	v_add_f64_e32 v[8:9], v[8:9], v[10:11]
	v_lshl_add_u64 v[10:11], v[6:7], 3, s[6:7]
	s_and_saveexec_b32 s21, vcc_lo
	s_cbranch_execz .LBB320_7
; %bb.15:                               ;   in Loop: Header=BB320_9 Depth=1
	global_load_b64 v[12:13], v[10:11], off
	s_wait_loadcnt 0x0
	v_fmac_f64_e32 v[8:9], v[4:5], v[12:13]
	s_branch .LBB320_7
.LBB320_16:
	s_endpgm
	.section	.rodata,"a",@progbits
	.p2align	6, 0x0
	.amdhsa_kernel _ZN9rocsparseL21csrmvn_general_kernelILj256ELj4EllfdddEEvbT2_NS_24const_host_device_scalarIT6_EEPKT1_S7_PKS1_PKT3_PKT4_S4_PT5_21rocsparse_index_base_b
		.amdhsa_group_segment_fixed_size 0
		.amdhsa_private_segment_fixed_size 0
		.amdhsa_kernarg_size 344
		.amdhsa_user_sgpr_count 2
		.amdhsa_user_sgpr_dispatch_ptr 0
		.amdhsa_user_sgpr_queue_ptr 0
		.amdhsa_user_sgpr_kernarg_segment_ptr 1
		.amdhsa_user_sgpr_dispatch_id 0
		.amdhsa_user_sgpr_kernarg_preload_length 0
		.amdhsa_user_sgpr_kernarg_preload_offset 0
		.amdhsa_user_sgpr_private_segment_size 0
		.amdhsa_wavefront_size32 1
		.amdhsa_uses_dynamic_stack 0
		.amdhsa_enable_private_segment 0
		.amdhsa_system_sgpr_workgroup_id_x 1
		.amdhsa_system_sgpr_workgroup_id_y 0
		.amdhsa_system_sgpr_workgroup_id_z 0
		.amdhsa_system_sgpr_workgroup_info 0
		.amdhsa_system_vgpr_workitem_id 0
		.amdhsa_next_free_vgpr 24
		.amdhsa_next_free_sgpr 23
		.amdhsa_named_barrier_count 0
		.amdhsa_reserve_vcc 1
		.amdhsa_float_round_mode_32 0
		.amdhsa_float_round_mode_16_64 0
		.amdhsa_float_denorm_mode_32 3
		.amdhsa_float_denorm_mode_16_64 3
		.amdhsa_fp16_overflow 0
		.amdhsa_memory_ordered 1
		.amdhsa_forward_progress 1
		.amdhsa_inst_pref_size 7
		.amdhsa_round_robin_scheduling 0
		.amdhsa_exception_fp_ieee_invalid_op 0
		.amdhsa_exception_fp_denorm_src 0
		.amdhsa_exception_fp_ieee_div_zero 0
		.amdhsa_exception_fp_ieee_overflow 0
		.amdhsa_exception_fp_ieee_underflow 0
		.amdhsa_exception_fp_ieee_inexact 0
		.amdhsa_exception_int_div_zero 0
	.end_amdhsa_kernel
	.section	.text._ZN9rocsparseL21csrmvn_general_kernelILj256ELj4EllfdddEEvbT2_NS_24const_host_device_scalarIT6_EEPKT1_S7_PKS1_PKT3_PKT4_S4_PT5_21rocsparse_index_base_b,"axG",@progbits,_ZN9rocsparseL21csrmvn_general_kernelILj256ELj4EllfdddEEvbT2_NS_24const_host_device_scalarIT6_EEPKT1_S7_PKS1_PKT3_PKT4_S4_PT5_21rocsparse_index_base_b,comdat
.Lfunc_end320:
	.size	_ZN9rocsparseL21csrmvn_general_kernelILj256ELj4EllfdddEEvbT2_NS_24const_host_device_scalarIT6_EEPKT1_S7_PKS1_PKT3_PKT4_S4_PT5_21rocsparse_index_base_b, .Lfunc_end320-_ZN9rocsparseL21csrmvn_general_kernelILj256ELj4EllfdddEEvbT2_NS_24const_host_device_scalarIT6_EEPKT1_S7_PKS1_PKT3_PKT4_S4_PT5_21rocsparse_index_base_b
                                        ; -- End function
	.set _ZN9rocsparseL21csrmvn_general_kernelILj256ELj4EllfdddEEvbT2_NS_24const_host_device_scalarIT6_EEPKT1_S7_PKS1_PKT3_PKT4_S4_PT5_21rocsparse_index_base_b.num_vgpr, 24
	.set _ZN9rocsparseL21csrmvn_general_kernelILj256ELj4EllfdddEEvbT2_NS_24const_host_device_scalarIT6_EEPKT1_S7_PKS1_PKT3_PKT4_S4_PT5_21rocsparse_index_base_b.num_agpr, 0
	.set _ZN9rocsparseL21csrmvn_general_kernelILj256ELj4EllfdddEEvbT2_NS_24const_host_device_scalarIT6_EEPKT1_S7_PKS1_PKT3_PKT4_S4_PT5_21rocsparse_index_base_b.numbered_sgpr, 23
	.set _ZN9rocsparseL21csrmvn_general_kernelILj256ELj4EllfdddEEvbT2_NS_24const_host_device_scalarIT6_EEPKT1_S7_PKS1_PKT3_PKT4_S4_PT5_21rocsparse_index_base_b.num_named_barrier, 0
	.set _ZN9rocsparseL21csrmvn_general_kernelILj256ELj4EllfdddEEvbT2_NS_24const_host_device_scalarIT6_EEPKT1_S7_PKS1_PKT3_PKT4_S4_PT5_21rocsparse_index_base_b.private_seg_size, 0
	.set _ZN9rocsparseL21csrmvn_general_kernelILj256ELj4EllfdddEEvbT2_NS_24const_host_device_scalarIT6_EEPKT1_S7_PKS1_PKT3_PKT4_S4_PT5_21rocsparse_index_base_b.uses_vcc, 1
	.set _ZN9rocsparseL21csrmvn_general_kernelILj256ELj4EllfdddEEvbT2_NS_24const_host_device_scalarIT6_EEPKT1_S7_PKS1_PKT3_PKT4_S4_PT5_21rocsparse_index_base_b.uses_flat_scratch, 0
	.set _ZN9rocsparseL21csrmvn_general_kernelILj256ELj4EllfdddEEvbT2_NS_24const_host_device_scalarIT6_EEPKT1_S7_PKS1_PKT3_PKT4_S4_PT5_21rocsparse_index_base_b.has_dyn_sized_stack, 0
	.set _ZN9rocsparseL21csrmvn_general_kernelILj256ELj4EllfdddEEvbT2_NS_24const_host_device_scalarIT6_EEPKT1_S7_PKS1_PKT3_PKT4_S4_PT5_21rocsparse_index_base_b.has_recursion, 0
	.set _ZN9rocsparseL21csrmvn_general_kernelILj256ELj4EllfdddEEvbT2_NS_24const_host_device_scalarIT6_EEPKT1_S7_PKS1_PKT3_PKT4_S4_PT5_21rocsparse_index_base_b.has_indirect_call, 0
	.section	.AMDGPU.csdata,"",@progbits
; Kernel info:
; codeLenInByte = 788
; TotalNumSgprs: 25
; NumVgprs: 24
; ScratchSize: 0
; MemoryBound: 1
; FloatMode: 240
; IeeeMode: 1
; LDSByteSize: 0 bytes/workgroup (compile time only)
; SGPRBlocks: 0
; VGPRBlocks: 1
; NumSGPRsForWavesPerEU: 25
; NumVGPRsForWavesPerEU: 24
; NamedBarCnt: 0
; Occupancy: 16
; WaveLimiterHint : 1
; COMPUTE_PGM_RSRC2:SCRATCH_EN: 0
; COMPUTE_PGM_RSRC2:USER_SGPR: 2
; COMPUTE_PGM_RSRC2:TRAP_HANDLER: 0
; COMPUTE_PGM_RSRC2:TGID_X_EN: 1
; COMPUTE_PGM_RSRC2:TGID_Y_EN: 0
; COMPUTE_PGM_RSRC2:TGID_Z_EN: 0
; COMPUTE_PGM_RSRC2:TIDIG_COMP_CNT: 0
	.section	.text._ZN9rocsparseL21csrmvn_general_kernelILj256ELj8EllfdddEEvbT2_NS_24const_host_device_scalarIT6_EEPKT1_S7_PKS1_PKT3_PKT4_S4_PT5_21rocsparse_index_base_b,"axG",@progbits,_ZN9rocsparseL21csrmvn_general_kernelILj256ELj8EllfdddEEvbT2_NS_24const_host_device_scalarIT6_EEPKT1_S7_PKS1_PKT3_PKT4_S4_PT5_21rocsparse_index_base_b,comdat
	.globl	_ZN9rocsparseL21csrmvn_general_kernelILj256ELj8EllfdddEEvbT2_NS_24const_host_device_scalarIT6_EEPKT1_S7_PKS1_PKT3_PKT4_S4_PT5_21rocsparse_index_base_b ; -- Begin function _ZN9rocsparseL21csrmvn_general_kernelILj256ELj8EllfdddEEvbT2_NS_24const_host_device_scalarIT6_EEPKT1_S7_PKS1_PKT3_PKT4_S4_PT5_21rocsparse_index_base_b
	.p2align	8
	.type	_ZN9rocsparseL21csrmvn_general_kernelILj256ELj8EllfdddEEvbT2_NS_24const_host_device_scalarIT6_EEPKT1_S7_PKS1_PKT3_PKT4_S4_PT5_21rocsparse_index_base_b,@function
_ZN9rocsparseL21csrmvn_general_kernelILj256ELj8EllfdddEEvbT2_NS_24const_host_device_scalarIT6_EEPKT1_S7_PKS1_PKT3_PKT4_S4_PT5_21rocsparse_index_base_b: ; @_ZN9rocsparseL21csrmvn_general_kernelILj256ELj8EllfdddEEvbT2_NS_24const_host_device_scalarIT6_EEPKT1_S7_PKS1_PKT3_PKT4_S4_PT5_21rocsparse_index_base_b
; %bb.0:
	s_clause 0x2
	s_load_b64 s[16:17], s[0:1], 0x50
	s_load_b256 s[4:11], s[0:1], 0x8
	s_load_b64 s[2:3], s[0:1], 0x40
	s_wait_kmcnt 0x0
	s_bitcmp1_b32 s17, 0
	v_mov_b64_e32 v[2:3], s[6:7]
	s_cselect_b32 s12, -1, 0
	s_delay_alu instid0(SALU_CYCLE_1)
	s_and_b32 vcc_lo, exec_lo, s12
	s_xor_b32 s12, s12, -1
	s_cbranch_vccnz .LBB321_2
; %bb.1:
	v_mov_b32_e32 v1, 0
	flat_load_b64 v[2:3], v1, s[6:7]
.LBB321_2:
	v_mov_b64_e32 v[4:5], s[2:3]
	s_and_not1_b32 vcc_lo, exec_lo, s12
	s_cbranch_vccnz .LBB321_4
; %bb.3:
	s_wait_xcnt 0x0
	v_mov_b32_e32 v1, 0
	flat_load_b64 v[4:5], v1, s[2:3]
.LBB321_4:
	s_wait_loadcnt_dscnt 0x0
	v_cmp_neq_f64_e32 vcc_lo, 0, v[2:3]
	s_delay_alu instid0(VALU_DEP_2) | instskip(SKIP_1) | instid1(SALU_CYCLE_1)
	v_cmp_neq_f64_e64 s2, 1.0, v[4:5]
	s_or_b32 s2, vcc_lo, s2
	s_and_saveexec_b32 s3, s2
	s_cbranch_execz .LBB321_16
; %bb.5:
	s_bfe_u32 s2, ttmp6, 0x4000c
	s_and_b32 s3, ttmp6, 15
	s_add_co_i32 s2, s2, 1
	s_getreg_b32 s6, hwreg(HW_REG_IB_STS2, 6, 4)
	s_mul_i32 s2, ttmp9, s2
	v_mov_b32_e32 v7, 0
	s_add_co_i32 s3, s3, s2
	s_cmp_eq_u32 s6, 0
	s_cselect_b32 s2, ttmp9, s3
	s_mov_b32 s3, 0
	v_lshl_or_b32 v1, s2, 8, v0
	s_delay_alu instid0(VALU_DEP_1) | instskip(NEXT) | instid1(VALU_DEP_1)
	v_lshrrev_b32_e32 v6, 3, v1
	v_cmp_gt_i64_e32 vcc_lo, s[4:5], v[6:7]
	s_and_b32 exec_lo, exec_lo, vcc_lo
	s_cbranch_execz .LBB321_16
; %bb.6:
	v_mbcnt_lo_u32_b32 v1, -1, 0
	v_dual_mov_b32 v9, v7 :: v_dual_bitop2_b32 v8, 7, v0 bitop3:0x40
	s_clause 0x3
	s_load_b128 s[12:15], s[0:1], 0x28
	s_load_b64 s[18:19], s[0:1], 0x38
	s_load_b64 s[6:7], s[0:1], 0x48
	s_load_b32 s2, s[0:1], 0x58
	v_xor_b32_e32 v10, 2, v1
	v_xor_b32_e32 v0, 4, v1
	s_mov_b32 s17, s3
	s_ashr_i32 s21, s16, 31
	s_mov_b32 s20, s16
	v_cmp_neq_f64_e32 vcc_lo, 0, v[4:5]
	s_wait_xcnt 0x0
	v_cmp_gt_i32_e64 s0, 32, v0
	s_lshl_b64 s[20:21], s[20:21], 3
	v_dual_cndmask_b32 v12, v1, v0, s0 :: v_dual_bitop2_b32 v11, 1, v1 bitop3:0x14
	v_cmp_gt_i32_e64 s0, 32, v10
	s_delay_alu instid0(VALU_DEP_1) | instskip(NEXT) | instid1(VALU_DEP_3)
	v_dual_lshlrev_b32 v18, 2, v12 :: v_dual_cndmask_b32 v10, v1, v10, s0
	v_cmp_gt_i32_e64 s0, 32, v11
	s_wait_kmcnt 0x0
	s_lshl_b32 s2, s2, 5
	s_sub_nc_u64 s[18:19], s[18:19], s[20:21]
	s_mov_b32 s20, s3
	v_dual_lshlrev_b32 v19, 2, v10 :: v_dual_cndmask_b32 v11, v1, v11, s0
	v_sub_nc_u64_e64 v[0:1], v[8:9], s[16:17]
	v_cmp_eq_u32_e64 s0, 7, v8
	s_delay_alu instid0(VALU_DEP_3)
	v_lshlrev_b32_e32 v20, 2, v11
	s_branch .LBB321_9
.LBB321_7:                              ;   in Loop: Header=BB321_9 Depth=1
	s_wait_xcnt 0x0
	s_or_b32 exec_lo, exec_lo, s21
	global_store_b64 v[10:11], v[8:9], off
.LBB321_8:                              ;   in Loop: Header=BB321_9 Depth=1
	s_wait_xcnt 0x0
	s_or_b32 exec_lo, exec_lo, s1
	v_add_nc_u64_e32 v[6:7], s[2:3], v[6:7]
	s_delay_alu instid0(VALU_DEP_1) | instskip(SKIP_1) | instid1(SALU_CYCLE_1)
	v_cmp_le_i64_e64 s1, s[4:5], v[6:7]
	s_or_b32 s20, s1, s20
	s_and_not1_b32 exec_lo, exec_lo, s20
	s_cbranch_execz .LBB321_16
.LBB321_9:                              ; =>This Loop Header: Depth=1
                                        ;     Child Loop BB321_11 Depth 2
	v_lshlrev_b64_e32 v[8:9], 3, v[6:7]
	s_mov_b32 s21, exec_lo
	s_wait_dscnt 0x0
	s_delay_alu instid0(VALU_DEP_1)
	v_add_nc_u64_e32 v[10:11], s[10:11], v[8:9]
	v_add_nc_u64_e32 v[8:9], s[8:9], v[8:9]
	global_load_b64 v[12:13], v[10:11], off
	global_load_b64 v[14:15], v[8:9], off
	s_wait_xcnt 0x0
	v_mov_b64_e32 v[8:9], 0
	s_wait_loadcnt 0x1
	v_sub_nc_u64_e64 v[10:11], v[12:13], s[16:17]
	s_wait_loadcnt 0x0
	v_add_nc_u64_e32 v[12:13], v[14:15], v[0:1]
	s_delay_alu instid0(VALU_DEP_1)
	v_cmpx_lt_i64_e64 v[12:13], v[10:11]
	s_cbranch_execz .LBB321_13
; %bb.10:                               ;   in Loop: Header=BB321_9 Depth=1
	v_mov_b64_e32 v[8:9], 0
	v_lshl_add_u64 v[14:15], v[12:13], 2, s[14:15]
	v_lshl_add_u64 v[16:17], v[12:13], 3, s[12:13]
	s_mov_b32 s22, 0
.LBB321_11:                             ;   Parent Loop BB321_9 Depth=1
                                        ; =>  This Inner Loop Header: Depth=2
	global_load_b64 v[22:23], v[16:17], off
	global_load_b32 v21, v[14:15], off
	v_add_nc_u64_e32 v[12:13], 8, v[12:13]
	s_wait_xcnt 0x0
	v_add_nc_u64_e32 v[14:15], 32, v[14:15]
	v_add_nc_u64_e32 v[16:17], 64, v[16:17]
	s_delay_alu instid0(VALU_DEP_3)
	v_cmp_ge_i64_e64 s1, v[12:13], v[10:11]
	s_or_b32 s22, s1, s22
	s_wait_loadcnt 0x1
	v_lshl_add_u64 v[22:23], v[22:23], 3, s[18:19]
	s_wait_loadcnt 0x0
	v_cvt_f64_f32_e32 v[24:25], v21
	global_load_b64 v[22:23], v[22:23], off
	v_mul_f64_e32 v[24:25], v[2:3], v[24:25]
	s_wait_loadcnt 0x0
	s_delay_alu instid0(VALU_DEP_1)
	v_fmac_f64_e32 v[8:9], v[24:25], v[22:23]
	s_wait_xcnt 0x0
	s_and_not1_b32 exec_lo, exec_lo, s22
	s_cbranch_execnz .LBB321_11
; %bb.12:                               ;   in Loop: Header=BB321_9 Depth=1
	s_or_b32 exec_lo, exec_lo, s22
.LBB321_13:                             ;   in Loop: Header=BB321_9 Depth=1
	s_delay_alu instid0(SALU_CYCLE_1)
	s_or_b32 exec_lo, exec_lo, s21
	ds_bpermute_b32 v10, v18, v8
	ds_bpermute_b32 v11, v18, v9
	s_wait_dscnt 0x0
	v_add_f64_e32 v[8:9], v[8:9], v[10:11]
	ds_bpermute_b32 v10, v19, v8
	ds_bpermute_b32 v11, v19, v9
	s_wait_dscnt 0x0
	v_add_f64_e32 v[8:9], v[8:9], v[10:11]
	ds_bpermute_b32 v10, v20, v8
	ds_bpermute_b32 v11, v20, v9
	s_and_saveexec_b32 s1, s0
	s_cbranch_execz .LBB321_8
; %bb.14:                               ;   in Loop: Header=BB321_9 Depth=1
	s_wait_dscnt 0x0
	v_add_f64_e32 v[8:9], v[8:9], v[10:11]
	v_lshl_add_u64 v[10:11], v[6:7], 3, s[6:7]
	s_and_saveexec_b32 s21, vcc_lo
	s_cbranch_execz .LBB321_7
; %bb.15:                               ;   in Loop: Header=BB321_9 Depth=1
	global_load_b64 v[12:13], v[10:11], off
	s_wait_loadcnt 0x0
	v_fmac_f64_e32 v[8:9], v[4:5], v[12:13]
	s_branch .LBB321_7
.LBB321_16:
	s_endpgm
	.section	.rodata,"a",@progbits
	.p2align	6, 0x0
	.amdhsa_kernel _ZN9rocsparseL21csrmvn_general_kernelILj256ELj8EllfdddEEvbT2_NS_24const_host_device_scalarIT6_EEPKT1_S7_PKS1_PKT3_PKT4_S4_PT5_21rocsparse_index_base_b
		.amdhsa_group_segment_fixed_size 0
		.amdhsa_private_segment_fixed_size 0
		.amdhsa_kernarg_size 344
		.amdhsa_user_sgpr_count 2
		.amdhsa_user_sgpr_dispatch_ptr 0
		.amdhsa_user_sgpr_queue_ptr 0
		.amdhsa_user_sgpr_kernarg_segment_ptr 1
		.amdhsa_user_sgpr_dispatch_id 0
		.amdhsa_user_sgpr_kernarg_preload_length 0
		.amdhsa_user_sgpr_kernarg_preload_offset 0
		.amdhsa_user_sgpr_private_segment_size 0
		.amdhsa_wavefront_size32 1
		.amdhsa_uses_dynamic_stack 0
		.amdhsa_enable_private_segment 0
		.amdhsa_system_sgpr_workgroup_id_x 1
		.amdhsa_system_sgpr_workgroup_id_y 0
		.amdhsa_system_sgpr_workgroup_id_z 0
		.amdhsa_system_sgpr_workgroup_info 0
		.amdhsa_system_vgpr_workitem_id 0
		.amdhsa_next_free_vgpr 26
		.amdhsa_next_free_sgpr 23
		.amdhsa_named_barrier_count 0
		.amdhsa_reserve_vcc 1
		.amdhsa_float_round_mode_32 0
		.amdhsa_float_round_mode_16_64 0
		.amdhsa_float_denorm_mode_32 3
		.amdhsa_float_denorm_mode_16_64 3
		.amdhsa_fp16_overflow 0
		.amdhsa_memory_ordered 1
		.amdhsa_forward_progress 1
		.amdhsa_inst_pref_size 7
		.amdhsa_round_robin_scheduling 0
		.amdhsa_exception_fp_ieee_invalid_op 0
		.amdhsa_exception_fp_denorm_src 0
		.amdhsa_exception_fp_ieee_div_zero 0
		.amdhsa_exception_fp_ieee_overflow 0
		.amdhsa_exception_fp_ieee_underflow 0
		.amdhsa_exception_fp_ieee_inexact 0
		.amdhsa_exception_int_div_zero 0
	.end_amdhsa_kernel
	.section	.text._ZN9rocsparseL21csrmvn_general_kernelILj256ELj8EllfdddEEvbT2_NS_24const_host_device_scalarIT6_EEPKT1_S7_PKS1_PKT3_PKT4_S4_PT5_21rocsparse_index_base_b,"axG",@progbits,_ZN9rocsparseL21csrmvn_general_kernelILj256ELj8EllfdddEEvbT2_NS_24const_host_device_scalarIT6_EEPKT1_S7_PKS1_PKT3_PKT4_S4_PT5_21rocsparse_index_base_b,comdat
.Lfunc_end321:
	.size	_ZN9rocsparseL21csrmvn_general_kernelILj256ELj8EllfdddEEvbT2_NS_24const_host_device_scalarIT6_EEPKT1_S7_PKS1_PKT3_PKT4_S4_PT5_21rocsparse_index_base_b, .Lfunc_end321-_ZN9rocsparseL21csrmvn_general_kernelILj256ELj8EllfdddEEvbT2_NS_24const_host_device_scalarIT6_EEPKT1_S7_PKS1_PKT3_PKT4_S4_PT5_21rocsparse_index_base_b
                                        ; -- End function
	.set _ZN9rocsparseL21csrmvn_general_kernelILj256ELj8EllfdddEEvbT2_NS_24const_host_device_scalarIT6_EEPKT1_S7_PKS1_PKT3_PKT4_S4_PT5_21rocsparse_index_base_b.num_vgpr, 26
	.set _ZN9rocsparseL21csrmvn_general_kernelILj256ELj8EllfdddEEvbT2_NS_24const_host_device_scalarIT6_EEPKT1_S7_PKS1_PKT3_PKT4_S4_PT5_21rocsparse_index_base_b.num_agpr, 0
	.set _ZN9rocsparseL21csrmvn_general_kernelILj256ELj8EllfdddEEvbT2_NS_24const_host_device_scalarIT6_EEPKT1_S7_PKS1_PKT3_PKT4_S4_PT5_21rocsparse_index_base_b.numbered_sgpr, 23
	.set _ZN9rocsparseL21csrmvn_general_kernelILj256ELj8EllfdddEEvbT2_NS_24const_host_device_scalarIT6_EEPKT1_S7_PKS1_PKT3_PKT4_S4_PT5_21rocsparse_index_base_b.num_named_barrier, 0
	.set _ZN9rocsparseL21csrmvn_general_kernelILj256ELj8EllfdddEEvbT2_NS_24const_host_device_scalarIT6_EEPKT1_S7_PKS1_PKT3_PKT4_S4_PT5_21rocsparse_index_base_b.private_seg_size, 0
	.set _ZN9rocsparseL21csrmvn_general_kernelILj256ELj8EllfdddEEvbT2_NS_24const_host_device_scalarIT6_EEPKT1_S7_PKS1_PKT3_PKT4_S4_PT5_21rocsparse_index_base_b.uses_vcc, 1
	.set _ZN9rocsparseL21csrmvn_general_kernelILj256ELj8EllfdddEEvbT2_NS_24const_host_device_scalarIT6_EEPKT1_S7_PKS1_PKT3_PKT4_S4_PT5_21rocsparse_index_base_b.uses_flat_scratch, 0
	.set _ZN9rocsparseL21csrmvn_general_kernelILj256ELj8EllfdddEEvbT2_NS_24const_host_device_scalarIT6_EEPKT1_S7_PKS1_PKT3_PKT4_S4_PT5_21rocsparse_index_base_b.has_dyn_sized_stack, 0
	.set _ZN9rocsparseL21csrmvn_general_kernelILj256ELj8EllfdddEEvbT2_NS_24const_host_device_scalarIT6_EEPKT1_S7_PKS1_PKT3_PKT4_S4_PT5_21rocsparse_index_base_b.has_recursion, 0
	.set _ZN9rocsparseL21csrmvn_general_kernelILj256ELj8EllfdddEEvbT2_NS_24const_host_device_scalarIT6_EEPKT1_S7_PKS1_PKT3_PKT4_S4_PT5_21rocsparse_index_base_b.has_indirect_call, 0
	.section	.AMDGPU.csdata,"",@progbits
; Kernel info:
; codeLenInByte = 832
; TotalNumSgprs: 25
; NumVgprs: 26
; ScratchSize: 0
; MemoryBound: 1
; FloatMode: 240
; IeeeMode: 1
; LDSByteSize: 0 bytes/workgroup (compile time only)
; SGPRBlocks: 0
; VGPRBlocks: 1
; NumSGPRsForWavesPerEU: 25
; NumVGPRsForWavesPerEU: 26
; NamedBarCnt: 0
; Occupancy: 16
; WaveLimiterHint : 1
; COMPUTE_PGM_RSRC2:SCRATCH_EN: 0
; COMPUTE_PGM_RSRC2:USER_SGPR: 2
; COMPUTE_PGM_RSRC2:TRAP_HANDLER: 0
; COMPUTE_PGM_RSRC2:TGID_X_EN: 1
; COMPUTE_PGM_RSRC2:TGID_Y_EN: 0
; COMPUTE_PGM_RSRC2:TGID_Z_EN: 0
; COMPUTE_PGM_RSRC2:TIDIG_COMP_CNT: 0
	.section	.text._ZN9rocsparseL21csrmvn_general_kernelILj256ELj16EllfdddEEvbT2_NS_24const_host_device_scalarIT6_EEPKT1_S7_PKS1_PKT3_PKT4_S4_PT5_21rocsparse_index_base_b,"axG",@progbits,_ZN9rocsparseL21csrmvn_general_kernelILj256ELj16EllfdddEEvbT2_NS_24const_host_device_scalarIT6_EEPKT1_S7_PKS1_PKT3_PKT4_S4_PT5_21rocsparse_index_base_b,comdat
	.globl	_ZN9rocsparseL21csrmvn_general_kernelILj256ELj16EllfdddEEvbT2_NS_24const_host_device_scalarIT6_EEPKT1_S7_PKS1_PKT3_PKT4_S4_PT5_21rocsparse_index_base_b ; -- Begin function _ZN9rocsparseL21csrmvn_general_kernelILj256ELj16EllfdddEEvbT2_NS_24const_host_device_scalarIT6_EEPKT1_S7_PKS1_PKT3_PKT4_S4_PT5_21rocsparse_index_base_b
	.p2align	8
	.type	_ZN9rocsparseL21csrmvn_general_kernelILj256ELj16EllfdddEEvbT2_NS_24const_host_device_scalarIT6_EEPKT1_S7_PKS1_PKT3_PKT4_S4_PT5_21rocsparse_index_base_b,@function
_ZN9rocsparseL21csrmvn_general_kernelILj256ELj16EllfdddEEvbT2_NS_24const_host_device_scalarIT6_EEPKT1_S7_PKS1_PKT3_PKT4_S4_PT5_21rocsparse_index_base_b: ; @_ZN9rocsparseL21csrmvn_general_kernelILj256ELj16EllfdddEEvbT2_NS_24const_host_device_scalarIT6_EEPKT1_S7_PKS1_PKT3_PKT4_S4_PT5_21rocsparse_index_base_b
; %bb.0:
	s_clause 0x2
	s_load_b64 s[16:17], s[0:1], 0x50
	s_load_b256 s[4:11], s[0:1], 0x8
	s_load_b64 s[2:3], s[0:1], 0x40
	s_wait_kmcnt 0x0
	s_bitcmp1_b32 s17, 0
	v_mov_b64_e32 v[2:3], s[6:7]
	s_cselect_b32 s12, -1, 0
	s_delay_alu instid0(SALU_CYCLE_1)
	s_and_b32 vcc_lo, exec_lo, s12
	s_xor_b32 s12, s12, -1
	s_cbranch_vccnz .LBB322_2
; %bb.1:
	v_mov_b32_e32 v1, 0
	flat_load_b64 v[2:3], v1, s[6:7]
.LBB322_2:
	v_mov_b64_e32 v[4:5], s[2:3]
	s_and_not1_b32 vcc_lo, exec_lo, s12
	s_cbranch_vccnz .LBB322_4
; %bb.3:
	s_wait_xcnt 0x0
	v_mov_b32_e32 v1, 0
	flat_load_b64 v[4:5], v1, s[2:3]
.LBB322_4:
	s_wait_loadcnt_dscnt 0x0
	v_cmp_neq_f64_e32 vcc_lo, 0, v[2:3]
	s_delay_alu instid0(VALU_DEP_2) | instskip(SKIP_1) | instid1(SALU_CYCLE_1)
	v_cmp_neq_f64_e64 s2, 1.0, v[4:5]
	s_or_b32 s2, vcc_lo, s2
	s_and_saveexec_b32 s3, s2
	s_cbranch_execz .LBB322_16
; %bb.5:
	s_bfe_u32 s2, ttmp6, 0x4000c
	s_and_b32 s3, ttmp6, 15
	s_add_co_i32 s2, s2, 1
	s_getreg_b32 s6, hwreg(HW_REG_IB_STS2, 6, 4)
	s_mul_i32 s2, ttmp9, s2
	v_mov_b32_e32 v7, 0
	s_add_co_i32 s3, s3, s2
	s_cmp_eq_u32 s6, 0
	s_cselect_b32 s2, ttmp9, s3
	s_mov_b32 s3, 0
	v_lshl_or_b32 v1, s2, 8, v0
	s_delay_alu instid0(VALU_DEP_1) | instskip(NEXT) | instid1(VALU_DEP_1)
	v_lshrrev_b32_e32 v6, 4, v1
	v_cmp_gt_i64_e32 vcc_lo, s[4:5], v[6:7]
	s_and_b32 exec_lo, exec_lo, vcc_lo
	s_cbranch_execz .LBB322_16
; %bb.6:
	v_dual_mov_b32 v9, v7 :: v_dual_bitop2_b32 v8, 15, v0 bitop3:0x40
	v_mbcnt_lo_u32_b32 v10, -1, 0
	s_mov_b32 s17, s3
	s_clause 0x3
	s_load_b128 s[12:15], s[0:1], 0x28
	s_load_b64 s[18:19], s[0:1], 0x38
	s_load_b64 s[6:7], s[0:1], 0x48
	s_load_b32 s2, s[0:1], 0x58
	v_sub_nc_u64_e64 v[0:1], v[8:9], s[16:17]
	v_xor_b32_e32 v11, 4, v10
	v_xor_b32_e32 v9, 8, v10
	;; [unrolled: 1-line block ×4, first 2 shown]
	s_ashr_i32 s21, s16, 31
	s_mov_b32 s20, s16
	s_wait_xcnt 0x0
	v_cmp_gt_i32_e64 s0, 32, v9
	s_lshl_b64 s[20:21], s[20:21], 3
	v_cmp_neq_f64_e32 vcc_lo, 0, v[4:5]
	v_cndmask_b32_e64 v9, v10, v9, s0
	v_cmp_gt_i32_e64 s0, 32, v11
	s_delay_alu instid0(VALU_DEP_1) | instskip(SKIP_1) | instid1(VALU_DEP_4)
	v_cndmask_b32_e64 v11, v10, v11, s0
	v_cmp_gt_i32_e64 s0, 32, v12
	v_lshlrev_b32_e32 v18, 2, v9
	s_wait_kmcnt 0x0
	s_lshl_b32 s2, s2, 4
	s_sub_nc_u64 s[18:19], s[18:19], s[20:21]
	v_dual_lshlrev_b32 v19, 2, v11 :: v_dual_cndmask_b32 v12, v10, v12, s0
	v_cmp_gt_i32_e64 s0, 32, v13
	s_mov_b32 s20, s3
	v_dual_cndmask_b32 v10, v10, v13, s0 :: v_dual_lshlrev_b32 v20, 2, v12
	v_cmp_eq_u32_e64 s0, 15, v8
	s_delay_alu instid0(VALU_DEP_2)
	v_lshlrev_b32_e32 v21, 2, v10
	s_branch .LBB322_9
.LBB322_7:                              ;   in Loop: Header=BB322_9 Depth=1
	s_wait_xcnt 0x0
	s_or_b32 exec_lo, exec_lo, s21
	global_store_b64 v[10:11], v[8:9], off
.LBB322_8:                              ;   in Loop: Header=BB322_9 Depth=1
	s_wait_xcnt 0x0
	s_or_b32 exec_lo, exec_lo, s1
	v_add_nc_u64_e32 v[6:7], s[2:3], v[6:7]
	s_delay_alu instid0(VALU_DEP_1) | instskip(SKIP_1) | instid1(SALU_CYCLE_1)
	v_cmp_le_i64_e64 s1, s[4:5], v[6:7]
	s_or_b32 s20, s1, s20
	s_and_not1_b32 exec_lo, exec_lo, s20
	s_cbranch_execz .LBB322_16
.LBB322_9:                              ; =>This Loop Header: Depth=1
                                        ;     Child Loop BB322_11 Depth 2
	v_lshlrev_b64_e32 v[8:9], 3, v[6:7]
	s_mov_b32 s21, exec_lo
	s_wait_dscnt 0x0
	s_delay_alu instid0(VALU_DEP_1)
	v_add_nc_u64_e32 v[10:11], s[10:11], v[8:9]
	v_add_nc_u64_e32 v[8:9], s[8:9], v[8:9]
	global_load_b64 v[12:13], v[10:11], off
	global_load_b64 v[14:15], v[8:9], off
	s_wait_xcnt 0x0
	v_mov_b64_e32 v[8:9], 0
	s_wait_loadcnt 0x1
	v_sub_nc_u64_e64 v[10:11], v[12:13], s[16:17]
	s_wait_loadcnt 0x0
	v_add_nc_u64_e32 v[12:13], v[14:15], v[0:1]
	s_delay_alu instid0(VALU_DEP_1)
	v_cmpx_lt_i64_e64 v[12:13], v[10:11]
	s_cbranch_execz .LBB322_13
; %bb.10:                               ;   in Loop: Header=BB322_9 Depth=1
	v_mov_b64_e32 v[8:9], 0
	v_lshl_add_u64 v[14:15], v[12:13], 2, s[14:15]
	v_lshl_add_u64 v[16:17], v[12:13], 3, s[12:13]
	s_mov_b32 s22, 0
.LBB322_11:                             ;   Parent Loop BB322_9 Depth=1
                                        ; =>  This Inner Loop Header: Depth=2
	global_load_b64 v[22:23], v[16:17], off
	global_load_b32 v24, v[14:15], off
	v_add_nc_u64_e32 v[12:13], 16, v[12:13]
	s_wait_xcnt 0x0
	v_add_nc_u64_e32 v[14:15], 64, v[14:15]
	v_add_nc_u64_e32 v[16:17], 0x80, v[16:17]
	s_delay_alu instid0(VALU_DEP_3)
	v_cmp_ge_i64_e64 s1, v[12:13], v[10:11]
	s_or_b32 s22, s1, s22
	s_wait_loadcnt 0x1
	v_lshl_add_u64 v[22:23], v[22:23], 3, s[18:19]
	s_wait_loadcnt 0x0
	v_cvt_f64_f32_e32 v[24:25], v24
	global_load_b64 v[22:23], v[22:23], off
	v_mul_f64_e32 v[24:25], v[2:3], v[24:25]
	s_wait_loadcnt 0x0
	s_delay_alu instid0(VALU_DEP_1)
	v_fmac_f64_e32 v[8:9], v[24:25], v[22:23]
	s_wait_xcnt 0x0
	s_and_not1_b32 exec_lo, exec_lo, s22
	s_cbranch_execnz .LBB322_11
; %bb.12:                               ;   in Loop: Header=BB322_9 Depth=1
	s_or_b32 exec_lo, exec_lo, s22
.LBB322_13:                             ;   in Loop: Header=BB322_9 Depth=1
	s_delay_alu instid0(SALU_CYCLE_1)
	s_or_b32 exec_lo, exec_lo, s21
	ds_bpermute_b32 v10, v18, v8
	ds_bpermute_b32 v11, v18, v9
	s_wait_dscnt 0x0
	v_add_f64_e32 v[8:9], v[8:9], v[10:11]
	ds_bpermute_b32 v10, v19, v8
	ds_bpermute_b32 v11, v19, v9
	s_wait_dscnt 0x0
	v_add_f64_e32 v[8:9], v[8:9], v[10:11]
	;; [unrolled: 4-line block ×3, first 2 shown]
	ds_bpermute_b32 v10, v21, v8
	ds_bpermute_b32 v11, v21, v9
	s_and_saveexec_b32 s1, s0
	s_cbranch_execz .LBB322_8
; %bb.14:                               ;   in Loop: Header=BB322_9 Depth=1
	s_wait_dscnt 0x0
	v_add_f64_e32 v[8:9], v[8:9], v[10:11]
	v_lshl_add_u64 v[10:11], v[6:7], 3, s[6:7]
	s_and_saveexec_b32 s21, vcc_lo
	s_cbranch_execz .LBB322_7
; %bb.15:                               ;   in Loop: Header=BB322_9 Depth=1
	global_load_b64 v[12:13], v[10:11], off
	s_wait_loadcnt 0x0
	v_fmac_f64_e32 v[8:9], v[4:5], v[12:13]
	s_branch .LBB322_7
.LBB322_16:
	s_endpgm
	.section	.rodata,"a",@progbits
	.p2align	6, 0x0
	.amdhsa_kernel _ZN9rocsparseL21csrmvn_general_kernelILj256ELj16EllfdddEEvbT2_NS_24const_host_device_scalarIT6_EEPKT1_S7_PKS1_PKT3_PKT4_S4_PT5_21rocsparse_index_base_b
		.amdhsa_group_segment_fixed_size 0
		.amdhsa_private_segment_fixed_size 0
		.amdhsa_kernarg_size 344
		.amdhsa_user_sgpr_count 2
		.amdhsa_user_sgpr_dispatch_ptr 0
		.amdhsa_user_sgpr_queue_ptr 0
		.amdhsa_user_sgpr_kernarg_segment_ptr 1
		.amdhsa_user_sgpr_dispatch_id 0
		.amdhsa_user_sgpr_kernarg_preload_length 0
		.amdhsa_user_sgpr_kernarg_preload_offset 0
		.amdhsa_user_sgpr_private_segment_size 0
		.amdhsa_wavefront_size32 1
		.amdhsa_uses_dynamic_stack 0
		.amdhsa_enable_private_segment 0
		.amdhsa_system_sgpr_workgroup_id_x 1
		.amdhsa_system_sgpr_workgroup_id_y 0
		.amdhsa_system_sgpr_workgroup_id_z 0
		.amdhsa_system_sgpr_workgroup_info 0
		.amdhsa_system_vgpr_workitem_id 0
		.amdhsa_next_free_vgpr 26
		.amdhsa_next_free_sgpr 23
		.amdhsa_named_barrier_count 0
		.amdhsa_reserve_vcc 1
		.amdhsa_float_round_mode_32 0
		.amdhsa_float_round_mode_16_64 0
		.amdhsa_float_denorm_mode_32 3
		.amdhsa_float_denorm_mode_16_64 3
		.amdhsa_fp16_overflow 0
		.amdhsa_memory_ordered 1
		.amdhsa_forward_progress 1
		.amdhsa_inst_pref_size 7
		.amdhsa_round_robin_scheduling 0
		.amdhsa_exception_fp_ieee_invalid_op 0
		.amdhsa_exception_fp_denorm_src 0
		.amdhsa_exception_fp_ieee_div_zero 0
		.amdhsa_exception_fp_ieee_overflow 0
		.amdhsa_exception_fp_ieee_underflow 0
		.amdhsa_exception_fp_ieee_inexact 0
		.amdhsa_exception_int_div_zero 0
	.end_amdhsa_kernel
	.section	.text._ZN9rocsparseL21csrmvn_general_kernelILj256ELj16EllfdddEEvbT2_NS_24const_host_device_scalarIT6_EEPKT1_S7_PKS1_PKT3_PKT4_S4_PT5_21rocsparse_index_base_b,"axG",@progbits,_ZN9rocsparseL21csrmvn_general_kernelILj256ELj16EllfdddEEvbT2_NS_24const_host_device_scalarIT6_EEPKT1_S7_PKS1_PKT3_PKT4_S4_PT5_21rocsparse_index_base_b,comdat
.Lfunc_end322:
	.size	_ZN9rocsparseL21csrmvn_general_kernelILj256ELj16EllfdddEEvbT2_NS_24const_host_device_scalarIT6_EEPKT1_S7_PKS1_PKT3_PKT4_S4_PT5_21rocsparse_index_base_b, .Lfunc_end322-_ZN9rocsparseL21csrmvn_general_kernelILj256ELj16EllfdddEEvbT2_NS_24const_host_device_scalarIT6_EEPKT1_S7_PKS1_PKT3_PKT4_S4_PT5_21rocsparse_index_base_b
                                        ; -- End function
	.set _ZN9rocsparseL21csrmvn_general_kernelILj256ELj16EllfdddEEvbT2_NS_24const_host_device_scalarIT6_EEPKT1_S7_PKS1_PKT3_PKT4_S4_PT5_21rocsparse_index_base_b.num_vgpr, 26
	.set _ZN9rocsparseL21csrmvn_general_kernelILj256ELj16EllfdddEEvbT2_NS_24const_host_device_scalarIT6_EEPKT1_S7_PKS1_PKT3_PKT4_S4_PT5_21rocsparse_index_base_b.num_agpr, 0
	.set _ZN9rocsparseL21csrmvn_general_kernelILj256ELj16EllfdddEEvbT2_NS_24const_host_device_scalarIT6_EEPKT1_S7_PKS1_PKT3_PKT4_S4_PT5_21rocsparse_index_base_b.numbered_sgpr, 23
	.set _ZN9rocsparseL21csrmvn_general_kernelILj256ELj16EllfdddEEvbT2_NS_24const_host_device_scalarIT6_EEPKT1_S7_PKS1_PKT3_PKT4_S4_PT5_21rocsparse_index_base_b.num_named_barrier, 0
	.set _ZN9rocsparseL21csrmvn_general_kernelILj256ELj16EllfdddEEvbT2_NS_24const_host_device_scalarIT6_EEPKT1_S7_PKS1_PKT3_PKT4_S4_PT5_21rocsparse_index_base_b.private_seg_size, 0
	.set _ZN9rocsparseL21csrmvn_general_kernelILj256ELj16EllfdddEEvbT2_NS_24const_host_device_scalarIT6_EEPKT1_S7_PKS1_PKT3_PKT4_S4_PT5_21rocsparse_index_base_b.uses_vcc, 1
	.set _ZN9rocsparseL21csrmvn_general_kernelILj256ELj16EllfdddEEvbT2_NS_24const_host_device_scalarIT6_EEPKT1_S7_PKS1_PKT3_PKT4_S4_PT5_21rocsparse_index_base_b.uses_flat_scratch, 0
	.set _ZN9rocsparseL21csrmvn_general_kernelILj256ELj16EllfdddEEvbT2_NS_24const_host_device_scalarIT6_EEPKT1_S7_PKS1_PKT3_PKT4_S4_PT5_21rocsparse_index_base_b.has_dyn_sized_stack, 0
	.set _ZN9rocsparseL21csrmvn_general_kernelILj256ELj16EllfdddEEvbT2_NS_24const_host_device_scalarIT6_EEPKT1_S7_PKS1_PKT3_PKT4_S4_PT5_21rocsparse_index_base_b.has_recursion, 0
	.set _ZN9rocsparseL21csrmvn_general_kernelILj256ELj16EllfdddEEvbT2_NS_24const_host_device_scalarIT6_EEPKT1_S7_PKS1_PKT3_PKT4_S4_PT5_21rocsparse_index_base_b.has_indirect_call, 0
	.section	.AMDGPU.csdata,"",@progbits
; Kernel info:
; codeLenInByte = 884
; TotalNumSgprs: 25
; NumVgprs: 26
; ScratchSize: 0
; MemoryBound: 1
; FloatMode: 240
; IeeeMode: 1
; LDSByteSize: 0 bytes/workgroup (compile time only)
; SGPRBlocks: 0
; VGPRBlocks: 1
; NumSGPRsForWavesPerEU: 25
; NumVGPRsForWavesPerEU: 26
; NamedBarCnt: 0
; Occupancy: 16
; WaveLimiterHint : 1
; COMPUTE_PGM_RSRC2:SCRATCH_EN: 0
; COMPUTE_PGM_RSRC2:USER_SGPR: 2
; COMPUTE_PGM_RSRC2:TRAP_HANDLER: 0
; COMPUTE_PGM_RSRC2:TGID_X_EN: 1
; COMPUTE_PGM_RSRC2:TGID_Y_EN: 0
; COMPUTE_PGM_RSRC2:TGID_Z_EN: 0
; COMPUTE_PGM_RSRC2:TIDIG_COMP_CNT: 0
	.section	.text._ZN9rocsparseL21csrmvn_general_kernelILj256ELj32EllfdddEEvbT2_NS_24const_host_device_scalarIT6_EEPKT1_S7_PKS1_PKT3_PKT4_S4_PT5_21rocsparse_index_base_b,"axG",@progbits,_ZN9rocsparseL21csrmvn_general_kernelILj256ELj32EllfdddEEvbT2_NS_24const_host_device_scalarIT6_EEPKT1_S7_PKS1_PKT3_PKT4_S4_PT5_21rocsparse_index_base_b,comdat
	.globl	_ZN9rocsparseL21csrmvn_general_kernelILj256ELj32EllfdddEEvbT2_NS_24const_host_device_scalarIT6_EEPKT1_S7_PKS1_PKT3_PKT4_S4_PT5_21rocsparse_index_base_b ; -- Begin function _ZN9rocsparseL21csrmvn_general_kernelILj256ELj32EllfdddEEvbT2_NS_24const_host_device_scalarIT6_EEPKT1_S7_PKS1_PKT3_PKT4_S4_PT5_21rocsparse_index_base_b
	.p2align	8
	.type	_ZN9rocsparseL21csrmvn_general_kernelILj256ELj32EllfdddEEvbT2_NS_24const_host_device_scalarIT6_EEPKT1_S7_PKS1_PKT3_PKT4_S4_PT5_21rocsparse_index_base_b,@function
_ZN9rocsparseL21csrmvn_general_kernelILj256ELj32EllfdddEEvbT2_NS_24const_host_device_scalarIT6_EEPKT1_S7_PKS1_PKT3_PKT4_S4_PT5_21rocsparse_index_base_b: ; @_ZN9rocsparseL21csrmvn_general_kernelILj256ELj32EllfdddEEvbT2_NS_24const_host_device_scalarIT6_EEPKT1_S7_PKS1_PKT3_PKT4_S4_PT5_21rocsparse_index_base_b
; %bb.0:
	s_clause 0x2
	s_load_b64 s[16:17], s[0:1], 0x50
	s_load_b256 s[4:11], s[0:1], 0x8
	s_load_b64 s[2:3], s[0:1], 0x40
	s_wait_kmcnt 0x0
	s_bitcmp1_b32 s17, 0
	v_mov_b64_e32 v[2:3], s[6:7]
	s_cselect_b32 s12, -1, 0
	s_delay_alu instid0(SALU_CYCLE_1)
	s_and_b32 vcc_lo, exec_lo, s12
	s_xor_b32 s12, s12, -1
	s_cbranch_vccnz .LBB323_2
; %bb.1:
	v_mov_b32_e32 v1, 0
	flat_load_b64 v[2:3], v1, s[6:7]
.LBB323_2:
	v_mov_b64_e32 v[4:5], s[2:3]
	s_and_not1_b32 vcc_lo, exec_lo, s12
	s_cbranch_vccnz .LBB323_4
; %bb.3:
	s_wait_xcnt 0x0
	v_mov_b32_e32 v1, 0
	flat_load_b64 v[4:5], v1, s[2:3]
.LBB323_4:
	s_wait_loadcnt_dscnt 0x0
	v_cmp_neq_f64_e32 vcc_lo, 0, v[2:3]
	s_delay_alu instid0(VALU_DEP_2) | instskip(SKIP_1) | instid1(SALU_CYCLE_1)
	v_cmp_neq_f64_e64 s2, 1.0, v[4:5]
	s_or_b32 s2, vcc_lo, s2
	s_and_saveexec_b32 s3, s2
	s_cbranch_execz .LBB323_16
; %bb.5:
	s_bfe_u32 s2, ttmp6, 0x4000c
	s_and_b32 s3, ttmp6, 15
	s_add_co_i32 s2, s2, 1
	s_getreg_b32 s6, hwreg(HW_REG_IB_STS2, 6, 4)
	s_mul_i32 s2, ttmp9, s2
	v_mov_b32_e32 v7, 0
	s_add_co_i32 s3, s3, s2
	s_cmp_eq_u32 s6, 0
	s_cselect_b32 s2, ttmp9, s3
	s_mov_b32 s3, 0
	v_lshl_or_b32 v1, s2, 8, v0
	s_delay_alu instid0(VALU_DEP_1) | instskip(NEXT) | instid1(VALU_DEP_1)
	v_lshrrev_b32_e32 v6, 5, v1
	v_cmp_gt_i64_e32 vcc_lo, s[4:5], v[6:7]
	s_and_b32 exec_lo, exec_lo, vcc_lo
	s_cbranch_execz .LBB323_16
; %bb.6:
	v_dual_mov_b32 v9, v7 :: v_dual_bitop2_b32 v8, 31, v0 bitop3:0x40
	v_mbcnt_lo_u32_b32 v10, -1, 0
	s_mov_b32 s17, s3
	s_clause 0x3
	s_load_b128 s[12:15], s[0:1], 0x28
	s_load_b64 s[18:19], s[0:1], 0x38
	s_load_b64 s[6:7], s[0:1], 0x48
	s_load_b32 s2, s[0:1], 0x58
	s_wait_xcnt 0x0
	s_ashr_i32 s1, s16, 31
	v_sub_nc_u64_e64 v[0:1], v[8:9], s[16:17]
	v_xor_b32_e32 v9, 8, v10
	v_xor_b32_e32 v11, 16, v10
	s_mov_b32 s0, s16
	v_xor_b32_e32 v13, 2, v10
	s_lshl_b64 s[20:21], s[0:1], 3
	v_xor_b32_e32 v12, 4, v10
	v_cmp_gt_i32_e64 s0, 32, v11
	v_cmp_neq_f64_e32 vcc_lo, 0, v[4:5]
	s_delay_alu instid0(VALU_DEP_2)
	v_cndmask_b32_e64 v11, v10, v11, s0
	v_cmp_gt_i32_e64 s0, 32, v9
	v_xor_b32_e32 v14, 1, v10
	s_wait_kmcnt 0x0
	s_sub_nc_u64 s[18:19], s[18:19], s[20:21]
	v_dual_lshlrev_b32 v18, 2, v11 :: v_dual_cndmask_b32 v9, v10, v9, s0
	v_cmp_gt_i32_e64 s0, 32, v12
	s_lshl_b32 s2, s2, 3
	s_mov_b32 s20, s3
	v_dual_lshlrev_b32 v19, 2, v9 :: v_dual_cndmask_b32 v12, v10, v12, s0
	v_cmp_gt_i32_e64 s0, 32, v13
	s_delay_alu instid0(VALU_DEP_1) | instskip(SKIP_1) | instid1(VALU_DEP_2)
	v_cndmask_b32_e64 v13, v10, v13, s0
	v_cmp_gt_i32_e64 s0, 32, v14
	v_dual_lshlrev_b32 v20, 2, v12 :: v_dual_lshlrev_b32 v21, 2, v13
	s_delay_alu instid0(VALU_DEP_2) | instskip(SKIP_1) | instid1(VALU_DEP_2)
	v_cndmask_b32_e64 v10, v10, v14, s0
	v_cmp_eq_u32_e64 s0, 31, v8
	v_lshlrev_b32_e32 v22, 2, v10
	s_branch .LBB323_9
.LBB323_7:                              ;   in Loop: Header=BB323_9 Depth=1
	s_wait_xcnt 0x0
	s_or_b32 exec_lo, exec_lo, s21
	global_store_b64 v[10:11], v[8:9], off
.LBB323_8:                              ;   in Loop: Header=BB323_9 Depth=1
	s_wait_xcnt 0x0
	s_or_b32 exec_lo, exec_lo, s1
	v_add_nc_u64_e32 v[6:7], s[2:3], v[6:7]
	s_delay_alu instid0(VALU_DEP_1) | instskip(SKIP_1) | instid1(SALU_CYCLE_1)
	v_cmp_le_i64_e64 s1, s[4:5], v[6:7]
	s_or_b32 s20, s1, s20
	s_and_not1_b32 exec_lo, exec_lo, s20
	s_cbranch_execz .LBB323_16
.LBB323_9:                              ; =>This Loop Header: Depth=1
                                        ;     Child Loop BB323_11 Depth 2
	v_lshlrev_b64_e32 v[8:9], 3, v[6:7]
	s_mov_b32 s21, exec_lo
	s_wait_dscnt 0x0
	s_delay_alu instid0(VALU_DEP_1)
	v_add_nc_u64_e32 v[10:11], s[10:11], v[8:9]
	v_add_nc_u64_e32 v[8:9], s[8:9], v[8:9]
	global_load_b64 v[12:13], v[10:11], off
	global_load_b64 v[14:15], v[8:9], off
	s_wait_xcnt 0x0
	v_mov_b64_e32 v[8:9], 0
	s_wait_loadcnt 0x1
	v_sub_nc_u64_e64 v[10:11], v[12:13], s[16:17]
	s_wait_loadcnt 0x0
	v_add_nc_u64_e32 v[12:13], v[14:15], v[0:1]
	s_delay_alu instid0(VALU_DEP_1)
	v_cmpx_lt_i64_e64 v[12:13], v[10:11]
	s_cbranch_execz .LBB323_13
; %bb.10:                               ;   in Loop: Header=BB323_9 Depth=1
	v_mov_b64_e32 v[8:9], 0
	v_lshl_add_u64 v[14:15], v[12:13], 2, s[14:15]
	v_lshl_add_u64 v[16:17], v[12:13], 3, s[12:13]
	s_mov_b32 s22, 0
.LBB323_11:                             ;   Parent Loop BB323_9 Depth=1
                                        ; =>  This Inner Loop Header: Depth=2
	global_load_b64 v[24:25], v[16:17], off
	global_load_b32 v23, v[14:15], off
	v_add_nc_u64_e32 v[12:13], 32, v[12:13]
	s_wait_xcnt 0x0
	v_add_nc_u64_e32 v[14:15], 0x80, v[14:15]
	v_add_nc_u64_e32 v[16:17], 0x100, v[16:17]
	s_delay_alu instid0(VALU_DEP_3)
	v_cmp_ge_i64_e64 s1, v[12:13], v[10:11]
	s_or_b32 s22, s1, s22
	s_wait_loadcnt 0x1
	v_lshl_add_u64 v[24:25], v[24:25], 3, s[18:19]
	s_wait_loadcnt 0x0
	v_cvt_f64_f32_e32 v[26:27], v23
	global_load_b64 v[24:25], v[24:25], off
	v_mul_f64_e32 v[26:27], v[2:3], v[26:27]
	s_wait_loadcnt 0x0
	s_delay_alu instid0(VALU_DEP_1)
	v_fmac_f64_e32 v[8:9], v[26:27], v[24:25]
	s_wait_xcnt 0x0
	s_and_not1_b32 exec_lo, exec_lo, s22
	s_cbranch_execnz .LBB323_11
; %bb.12:                               ;   in Loop: Header=BB323_9 Depth=1
	s_or_b32 exec_lo, exec_lo, s22
.LBB323_13:                             ;   in Loop: Header=BB323_9 Depth=1
	s_delay_alu instid0(SALU_CYCLE_1)
	s_or_b32 exec_lo, exec_lo, s21
	ds_bpermute_b32 v10, v18, v8
	ds_bpermute_b32 v11, v18, v9
	s_wait_dscnt 0x0
	v_add_f64_e32 v[8:9], v[8:9], v[10:11]
	ds_bpermute_b32 v10, v19, v8
	ds_bpermute_b32 v11, v19, v9
	s_wait_dscnt 0x0
	v_add_f64_e32 v[8:9], v[8:9], v[10:11]
	;; [unrolled: 4-line block ×4, first 2 shown]
	ds_bpermute_b32 v10, v22, v8
	ds_bpermute_b32 v11, v22, v9
	s_and_saveexec_b32 s1, s0
	s_cbranch_execz .LBB323_8
; %bb.14:                               ;   in Loop: Header=BB323_9 Depth=1
	s_wait_dscnt 0x0
	v_add_f64_e32 v[8:9], v[8:9], v[10:11]
	v_lshl_add_u64 v[10:11], v[6:7], 3, s[6:7]
	s_and_saveexec_b32 s21, vcc_lo
	s_cbranch_execz .LBB323_7
; %bb.15:                               ;   in Loop: Header=BB323_9 Depth=1
	global_load_b64 v[12:13], v[10:11], off
	s_wait_loadcnt 0x0
	v_fmac_f64_e32 v[8:9], v[4:5], v[12:13]
	s_branch .LBB323_7
.LBB323_16:
	s_endpgm
	.section	.rodata,"a",@progbits
	.p2align	6, 0x0
	.amdhsa_kernel _ZN9rocsparseL21csrmvn_general_kernelILj256ELj32EllfdddEEvbT2_NS_24const_host_device_scalarIT6_EEPKT1_S7_PKS1_PKT3_PKT4_S4_PT5_21rocsparse_index_base_b
		.amdhsa_group_segment_fixed_size 0
		.amdhsa_private_segment_fixed_size 0
		.amdhsa_kernarg_size 344
		.amdhsa_user_sgpr_count 2
		.amdhsa_user_sgpr_dispatch_ptr 0
		.amdhsa_user_sgpr_queue_ptr 0
		.amdhsa_user_sgpr_kernarg_segment_ptr 1
		.amdhsa_user_sgpr_dispatch_id 0
		.amdhsa_user_sgpr_kernarg_preload_length 0
		.amdhsa_user_sgpr_kernarg_preload_offset 0
		.amdhsa_user_sgpr_private_segment_size 0
		.amdhsa_wavefront_size32 1
		.amdhsa_uses_dynamic_stack 0
		.amdhsa_enable_private_segment 0
		.amdhsa_system_sgpr_workgroup_id_x 1
		.amdhsa_system_sgpr_workgroup_id_y 0
		.amdhsa_system_sgpr_workgroup_id_z 0
		.amdhsa_system_sgpr_workgroup_info 0
		.amdhsa_system_vgpr_workitem_id 0
		.amdhsa_next_free_vgpr 28
		.amdhsa_next_free_sgpr 23
		.amdhsa_named_barrier_count 0
		.amdhsa_reserve_vcc 1
		.amdhsa_float_round_mode_32 0
		.amdhsa_float_round_mode_16_64 0
		.amdhsa_float_denorm_mode_32 3
		.amdhsa_float_denorm_mode_16_64 3
		.amdhsa_fp16_overflow 0
		.amdhsa_memory_ordered 1
		.amdhsa_forward_progress 1
		.amdhsa_inst_pref_size 8
		.amdhsa_round_robin_scheduling 0
		.amdhsa_exception_fp_ieee_invalid_op 0
		.amdhsa_exception_fp_denorm_src 0
		.amdhsa_exception_fp_ieee_div_zero 0
		.amdhsa_exception_fp_ieee_overflow 0
		.amdhsa_exception_fp_ieee_underflow 0
		.amdhsa_exception_fp_ieee_inexact 0
		.amdhsa_exception_int_div_zero 0
	.end_amdhsa_kernel
	.section	.text._ZN9rocsparseL21csrmvn_general_kernelILj256ELj32EllfdddEEvbT2_NS_24const_host_device_scalarIT6_EEPKT1_S7_PKS1_PKT3_PKT4_S4_PT5_21rocsparse_index_base_b,"axG",@progbits,_ZN9rocsparseL21csrmvn_general_kernelILj256ELj32EllfdddEEvbT2_NS_24const_host_device_scalarIT6_EEPKT1_S7_PKS1_PKT3_PKT4_S4_PT5_21rocsparse_index_base_b,comdat
.Lfunc_end323:
	.size	_ZN9rocsparseL21csrmvn_general_kernelILj256ELj32EllfdddEEvbT2_NS_24const_host_device_scalarIT6_EEPKT1_S7_PKS1_PKT3_PKT4_S4_PT5_21rocsparse_index_base_b, .Lfunc_end323-_ZN9rocsparseL21csrmvn_general_kernelILj256ELj32EllfdddEEvbT2_NS_24const_host_device_scalarIT6_EEPKT1_S7_PKS1_PKT3_PKT4_S4_PT5_21rocsparse_index_base_b
                                        ; -- End function
	.set _ZN9rocsparseL21csrmvn_general_kernelILj256ELj32EllfdddEEvbT2_NS_24const_host_device_scalarIT6_EEPKT1_S7_PKS1_PKT3_PKT4_S4_PT5_21rocsparse_index_base_b.num_vgpr, 28
	.set _ZN9rocsparseL21csrmvn_general_kernelILj256ELj32EllfdddEEvbT2_NS_24const_host_device_scalarIT6_EEPKT1_S7_PKS1_PKT3_PKT4_S4_PT5_21rocsparse_index_base_b.num_agpr, 0
	.set _ZN9rocsparseL21csrmvn_general_kernelILj256ELj32EllfdddEEvbT2_NS_24const_host_device_scalarIT6_EEPKT1_S7_PKS1_PKT3_PKT4_S4_PT5_21rocsparse_index_base_b.numbered_sgpr, 23
	.set _ZN9rocsparseL21csrmvn_general_kernelILj256ELj32EllfdddEEvbT2_NS_24const_host_device_scalarIT6_EEPKT1_S7_PKS1_PKT3_PKT4_S4_PT5_21rocsparse_index_base_b.num_named_barrier, 0
	.set _ZN9rocsparseL21csrmvn_general_kernelILj256ELj32EllfdddEEvbT2_NS_24const_host_device_scalarIT6_EEPKT1_S7_PKS1_PKT3_PKT4_S4_PT5_21rocsparse_index_base_b.private_seg_size, 0
	.set _ZN9rocsparseL21csrmvn_general_kernelILj256ELj32EllfdddEEvbT2_NS_24const_host_device_scalarIT6_EEPKT1_S7_PKS1_PKT3_PKT4_S4_PT5_21rocsparse_index_base_b.uses_vcc, 1
	.set _ZN9rocsparseL21csrmvn_general_kernelILj256ELj32EllfdddEEvbT2_NS_24const_host_device_scalarIT6_EEPKT1_S7_PKS1_PKT3_PKT4_S4_PT5_21rocsparse_index_base_b.uses_flat_scratch, 0
	.set _ZN9rocsparseL21csrmvn_general_kernelILj256ELj32EllfdddEEvbT2_NS_24const_host_device_scalarIT6_EEPKT1_S7_PKS1_PKT3_PKT4_S4_PT5_21rocsparse_index_base_b.has_dyn_sized_stack, 0
	.set _ZN9rocsparseL21csrmvn_general_kernelILj256ELj32EllfdddEEvbT2_NS_24const_host_device_scalarIT6_EEPKT1_S7_PKS1_PKT3_PKT4_S4_PT5_21rocsparse_index_base_b.has_recursion, 0
	.set _ZN9rocsparseL21csrmvn_general_kernelILj256ELj32EllfdddEEvbT2_NS_24const_host_device_scalarIT6_EEPKT1_S7_PKS1_PKT3_PKT4_S4_PT5_21rocsparse_index_base_b.has_indirect_call, 0
	.section	.AMDGPU.csdata,"",@progbits
; Kernel info:
; codeLenInByte = 944
; TotalNumSgprs: 25
; NumVgprs: 28
; ScratchSize: 0
; MemoryBound: 1
; FloatMode: 240
; IeeeMode: 1
; LDSByteSize: 0 bytes/workgroup (compile time only)
; SGPRBlocks: 0
; VGPRBlocks: 1
; NumSGPRsForWavesPerEU: 25
; NumVGPRsForWavesPerEU: 28
; NamedBarCnt: 0
; Occupancy: 16
; WaveLimiterHint : 1
; COMPUTE_PGM_RSRC2:SCRATCH_EN: 0
; COMPUTE_PGM_RSRC2:USER_SGPR: 2
; COMPUTE_PGM_RSRC2:TRAP_HANDLER: 0
; COMPUTE_PGM_RSRC2:TGID_X_EN: 1
; COMPUTE_PGM_RSRC2:TGID_Y_EN: 0
; COMPUTE_PGM_RSRC2:TGID_Z_EN: 0
; COMPUTE_PGM_RSRC2:TIDIG_COMP_CNT: 0
	.section	.text._ZN9rocsparseL21csrmvn_general_kernelILj256ELj64EllfdddEEvbT2_NS_24const_host_device_scalarIT6_EEPKT1_S7_PKS1_PKT3_PKT4_S4_PT5_21rocsparse_index_base_b,"axG",@progbits,_ZN9rocsparseL21csrmvn_general_kernelILj256ELj64EllfdddEEvbT2_NS_24const_host_device_scalarIT6_EEPKT1_S7_PKS1_PKT3_PKT4_S4_PT5_21rocsparse_index_base_b,comdat
	.globl	_ZN9rocsparseL21csrmvn_general_kernelILj256ELj64EllfdddEEvbT2_NS_24const_host_device_scalarIT6_EEPKT1_S7_PKS1_PKT3_PKT4_S4_PT5_21rocsparse_index_base_b ; -- Begin function _ZN9rocsparseL21csrmvn_general_kernelILj256ELj64EllfdddEEvbT2_NS_24const_host_device_scalarIT6_EEPKT1_S7_PKS1_PKT3_PKT4_S4_PT5_21rocsparse_index_base_b
	.p2align	8
	.type	_ZN9rocsparseL21csrmvn_general_kernelILj256ELj64EllfdddEEvbT2_NS_24const_host_device_scalarIT6_EEPKT1_S7_PKS1_PKT3_PKT4_S4_PT5_21rocsparse_index_base_b,@function
_ZN9rocsparseL21csrmvn_general_kernelILj256ELj64EllfdddEEvbT2_NS_24const_host_device_scalarIT6_EEPKT1_S7_PKS1_PKT3_PKT4_S4_PT5_21rocsparse_index_base_b: ; @_ZN9rocsparseL21csrmvn_general_kernelILj256ELj64EllfdddEEvbT2_NS_24const_host_device_scalarIT6_EEPKT1_S7_PKS1_PKT3_PKT4_S4_PT5_21rocsparse_index_base_b
; %bb.0:
	s_clause 0x2
	s_load_b64 s[16:17], s[0:1], 0x50
	s_load_b256 s[4:11], s[0:1], 0x8
	s_load_b64 s[2:3], s[0:1], 0x40
	s_wait_kmcnt 0x0
	s_bitcmp1_b32 s17, 0
	v_mov_b64_e32 v[2:3], s[6:7]
	s_cselect_b32 s12, -1, 0
	s_delay_alu instid0(SALU_CYCLE_1)
	s_and_b32 vcc_lo, exec_lo, s12
	s_xor_b32 s12, s12, -1
	s_cbranch_vccnz .LBB324_2
; %bb.1:
	v_mov_b32_e32 v1, 0
	flat_load_b64 v[2:3], v1, s[6:7]
.LBB324_2:
	v_mov_b64_e32 v[4:5], s[2:3]
	s_and_not1_b32 vcc_lo, exec_lo, s12
	s_cbranch_vccnz .LBB324_4
; %bb.3:
	s_wait_xcnt 0x0
	v_mov_b32_e32 v1, 0
	flat_load_b64 v[4:5], v1, s[2:3]
.LBB324_4:
	s_wait_loadcnt_dscnt 0x0
	v_cmp_neq_f64_e32 vcc_lo, 0, v[2:3]
	s_delay_alu instid0(VALU_DEP_2) | instskip(SKIP_1) | instid1(SALU_CYCLE_1)
	v_cmp_neq_f64_e64 s2, 1.0, v[4:5]
	s_or_b32 s2, vcc_lo, s2
	s_and_saveexec_b32 s3, s2
	s_cbranch_execz .LBB324_16
; %bb.5:
	s_bfe_u32 s2, ttmp6, 0x4000c
	s_and_b32 s3, ttmp6, 15
	s_add_co_i32 s2, s2, 1
	s_getreg_b32 s6, hwreg(HW_REG_IB_STS2, 6, 4)
	s_mul_i32 s2, ttmp9, s2
	v_mov_b32_e32 v7, 0
	s_add_co_i32 s3, s3, s2
	s_cmp_eq_u32 s6, 0
	s_cselect_b32 s2, ttmp9, s3
	s_mov_b32 s3, 0
	v_lshl_or_b32 v1, s2, 8, v0
	s_delay_alu instid0(VALU_DEP_1) | instskip(NEXT) | instid1(VALU_DEP_1)
	v_lshrrev_b32_e32 v6, 6, v1
	v_cmp_gt_i64_e32 vcc_lo, s[4:5], v[6:7]
	s_and_b32 exec_lo, exec_lo, vcc_lo
	s_cbranch_execz .LBB324_16
; %bb.6:
	v_mbcnt_lo_u32_b32 v10, -1, 0
	v_dual_mov_b32 v9, v7 :: v_dual_bitop2_b32 v8, 63, v0 bitop3:0x40
	s_clause 0x3
	s_load_b128 s[12:15], s[0:1], 0x28
	s_load_b64 s[18:19], s[0:1], 0x38
	s_load_b64 s[6:7], s[0:1], 0x48
	s_load_b32 s2, s[0:1], 0x58
	s_mov_b32 s17, s3
	v_or_b32_e32 v0, 32, v10
	s_wait_xcnt 0x0
	s_ashr_i32 s1, s16, 31
	v_cmp_neq_f64_e32 vcc_lo, 0, v[4:5]
	v_xor_b32_e32 v12, 16, v10
	v_cmp_gt_i32_e64 s0, 32, v0
	s_delay_alu instid0(VALU_DEP_1)
	v_cndmask_b32_e64 v11, v10, v0, s0
	s_mov_b32 s0, s16
	v_sub_nc_u64_e64 v[0:1], v[8:9], s[16:17]
	s_lshl_b64 s[20:21], s[0:1], 3
	v_cmp_gt_i32_e64 s0, 32, v12
	v_dual_lshlrev_b32 v18, 2, v11 :: v_dual_bitop2_b32 v9, 8, v10 bitop3:0x14
	s_wait_kmcnt 0x0
	s_sub_nc_u64 s[18:19], s[18:19], s[20:21]
	s_lshl_b32 s2, s2, 2
	s_mov_b32 s20, s3
	v_cndmask_b32_e64 v11, v10, v12, s0
	v_cmp_gt_i32_e64 s0, 32, v9
	s_delay_alu instid0(VALU_DEP_2) | instskip(NEXT) | instid1(VALU_DEP_2)
	v_dual_lshlrev_b32 v19, 2, v11 :: v_dual_bitop2_b32 v12, 4, v10 bitop3:0x14
	v_cndmask_b32_e64 v9, v10, v9, s0
	s_delay_alu instid0(VALU_DEP_2) | instskip(NEXT) | instid1(VALU_DEP_1)
	v_cmp_gt_i32_e64 s0, 32, v12
	v_dual_cndmask_b32 v12, v10, v12, s0 :: v_dual_bitop2_b32 v13, 2, v10 bitop3:0x14
	s_delay_alu instid0(VALU_DEP_1) | instskip(NEXT) | instid1(VALU_DEP_4)
	v_cmp_gt_i32_e64 s0, 32, v13
	v_dual_lshlrev_b32 v20, 2, v9 :: v_dual_bitop2_b32 v14, 1, v10 bitop3:0x14
	s_delay_alu instid0(VALU_DEP_2) | instskip(NEXT) | instid1(VALU_DEP_2)
	v_dual_lshlrev_b32 v21, 2, v12 :: v_dual_cndmask_b32 v13, v10, v13, s0
	v_cmp_gt_i32_e64 s0, 32, v14
	s_delay_alu instid0(VALU_DEP_1) | instskip(SKIP_1) | instid1(VALU_DEP_2)
	v_dual_cndmask_b32 v10, v10, v14, s0 :: v_dual_lshlrev_b32 v22, 2, v13
	v_cmp_eq_u32_e64 s0, 63, v8
	v_lshlrev_b32_e32 v23, 2, v10
	s_branch .LBB324_9
.LBB324_7:                              ;   in Loop: Header=BB324_9 Depth=1
	s_wait_xcnt 0x0
	s_or_b32 exec_lo, exec_lo, s21
	global_store_b64 v[10:11], v[8:9], off
.LBB324_8:                              ;   in Loop: Header=BB324_9 Depth=1
	s_wait_xcnt 0x0
	s_or_b32 exec_lo, exec_lo, s1
	v_add_nc_u64_e32 v[6:7], s[2:3], v[6:7]
	s_delay_alu instid0(VALU_DEP_1) | instskip(SKIP_1) | instid1(SALU_CYCLE_1)
	v_cmp_le_i64_e64 s1, s[4:5], v[6:7]
	s_or_b32 s20, s1, s20
	s_and_not1_b32 exec_lo, exec_lo, s20
	s_cbranch_execz .LBB324_16
.LBB324_9:                              ; =>This Loop Header: Depth=1
                                        ;     Child Loop BB324_11 Depth 2
	v_lshlrev_b64_e32 v[8:9], 3, v[6:7]
	s_mov_b32 s21, exec_lo
	s_wait_dscnt 0x0
	s_delay_alu instid0(VALU_DEP_1)
	v_add_nc_u64_e32 v[10:11], s[10:11], v[8:9]
	v_add_nc_u64_e32 v[8:9], s[8:9], v[8:9]
	global_load_b64 v[12:13], v[10:11], off
	global_load_b64 v[14:15], v[8:9], off
	s_wait_xcnt 0x0
	v_mov_b64_e32 v[8:9], 0
	s_wait_loadcnt 0x1
	v_sub_nc_u64_e64 v[10:11], v[12:13], s[16:17]
	s_wait_loadcnt 0x0
	v_add_nc_u64_e32 v[12:13], v[14:15], v[0:1]
	s_delay_alu instid0(VALU_DEP_1)
	v_cmpx_lt_i64_e64 v[12:13], v[10:11]
	s_cbranch_execz .LBB324_13
; %bb.10:                               ;   in Loop: Header=BB324_9 Depth=1
	v_mov_b64_e32 v[8:9], 0
	v_lshl_add_u64 v[14:15], v[12:13], 2, s[14:15]
	v_lshl_add_u64 v[16:17], v[12:13], 3, s[12:13]
	s_mov_b32 s22, 0
.LBB324_11:                             ;   Parent Loop BB324_9 Depth=1
                                        ; =>  This Inner Loop Header: Depth=2
	global_load_b64 v[24:25], v[16:17], off
	global_load_b32 v26, v[14:15], off
	v_add_nc_u64_e32 v[12:13], 64, v[12:13]
	s_wait_xcnt 0x0
	v_add_nc_u64_e32 v[14:15], 0x100, v[14:15]
	v_add_nc_u64_e32 v[16:17], 0x200, v[16:17]
	s_delay_alu instid0(VALU_DEP_3)
	v_cmp_ge_i64_e64 s1, v[12:13], v[10:11]
	s_or_b32 s22, s1, s22
	s_wait_loadcnt 0x1
	v_lshl_add_u64 v[24:25], v[24:25], 3, s[18:19]
	s_wait_loadcnt 0x0
	v_cvt_f64_f32_e32 v[26:27], v26
	global_load_b64 v[24:25], v[24:25], off
	v_mul_f64_e32 v[26:27], v[2:3], v[26:27]
	s_wait_loadcnt 0x0
	s_delay_alu instid0(VALU_DEP_1)
	v_fmac_f64_e32 v[8:9], v[26:27], v[24:25]
	s_wait_xcnt 0x0
	s_and_not1_b32 exec_lo, exec_lo, s22
	s_cbranch_execnz .LBB324_11
; %bb.12:                               ;   in Loop: Header=BB324_9 Depth=1
	s_or_b32 exec_lo, exec_lo, s22
.LBB324_13:                             ;   in Loop: Header=BB324_9 Depth=1
	s_delay_alu instid0(SALU_CYCLE_1)
	s_or_b32 exec_lo, exec_lo, s21
	ds_bpermute_b32 v10, v18, v8
	ds_bpermute_b32 v11, v18, v9
	s_wait_dscnt 0x0
	v_add_f64_e32 v[8:9], v[8:9], v[10:11]
	ds_bpermute_b32 v10, v19, v8
	ds_bpermute_b32 v11, v19, v9
	s_wait_dscnt 0x0
	v_add_f64_e32 v[8:9], v[8:9], v[10:11]
	;; [unrolled: 4-line block ×5, first 2 shown]
	ds_bpermute_b32 v10, v23, v8
	ds_bpermute_b32 v11, v23, v9
	s_and_saveexec_b32 s1, s0
	s_cbranch_execz .LBB324_8
; %bb.14:                               ;   in Loop: Header=BB324_9 Depth=1
	s_wait_dscnt 0x0
	v_add_f64_e32 v[8:9], v[8:9], v[10:11]
	v_lshl_add_u64 v[10:11], v[6:7], 3, s[6:7]
	s_and_saveexec_b32 s21, vcc_lo
	s_cbranch_execz .LBB324_7
; %bb.15:                               ;   in Loop: Header=BB324_9 Depth=1
	global_load_b64 v[12:13], v[10:11], off
	s_wait_loadcnt 0x0
	v_fmac_f64_e32 v[8:9], v[4:5], v[12:13]
	s_branch .LBB324_7
.LBB324_16:
	s_endpgm
	.section	.rodata,"a",@progbits
	.p2align	6, 0x0
	.amdhsa_kernel _ZN9rocsparseL21csrmvn_general_kernelILj256ELj64EllfdddEEvbT2_NS_24const_host_device_scalarIT6_EEPKT1_S7_PKS1_PKT3_PKT4_S4_PT5_21rocsparse_index_base_b
		.amdhsa_group_segment_fixed_size 0
		.amdhsa_private_segment_fixed_size 0
		.amdhsa_kernarg_size 344
		.amdhsa_user_sgpr_count 2
		.amdhsa_user_sgpr_dispatch_ptr 0
		.amdhsa_user_sgpr_queue_ptr 0
		.amdhsa_user_sgpr_kernarg_segment_ptr 1
		.amdhsa_user_sgpr_dispatch_id 0
		.amdhsa_user_sgpr_kernarg_preload_length 0
		.amdhsa_user_sgpr_kernarg_preload_offset 0
		.amdhsa_user_sgpr_private_segment_size 0
		.amdhsa_wavefront_size32 1
		.amdhsa_uses_dynamic_stack 0
		.amdhsa_enable_private_segment 0
		.amdhsa_system_sgpr_workgroup_id_x 1
		.amdhsa_system_sgpr_workgroup_id_y 0
		.amdhsa_system_sgpr_workgroup_id_z 0
		.amdhsa_system_sgpr_workgroup_info 0
		.amdhsa_system_vgpr_workitem_id 0
		.amdhsa_next_free_vgpr 28
		.amdhsa_next_free_sgpr 23
		.amdhsa_named_barrier_count 0
		.amdhsa_reserve_vcc 1
		.amdhsa_float_round_mode_32 0
		.amdhsa_float_round_mode_16_64 0
		.amdhsa_float_denorm_mode_32 3
		.amdhsa_float_denorm_mode_16_64 3
		.amdhsa_fp16_overflow 0
		.amdhsa_memory_ordered 1
		.amdhsa_forward_progress 1
		.amdhsa_inst_pref_size 8
		.amdhsa_round_robin_scheduling 0
		.amdhsa_exception_fp_ieee_invalid_op 0
		.amdhsa_exception_fp_denorm_src 0
		.amdhsa_exception_fp_ieee_div_zero 0
		.amdhsa_exception_fp_ieee_overflow 0
		.amdhsa_exception_fp_ieee_underflow 0
		.amdhsa_exception_fp_ieee_inexact 0
		.amdhsa_exception_int_div_zero 0
	.end_amdhsa_kernel
	.section	.text._ZN9rocsparseL21csrmvn_general_kernelILj256ELj64EllfdddEEvbT2_NS_24const_host_device_scalarIT6_EEPKT1_S7_PKS1_PKT3_PKT4_S4_PT5_21rocsparse_index_base_b,"axG",@progbits,_ZN9rocsparseL21csrmvn_general_kernelILj256ELj64EllfdddEEvbT2_NS_24const_host_device_scalarIT6_EEPKT1_S7_PKS1_PKT3_PKT4_S4_PT5_21rocsparse_index_base_b,comdat
.Lfunc_end324:
	.size	_ZN9rocsparseL21csrmvn_general_kernelILj256ELj64EllfdddEEvbT2_NS_24const_host_device_scalarIT6_EEPKT1_S7_PKS1_PKT3_PKT4_S4_PT5_21rocsparse_index_base_b, .Lfunc_end324-_ZN9rocsparseL21csrmvn_general_kernelILj256ELj64EllfdddEEvbT2_NS_24const_host_device_scalarIT6_EEPKT1_S7_PKS1_PKT3_PKT4_S4_PT5_21rocsparse_index_base_b
                                        ; -- End function
	.set _ZN9rocsparseL21csrmvn_general_kernelILj256ELj64EllfdddEEvbT2_NS_24const_host_device_scalarIT6_EEPKT1_S7_PKS1_PKT3_PKT4_S4_PT5_21rocsparse_index_base_b.num_vgpr, 28
	.set _ZN9rocsparseL21csrmvn_general_kernelILj256ELj64EllfdddEEvbT2_NS_24const_host_device_scalarIT6_EEPKT1_S7_PKS1_PKT3_PKT4_S4_PT5_21rocsparse_index_base_b.num_agpr, 0
	.set _ZN9rocsparseL21csrmvn_general_kernelILj256ELj64EllfdddEEvbT2_NS_24const_host_device_scalarIT6_EEPKT1_S7_PKS1_PKT3_PKT4_S4_PT5_21rocsparse_index_base_b.numbered_sgpr, 23
	.set _ZN9rocsparseL21csrmvn_general_kernelILj256ELj64EllfdddEEvbT2_NS_24const_host_device_scalarIT6_EEPKT1_S7_PKS1_PKT3_PKT4_S4_PT5_21rocsparse_index_base_b.num_named_barrier, 0
	.set _ZN9rocsparseL21csrmvn_general_kernelILj256ELj64EllfdddEEvbT2_NS_24const_host_device_scalarIT6_EEPKT1_S7_PKS1_PKT3_PKT4_S4_PT5_21rocsparse_index_base_b.private_seg_size, 0
	.set _ZN9rocsparseL21csrmvn_general_kernelILj256ELj64EllfdddEEvbT2_NS_24const_host_device_scalarIT6_EEPKT1_S7_PKS1_PKT3_PKT4_S4_PT5_21rocsparse_index_base_b.uses_vcc, 1
	.set _ZN9rocsparseL21csrmvn_general_kernelILj256ELj64EllfdddEEvbT2_NS_24const_host_device_scalarIT6_EEPKT1_S7_PKS1_PKT3_PKT4_S4_PT5_21rocsparse_index_base_b.uses_flat_scratch, 0
	.set _ZN9rocsparseL21csrmvn_general_kernelILj256ELj64EllfdddEEvbT2_NS_24const_host_device_scalarIT6_EEPKT1_S7_PKS1_PKT3_PKT4_S4_PT5_21rocsparse_index_base_b.has_dyn_sized_stack, 0
	.set _ZN9rocsparseL21csrmvn_general_kernelILj256ELj64EllfdddEEvbT2_NS_24const_host_device_scalarIT6_EEPKT1_S7_PKS1_PKT3_PKT4_S4_PT5_21rocsparse_index_base_b.has_recursion, 0
	.set _ZN9rocsparseL21csrmvn_general_kernelILj256ELj64EllfdddEEvbT2_NS_24const_host_device_scalarIT6_EEPKT1_S7_PKS1_PKT3_PKT4_S4_PT5_21rocsparse_index_base_b.has_indirect_call, 0
	.section	.AMDGPU.csdata,"",@progbits
; Kernel info:
; codeLenInByte = 1012
; TotalNumSgprs: 25
; NumVgprs: 28
; ScratchSize: 0
; MemoryBound: 1
; FloatMode: 240
; IeeeMode: 1
; LDSByteSize: 0 bytes/workgroup (compile time only)
; SGPRBlocks: 0
; VGPRBlocks: 1
; NumSGPRsForWavesPerEU: 25
; NumVGPRsForWavesPerEU: 28
; NamedBarCnt: 0
; Occupancy: 16
; WaveLimiterHint : 1
; COMPUTE_PGM_RSRC2:SCRATCH_EN: 0
; COMPUTE_PGM_RSRC2:USER_SGPR: 2
; COMPUTE_PGM_RSRC2:TRAP_HANDLER: 0
; COMPUTE_PGM_RSRC2:TGID_X_EN: 1
; COMPUTE_PGM_RSRC2:TGID_Y_EN: 0
; COMPUTE_PGM_RSRC2:TGID_Z_EN: 0
; COMPUTE_PGM_RSRC2:TIDIG_COMP_CNT: 0
	.section	.text._ZN9rocsparseL21csrmvt_general_kernelILj256ELj4EllfdddEEvbbT2_NS_24const_host_device_scalarIT6_EEPKT1_S7_PKS1_PKT3_PKT4_PT5_21rocsparse_index_base_b,"axG",@progbits,_ZN9rocsparseL21csrmvt_general_kernelILj256ELj4EllfdddEEvbbT2_NS_24const_host_device_scalarIT6_EEPKT1_S7_PKS1_PKT3_PKT4_PT5_21rocsparse_index_base_b,comdat
	.globl	_ZN9rocsparseL21csrmvt_general_kernelILj256ELj4EllfdddEEvbbT2_NS_24const_host_device_scalarIT6_EEPKT1_S7_PKS1_PKT3_PKT4_PT5_21rocsparse_index_base_b ; -- Begin function _ZN9rocsparseL21csrmvt_general_kernelILj256ELj4EllfdddEEvbbT2_NS_24const_host_device_scalarIT6_EEPKT1_S7_PKS1_PKT3_PKT4_PT5_21rocsparse_index_base_b
	.p2align	8
	.type	_ZN9rocsparseL21csrmvt_general_kernelILj256ELj4EllfdddEEvbbT2_NS_24const_host_device_scalarIT6_EEPKT1_S7_PKS1_PKT3_PKT4_PT5_21rocsparse_index_base_b,@function
_ZN9rocsparseL21csrmvt_general_kernelILj256ELj4EllfdddEEvbbT2_NS_24const_host_device_scalarIT6_EEPKT1_S7_PKS1_PKT3_PKT4_PT5_21rocsparse_index_base_b: ; @_ZN9rocsparseL21csrmvt_general_kernelILj256ELj4EllfdddEEvbbT2_NS_24const_host_device_scalarIT6_EEPKT1_S7_PKS1_PKT3_PKT4_PT5_21rocsparse_index_base_b
; %bb.0:
	s_clause 0x1
	s_load_b64 s[2:3], s[0:1], 0x48
	s_load_b256 s[4:11], s[0:1], 0x8
	s_wait_kmcnt 0x0
	s_bitcmp1_b32 s3, 0
	v_mov_b64_e32 v[2:3], s[6:7]
	s_cselect_b32 s3, -1, 0
	s_delay_alu instid0(SALU_CYCLE_1)
	s_and_b32 vcc_lo, exec_lo, s3
	s_cbranch_vccnz .LBB325_2
; %bb.1:
	v_mov_b32_e32 v1, 0
	flat_load_b64 v[2:3], v1, s[6:7]
.LBB325_2:
	s_mov_b32 s3, exec_lo
	s_wait_loadcnt_dscnt 0x0
	s_delay_alu instid0(VALU_DEP_1)
	v_cmpx_neq_f64_e32 0, v[2:3]
	s_cbranch_execz .LBB325_20
; %bb.3:
	s_clause 0x1
	s_load_b32 s3, s[0:1], 0x0
	s_load_b32 s6, s[0:1], 0x50
	s_bfe_u32 s7, ttmp6, 0x4000c
	s_and_b32 s12, ttmp6, 15
	s_add_co_i32 s7, s7, 1
	s_getreg_b32 s13, hwreg(HW_REG_IB_STS2, 6, 4)
	s_mul_i32 s7, ttmp9, s7
	v_mov_b32_e32 v5, 0
	s_add_co_i32 s7, s12, s7
	s_wait_kmcnt 0x0
	s_and_b32 s3, s3, 1
	s_lshl_b32 s6, s6, 6
	s_cmp_eq_u32 s13, 0
	s_load_b256 s[12:19], s[0:1], 0x28
	s_wait_xcnt 0x0
	s_cselect_b32 s0, ttmp9, s7
	s_mov_b32 s7, 0
	v_lshl_or_b32 v1, s0, 8, v0
	v_and_b32_e32 v0, 3, v0
	s_cmp_eq_u32 s3, 0
	s_mov_b32 s1, -1
	s_delay_alu instid0(VALU_DEP_2) | instskip(NEXT) | instid1(VALU_DEP_1)
	v_lshrrev_b32_e32 v4, 2, v1
	v_cmp_gt_i64_e64 s0, s[4:5], v[4:5]
	s_cbranch_scc0 .LBB325_11
; %bb.4:
	s_and_saveexec_b32 s1, s0
	s_cbranch_execz .LBB325_10
; %bb.5:
	v_mov_b32_e32 v1, 0
	s_mov_b32 s3, 0
	v_mov_b64_e32 v[8:9], v[4:5]
	s_mov_b32 s20, s3
	s_delay_alu instid0(VALU_DEP_2)
	v_sub_nc_u64_e64 v[6:7], v[0:1], s[2:3]
	s_branch .LBB325_7
.LBB325_6:                              ;   in Loop: Header=BB325_7 Depth=1
	s_or_b32 exec_lo, exec_lo, s21
	v_add_nc_u64_e32 v[8:9], s[6:7], v[8:9]
	s_delay_alu instid0(VALU_DEP_1) | instskip(SKIP_1) | instid1(SALU_CYCLE_1)
	v_cmp_le_i64_e32 vcc_lo, s[4:5], v[8:9]
	s_or_b32 s20, vcc_lo, s20
	s_and_not1_b32 exec_lo, exec_lo, s20
	s_cbranch_execz .LBB325_10
.LBB325_7:                              ; =>This Loop Header: Depth=1
                                        ;     Child Loop BB325_9 Depth 2
	s_delay_alu instid0(VALU_DEP_2) | instskip(SKIP_1) | instid1(VALU_DEP_1)
	v_lshlrev_b64_e32 v[10:11], 3, v[8:9]
	s_mov_b32 s21, exec_lo
	v_add_nc_u64_e32 v[12:13], s[10:11], v[10:11]
	v_add_nc_u64_e32 v[10:11], s[8:9], v[10:11]
	global_load_b64 v[14:15], v[12:13], off
	global_load_b64 v[16:17], v[10:11], off
	s_wait_loadcnt 0x1
	s_wait_xcnt 0x0
	v_sub_nc_u64_e64 v[10:11], v[14:15], s[2:3]
	s_wait_loadcnt 0x0
	v_add_nc_u64_e32 v[12:13], v[16:17], v[6:7]
	s_delay_alu instid0(VALU_DEP_1)
	v_cmpx_lt_i64_e64 v[12:13], v[10:11]
	s_cbranch_execz .LBB325_6
; %bb.8:                                ;   in Loop: Header=BB325_7 Depth=1
	s_wait_kmcnt 0x0
	v_lshl_add_u64 v[14:15], v[8:9], 3, s[16:17]
	v_lshl_add_u64 v[16:17], v[12:13], 3, s[12:13]
	;; [unrolled: 1-line block ×3, first 2 shown]
	s_mov_b32 s22, 0
	global_load_b64 v[14:15], v[14:15], off
	s_wait_loadcnt 0x0
	s_wait_xcnt 0x0
	v_mul_f64_e32 v[14:15], v[2:3], v[14:15]
.LBB325_9:                              ;   Parent Loop BB325_7 Depth=1
                                        ; =>  This Inner Loop Header: Depth=2
	global_load_b32 v1, v[18:19], off
	global_load_b64 v[20:21], v[16:17], off
	v_add_nc_u64_e32 v[12:13], 4, v[12:13]
	s_wait_xcnt 0x0
	v_add_nc_u64_e32 v[16:17], 32, v[16:17]
	v_add_nc_u64_e32 v[18:19], 16, v[18:19]
	s_delay_alu instid0(VALU_DEP_3)
	v_cmp_ge_i64_e32 vcc_lo, v[12:13], v[10:11]
	s_or_b32 s22, vcc_lo, s22
	s_wait_loadcnt 0x1
	v_cvt_f64_f32_e32 v[22:23], v1
	s_wait_loadcnt 0x0
	v_sub_nc_u64_e64 v[20:21], v[20:21], s[2:3]
	s_delay_alu instid0(VALU_DEP_1) | instskip(NEXT) | instid1(VALU_DEP_3)
	v_lshl_add_u64 v[20:21], v[20:21], 3, s[18:19]
	v_mul_f64_e32 v[22:23], v[14:15], v[22:23]
	global_atomic_add_f64 v[20:21], v[22:23], off scope:SCOPE_DEV
	s_wait_xcnt 0x0
	s_and_not1_b32 exec_lo, exec_lo, s22
	s_cbranch_execnz .LBB325_9
	s_branch .LBB325_6
.LBB325_10:
	s_or_b32 exec_lo, exec_lo, s1
	s_mov_b32 s1, 0
.LBB325_11:
	s_delay_alu instid0(SALU_CYCLE_1)
	s_and_not1_b32 vcc_lo, exec_lo, s1
	s_cbranch_vccnz .LBB325_20
; %bb.12:
	s_and_b32 exec_lo, exec_lo, s0
	s_cbranch_execz .LBB325_20
; %bb.13:
	v_mov_b32_e32 v1, 0
	s_mov_b32 s3, 0
	s_delay_alu instid0(SALU_CYCLE_1) | instskip(NEXT) | instid1(VALU_DEP_1)
	s_mov_b32 s0, s3
	v_sub_nc_u64_e64 v[0:1], v[0:1], s[2:3]
	s_branch .LBB325_15
.LBB325_14:                             ;   in Loop: Header=BB325_15 Depth=1
	s_or_b32 exec_lo, exec_lo, s1
	v_add_nc_u64_e32 v[4:5], s[6:7], v[4:5]
	s_delay_alu instid0(VALU_DEP_1) | instskip(SKIP_1) | instid1(SALU_CYCLE_1)
	v_cmp_le_i64_e32 vcc_lo, s[4:5], v[4:5]
	s_or_b32 s0, vcc_lo, s0
	s_and_not1_b32 exec_lo, exec_lo, s0
	s_cbranch_execz .LBB325_20
.LBB325_15:                             ; =>This Loop Header: Depth=1
                                        ;     Child Loop BB325_18 Depth 2
	v_lshlrev_b64_e32 v[6:7], 3, v[4:5]
	s_mov_b32 s1, exec_lo
	s_delay_alu instid0(VALU_DEP_1)
	v_add_nc_u64_e32 v[8:9], s[10:11], v[6:7]
	v_add_nc_u64_e32 v[6:7], s[8:9], v[6:7]
	global_load_b64 v[10:11], v[8:9], off
	global_load_b64 v[12:13], v[6:7], off
	s_wait_loadcnt 0x1
	s_wait_xcnt 0x0
	v_sub_nc_u64_e64 v[6:7], v[10:11], s[2:3]
	s_wait_loadcnt 0x0
	v_add_nc_u64_e32 v[8:9], v[12:13], v[0:1]
	s_delay_alu instid0(VALU_DEP_1)
	v_cmpx_lt_i64_e64 v[8:9], v[6:7]
	s_cbranch_execz .LBB325_14
; %bb.16:                               ;   in Loop: Header=BB325_15 Depth=1
	s_wait_kmcnt 0x0
	v_lshl_add_u64 v[10:11], v[4:5], 3, s[16:17]
	v_lshl_add_u64 v[12:13], v[8:9], 3, s[12:13]
	;; [unrolled: 1-line block ×3, first 2 shown]
	s_mov_b32 s20, 0
	global_load_b64 v[10:11], v[10:11], off
	s_wait_loadcnt 0x0
	v_mul_f64_e32 v[10:11], v[2:3], v[10:11]
	s_branch .LBB325_18
.LBB325_17:                             ;   in Loop: Header=BB325_18 Depth=2
	s_wait_xcnt 0x0
	s_or_b32 exec_lo, exec_lo, s21
	v_add_nc_u64_e32 v[8:9], 4, v[8:9]
	v_add_nc_u64_e32 v[12:13], 32, v[12:13]
	v_add_nc_u64_e32 v[14:15], 16, v[14:15]
	s_delay_alu instid0(VALU_DEP_3) | instskip(SKIP_1) | instid1(SALU_CYCLE_1)
	v_cmp_ge_i64_e32 vcc_lo, v[8:9], v[6:7]
	s_or_b32 s20, vcc_lo, s20
	s_and_not1_b32 exec_lo, exec_lo, s20
	s_cbranch_execz .LBB325_14
.LBB325_18:                             ;   Parent Loop BB325_15 Depth=1
                                        ; =>  This Inner Loop Header: Depth=2
	global_load_b64 v[16:17], v[12:13], off
	s_mov_b32 s21, exec_lo
	s_wait_loadcnt 0x0
	v_sub_nc_u64_e64 v[16:17], v[16:17], s[2:3]
	s_wait_xcnt 0x0
	s_delay_alu instid0(VALU_DEP_1)
	v_cmpx_ne_u64_e64 v[16:17], v[4:5]
	s_cbranch_execz .LBB325_17
; %bb.19:                               ;   in Loop: Header=BB325_18 Depth=2
	global_load_b32 v18, v[14:15], off
	v_lshl_add_u64 v[16:17], v[16:17], 3, s[18:19]
	s_wait_loadcnt 0x0
	v_cvt_f64_f32_e32 v[18:19], v18
	s_delay_alu instid0(VALU_DEP_1)
	v_mul_f64_e32 v[18:19], v[10:11], v[18:19]
	s_wait_xcnt 0x0
	global_atomic_add_f64 v[16:17], v[18:19], off scope:SCOPE_DEV
	s_branch .LBB325_17
.LBB325_20:
	s_endpgm
	.section	.rodata,"a",@progbits
	.p2align	6, 0x0
	.amdhsa_kernel _ZN9rocsparseL21csrmvt_general_kernelILj256ELj4EllfdddEEvbbT2_NS_24const_host_device_scalarIT6_EEPKT1_S7_PKS1_PKT3_PKT4_PT5_21rocsparse_index_base_b
		.amdhsa_group_segment_fixed_size 0
		.amdhsa_private_segment_fixed_size 0
		.amdhsa_kernarg_size 336
		.amdhsa_user_sgpr_count 2
		.amdhsa_user_sgpr_dispatch_ptr 0
		.amdhsa_user_sgpr_queue_ptr 0
		.amdhsa_user_sgpr_kernarg_segment_ptr 1
		.amdhsa_user_sgpr_dispatch_id 0
		.amdhsa_user_sgpr_kernarg_preload_length 0
		.amdhsa_user_sgpr_kernarg_preload_offset 0
		.amdhsa_user_sgpr_private_segment_size 0
		.amdhsa_wavefront_size32 1
		.amdhsa_uses_dynamic_stack 0
		.amdhsa_enable_private_segment 0
		.amdhsa_system_sgpr_workgroup_id_x 1
		.amdhsa_system_sgpr_workgroup_id_y 0
		.amdhsa_system_sgpr_workgroup_id_z 0
		.amdhsa_system_sgpr_workgroup_info 0
		.amdhsa_system_vgpr_workitem_id 0
		.amdhsa_next_free_vgpr 24
		.amdhsa_next_free_sgpr 23
		.amdhsa_named_barrier_count 0
		.amdhsa_reserve_vcc 1
		.amdhsa_float_round_mode_32 0
		.amdhsa_float_round_mode_16_64 0
		.amdhsa_float_denorm_mode_32 3
		.amdhsa_float_denorm_mode_16_64 3
		.amdhsa_fp16_overflow 0
		.amdhsa_memory_ordered 1
		.amdhsa_forward_progress 1
		.amdhsa_inst_pref_size 8
		.amdhsa_round_robin_scheduling 0
		.amdhsa_exception_fp_ieee_invalid_op 0
		.amdhsa_exception_fp_denorm_src 0
		.amdhsa_exception_fp_ieee_div_zero 0
		.amdhsa_exception_fp_ieee_overflow 0
		.amdhsa_exception_fp_ieee_underflow 0
		.amdhsa_exception_fp_ieee_inexact 0
		.amdhsa_exception_int_div_zero 0
	.end_amdhsa_kernel
	.section	.text._ZN9rocsparseL21csrmvt_general_kernelILj256ELj4EllfdddEEvbbT2_NS_24const_host_device_scalarIT6_EEPKT1_S7_PKS1_PKT3_PKT4_PT5_21rocsparse_index_base_b,"axG",@progbits,_ZN9rocsparseL21csrmvt_general_kernelILj256ELj4EllfdddEEvbbT2_NS_24const_host_device_scalarIT6_EEPKT1_S7_PKS1_PKT3_PKT4_PT5_21rocsparse_index_base_b,comdat
.Lfunc_end325:
	.size	_ZN9rocsparseL21csrmvt_general_kernelILj256ELj4EllfdddEEvbbT2_NS_24const_host_device_scalarIT6_EEPKT1_S7_PKS1_PKT3_PKT4_PT5_21rocsparse_index_base_b, .Lfunc_end325-_ZN9rocsparseL21csrmvt_general_kernelILj256ELj4EllfdddEEvbbT2_NS_24const_host_device_scalarIT6_EEPKT1_S7_PKS1_PKT3_PKT4_PT5_21rocsparse_index_base_b
                                        ; -- End function
	.set _ZN9rocsparseL21csrmvt_general_kernelILj256ELj4EllfdddEEvbbT2_NS_24const_host_device_scalarIT6_EEPKT1_S7_PKS1_PKT3_PKT4_PT5_21rocsparse_index_base_b.num_vgpr, 24
	.set _ZN9rocsparseL21csrmvt_general_kernelILj256ELj4EllfdddEEvbbT2_NS_24const_host_device_scalarIT6_EEPKT1_S7_PKS1_PKT3_PKT4_PT5_21rocsparse_index_base_b.num_agpr, 0
	.set _ZN9rocsparseL21csrmvt_general_kernelILj256ELj4EllfdddEEvbbT2_NS_24const_host_device_scalarIT6_EEPKT1_S7_PKS1_PKT3_PKT4_PT5_21rocsparse_index_base_b.numbered_sgpr, 23
	.set _ZN9rocsparseL21csrmvt_general_kernelILj256ELj4EllfdddEEvbbT2_NS_24const_host_device_scalarIT6_EEPKT1_S7_PKS1_PKT3_PKT4_PT5_21rocsparse_index_base_b.num_named_barrier, 0
	.set _ZN9rocsparseL21csrmvt_general_kernelILj256ELj4EllfdddEEvbbT2_NS_24const_host_device_scalarIT6_EEPKT1_S7_PKS1_PKT3_PKT4_PT5_21rocsparse_index_base_b.private_seg_size, 0
	.set _ZN9rocsparseL21csrmvt_general_kernelILj256ELj4EllfdddEEvbbT2_NS_24const_host_device_scalarIT6_EEPKT1_S7_PKS1_PKT3_PKT4_PT5_21rocsparse_index_base_b.uses_vcc, 1
	.set _ZN9rocsparseL21csrmvt_general_kernelILj256ELj4EllfdddEEvbbT2_NS_24const_host_device_scalarIT6_EEPKT1_S7_PKS1_PKT3_PKT4_PT5_21rocsparse_index_base_b.uses_flat_scratch, 0
	.set _ZN9rocsparseL21csrmvt_general_kernelILj256ELj4EllfdddEEvbbT2_NS_24const_host_device_scalarIT6_EEPKT1_S7_PKS1_PKT3_PKT4_PT5_21rocsparse_index_base_b.has_dyn_sized_stack, 0
	.set _ZN9rocsparseL21csrmvt_general_kernelILj256ELj4EllfdddEEvbbT2_NS_24const_host_device_scalarIT6_EEPKT1_S7_PKS1_PKT3_PKT4_PT5_21rocsparse_index_base_b.has_recursion, 0
	.set _ZN9rocsparseL21csrmvt_general_kernelILj256ELj4EllfdddEEvbbT2_NS_24const_host_device_scalarIT6_EEPKT1_S7_PKS1_PKT3_PKT4_PT5_21rocsparse_index_base_b.has_indirect_call, 0
	.section	.AMDGPU.csdata,"",@progbits
; Kernel info:
; codeLenInByte = 908
; TotalNumSgprs: 25
; NumVgprs: 24
; ScratchSize: 0
; MemoryBound: 0
; FloatMode: 240
; IeeeMode: 1
; LDSByteSize: 0 bytes/workgroup (compile time only)
; SGPRBlocks: 0
; VGPRBlocks: 1
; NumSGPRsForWavesPerEU: 25
; NumVGPRsForWavesPerEU: 24
; NamedBarCnt: 0
; Occupancy: 16
; WaveLimiterHint : 1
; COMPUTE_PGM_RSRC2:SCRATCH_EN: 0
; COMPUTE_PGM_RSRC2:USER_SGPR: 2
; COMPUTE_PGM_RSRC2:TRAP_HANDLER: 0
; COMPUTE_PGM_RSRC2:TGID_X_EN: 1
; COMPUTE_PGM_RSRC2:TGID_Y_EN: 0
; COMPUTE_PGM_RSRC2:TGID_Z_EN: 0
; COMPUTE_PGM_RSRC2:TIDIG_COMP_CNT: 0
	.section	.text._ZN9rocsparseL21csrmvt_general_kernelILj256ELj8EllfdddEEvbbT2_NS_24const_host_device_scalarIT6_EEPKT1_S7_PKS1_PKT3_PKT4_PT5_21rocsparse_index_base_b,"axG",@progbits,_ZN9rocsparseL21csrmvt_general_kernelILj256ELj8EllfdddEEvbbT2_NS_24const_host_device_scalarIT6_EEPKT1_S7_PKS1_PKT3_PKT4_PT5_21rocsparse_index_base_b,comdat
	.globl	_ZN9rocsparseL21csrmvt_general_kernelILj256ELj8EllfdddEEvbbT2_NS_24const_host_device_scalarIT6_EEPKT1_S7_PKS1_PKT3_PKT4_PT5_21rocsparse_index_base_b ; -- Begin function _ZN9rocsparseL21csrmvt_general_kernelILj256ELj8EllfdddEEvbbT2_NS_24const_host_device_scalarIT6_EEPKT1_S7_PKS1_PKT3_PKT4_PT5_21rocsparse_index_base_b
	.p2align	8
	.type	_ZN9rocsparseL21csrmvt_general_kernelILj256ELj8EllfdddEEvbbT2_NS_24const_host_device_scalarIT6_EEPKT1_S7_PKS1_PKT3_PKT4_PT5_21rocsparse_index_base_b,@function
_ZN9rocsparseL21csrmvt_general_kernelILj256ELj8EllfdddEEvbbT2_NS_24const_host_device_scalarIT6_EEPKT1_S7_PKS1_PKT3_PKT4_PT5_21rocsparse_index_base_b: ; @_ZN9rocsparseL21csrmvt_general_kernelILj256ELj8EllfdddEEvbbT2_NS_24const_host_device_scalarIT6_EEPKT1_S7_PKS1_PKT3_PKT4_PT5_21rocsparse_index_base_b
; %bb.0:
	s_clause 0x1
	s_load_b64 s[2:3], s[0:1], 0x48
	s_load_b256 s[4:11], s[0:1], 0x8
	s_wait_kmcnt 0x0
	s_bitcmp1_b32 s3, 0
	v_mov_b64_e32 v[2:3], s[6:7]
	s_cselect_b32 s3, -1, 0
	s_delay_alu instid0(SALU_CYCLE_1)
	s_and_b32 vcc_lo, exec_lo, s3
	s_cbranch_vccnz .LBB326_2
; %bb.1:
	v_mov_b32_e32 v1, 0
	flat_load_b64 v[2:3], v1, s[6:7]
.LBB326_2:
	s_mov_b32 s3, exec_lo
	s_wait_loadcnt_dscnt 0x0
	s_delay_alu instid0(VALU_DEP_1)
	v_cmpx_neq_f64_e32 0, v[2:3]
	s_cbranch_execz .LBB326_20
; %bb.3:
	s_clause 0x1
	s_load_b32 s3, s[0:1], 0x0
	s_load_b32 s6, s[0:1], 0x50
	s_bfe_u32 s7, ttmp6, 0x4000c
	s_and_b32 s12, ttmp6, 15
	s_add_co_i32 s7, s7, 1
	s_getreg_b32 s13, hwreg(HW_REG_IB_STS2, 6, 4)
	s_mul_i32 s7, ttmp9, s7
	v_mov_b32_e32 v5, 0
	s_add_co_i32 s7, s12, s7
	s_wait_kmcnt 0x0
	s_and_b32 s3, s3, 1
	s_lshl_b32 s6, s6, 5
	s_cmp_eq_u32 s13, 0
	s_load_b256 s[12:19], s[0:1], 0x28
	s_wait_xcnt 0x0
	s_cselect_b32 s0, ttmp9, s7
	s_mov_b32 s7, 0
	v_lshl_or_b32 v1, s0, 8, v0
	v_and_b32_e32 v0, 7, v0
	s_cmp_eq_u32 s3, 0
	s_mov_b32 s1, -1
	s_delay_alu instid0(VALU_DEP_2) | instskip(NEXT) | instid1(VALU_DEP_1)
	v_lshrrev_b32_e32 v4, 3, v1
	v_cmp_gt_i64_e64 s0, s[4:5], v[4:5]
	s_cbranch_scc0 .LBB326_11
; %bb.4:
	s_and_saveexec_b32 s1, s0
	s_cbranch_execz .LBB326_10
; %bb.5:
	v_mov_b32_e32 v1, 0
	s_mov_b32 s3, 0
	v_mov_b64_e32 v[8:9], v[4:5]
	s_mov_b32 s20, s3
	s_delay_alu instid0(VALU_DEP_2)
	v_sub_nc_u64_e64 v[6:7], v[0:1], s[2:3]
	s_branch .LBB326_7
.LBB326_6:                              ;   in Loop: Header=BB326_7 Depth=1
	s_or_b32 exec_lo, exec_lo, s21
	v_add_nc_u64_e32 v[8:9], s[6:7], v[8:9]
	s_delay_alu instid0(VALU_DEP_1) | instskip(SKIP_1) | instid1(SALU_CYCLE_1)
	v_cmp_le_i64_e32 vcc_lo, s[4:5], v[8:9]
	s_or_b32 s20, vcc_lo, s20
	s_and_not1_b32 exec_lo, exec_lo, s20
	s_cbranch_execz .LBB326_10
.LBB326_7:                              ; =>This Loop Header: Depth=1
                                        ;     Child Loop BB326_9 Depth 2
	s_delay_alu instid0(VALU_DEP_2) | instskip(SKIP_1) | instid1(VALU_DEP_1)
	v_lshlrev_b64_e32 v[10:11], 3, v[8:9]
	s_mov_b32 s21, exec_lo
	v_add_nc_u64_e32 v[12:13], s[10:11], v[10:11]
	v_add_nc_u64_e32 v[10:11], s[8:9], v[10:11]
	global_load_b64 v[14:15], v[12:13], off
	global_load_b64 v[16:17], v[10:11], off
	s_wait_loadcnt 0x1
	s_wait_xcnt 0x0
	v_sub_nc_u64_e64 v[10:11], v[14:15], s[2:3]
	s_wait_loadcnt 0x0
	v_add_nc_u64_e32 v[12:13], v[16:17], v[6:7]
	s_delay_alu instid0(VALU_DEP_1)
	v_cmpx_lt_i64_e64 v[12:13], v[10:11]
	s_cbranch_execz .LBB326_6
; %bb.8:                                ;   in Loop: Header=BB326_7 Depth=1
	s_wait_kmcnt 0x0
	v_lshl_add_u64 v[14:15], v[8:9], 3, s[16:17]
	v_lshl_add_u64 v[16:17], v[12:13], 3, s[12:13]
	;; [unrolled: 1-line block ×3, first 2 shown]
	s_mov_b32 s22, 0
	global_load_b64 v[14:15], v[14:15], off
	s_wait_loadcnt 0x0
	s_wait_xcnt 0x0
	v_mul_f64_e32 v[14:15], v[2:3], v[14:15]
.LBB326_9:                              ;   Parent Loop BB326_7 Depth=1
                                        ; =>  This Inner Loop Header: Depth=2
	global_load_b32 v1, v[18:19], off
	global_load_b64 v[20:21], v[16:17], off
	v_add_nc_u64_e32 v[12:13], 8, v[12:13]
	s_wait_xcnt 0x0
	v_add_nc_u64_e32 v[16:17], 64, v[16:17]
	v_add_nc_u64_e32 v[18:19], 32, v[18:19]
	s_delay_alu instid0(VALU_DEP_3)
	v_cmp_ge_i64_e32 vcc_lo, v[12:13], v[10:11]
	s_or_b32 s22, vcc_lo, s22
	s_wait_loadcnt 0x1
	v_cvt_f64_f32_e32 v[22:23], v1
	s_wait_loadcnt 0x0
	v_sub_nc_u64_e64 v[20:21], v[20:21], s[2:3]
	s_delay_alu instid0(VALU_DEP_1) | instskip(NEXT) | instid1(VALU_DEP_3)
	v_lshl_add_u64 v[20:21], v[20:21], 3, s[18:19]
	v_mul_f64_e32 v[22:23], v[14:15], v[22:23]
	global_atomic_add_f64 v[20:21], v[22:23], off scope:SCOPE_DEV
	s_wait_xcnt 0x0
	s_and_not1_b32 exec_lo, exec_lo, s22
	s_cbranch_execnz .LBB326_9
	s_branch .LBB326_6
.LBB326_10:
	s_or_b32 exec_lo, exec_lo, s1
	s_mov_b32 s1, 0
.LBB326_11:
	s_delay_alu instid0(SALU_CYCLE_1)
	s_and_not1_b32 vcc_lo, exec_lo, s1
	s_cbranch_vccnz .LBB326_20
; %bb.12:
	s_and_b32 exec_lo, exec_lo, s0
	s_cbranch_execz .LBB326_20
; %bb.13:
	v_mov_b32_e32 v1, 0
	s_mov_b32 s3, 0
	s_delay_alu instid0(SALU_CYCLE_1) | instskip(NEXT) | instid1(VALU_DEP_1)
	s_mov_b32 s0, s3
	v_sub_nc_u64_e64 v[0:1], v[0:1], s[2:3]
	s_branch .LBB326_15
.LBB326_14:                             ;   in Loop: Header=BB326_15 Depth=1
	s_or_b32 exec_lo, exec_lo, s1
	v_add_nc_u64_e32 v[4:5], s[6:7], v[4:5]
	s_delay_alu instid0(VALU_DEP_1) | instskip(SKIP_1) | instid1(SALU_CYCLE_1)
	v_cmp_le_i64_e32 vcc_lo, s[4:5], v[4:5]
	s_or_b32 s0, vcc_lo, s0
	s_and_not1_b32 exec_lo, exec_lo, s0
	s_cbranch_execz .LBB326_20
.LBB326_15:                             ; =>This Loop Header: Depth=1
                                        ;     Child Loop BB326_18 Depth 2
	v_lshlrev_b64_e32 v[6:7], 3, v[4:5]
	s_mov_b32 s1, exec_lo
	s_delay_alu instid0(VALU_DEP_1)
	v_add_nc_u64_e32 v[8:9], s[10:11], v[6:7]
	v_add_nc_u64_e32 v[6:7], s[8:9], v[6:7]
	global_load_b64 v[10:11], v[8:9], off
	global_load_b64 v[12:13], v[6:7], off
	s_wait_loadcnt 0x1
	s_wait_xcnt 0x0
	v_sub_nc_u64_e64 v[6:7], v[10:11], s[2:3]
	s_wait_loadcnt 0x0
	v_add_nc_u64_e32 v[8:9], v[12:13], v[0:1]
	s_delay_alu instid0(VALU_DEP_1)
	v_cmpx_lt_i64_e64 v[8:9], v[6:7]
	s_cbranch_execz .LBB326_14
; %bb.16:                               ;   in Loop: Header=BB326_15 Depth=1
	s_wait_kmcnt 0x0
	v_lshl_add_u64 v[10:11], v[4:5], 3, s[16:17]
	v_lshl_add_u64 v[12:13], v[8:9], 3, s[12:13]
	;; [unrolled: 1-line block ×3, first 2 shown]
	s_mov_b32 s20, 0
	global_load_b64 v[10:11], v[10:11], off
	s_wait_loadcnt 0x0
	v_mul_f64_e32 v[10:11], v[2:3], v[10:11]
	s_branch .LBB326_18
.LBB326_17:                             ;   in Loop: Header=BB326_18 Depth=2
	s_wait_xcnt 0x0
	s_or_b32 exec_lo, exec_lo, s21
	v_add_nc_u64_e32 v[8:9], 8, v[8:9]
	v_add_nc_u64_e32 v[12:13], 64, v[12:13]
	;; [unrolled: 1-line block ×3, first 2 shown]
	s_delay_alu instid0(VALU_DEP_3) | instskip(SKIP_1) | instid1(SALU_CYCLE_1)
	v_cmp_ge_i64_e32 vcc_lo, v[8:9], v[6:7]
	s_or_b32 s20, vcc_lo, s20
	s_and_not1_b32 exec_lo, exec_lo, s20
	s_cbranch_execz .LBB326_14
.LBB326_18:                             ;   Parent Loop BB326_15 Depth=1
                                        ; =>  This Inner Loop Header: Depth=2
	global_load_b64 v[16:17], v[12:13], off
	s_mov_b32 s21, exec_lo
	s_wait_loadcnt 0x0
	v_sub_nc_u64_e64 v[16:17], v[16:17], s[2:3]
	s_wait_xcnt 0x0
	s_delay_alu instid0(VALU_DEP_1)
	v_cmpx_ne_u64_e64 v[16:17], v[4:5]
	s_cbranch_execz .LBB326_17
; %bb.19:                               ;   in Loop: Header=BB326_18 Depth=2
	global_load_b32 v18, v[14:15], off
	v_lshl_add_u64 v[16:17], v[16:17], 3, s[18:19]
	s_wait_loadcnt 0x0
	v_cvt_f64_f32_e32 v[18:19], v18
	s_delay_alu instid0(VALU_DEP_1)
	v_mul_f64_e32 v[18:19], v[10:11], v[18:19]
	s_wait_xcnt 0x0
	global_atomic_add_f64 v[16:17], v[18:19], off scope:SCOPE_DEV
	s_branch .LBB326_17
.LBB326_20:
	s_endpgm
	.section	.rodata,"a",@progbits
	.p2align	6, 0x0
	.amdhsa_kernel _ZN9rocsparseL21csrmvt_general_kernelILj256ELj8EllfdddEEvbbT2_NS_24const_host_device_scalarIT6_EEPKT1_S7_PKS1_PKT3_PKT4_PT5_21rocsparse_index_base_b
		.amdhsa_group_segment_fixed_size 0
		.amdhsa_private_segment_fixed_size 0
		.amdhsa_kernarg_size 336
		.amdhsa_user_sgpr_count 2
		.amdhsa_user_sgpr_dispatch_ptr 0
		.amdhsa_user_sgpr_queue_ptr 0
		.amdhsa_user_sgpr_kernarg_segment_ptr 1
		.amdhsa_user_sgpr_dispatch_id 0
		.amdhsa_user_sgpr_kernarg_preload_length 0
		.amdhsa_user_sgpr_kernarg_preload_offset 0
		.amdhsa_user_sgpr_private_segment_size 0
		.amdhsa_wavefront_size32 1
		.amdhsa_uses_dynamic_stack 0
		.amdhsa_enable_private_segment 0
		.amdhsa_system_sgpr_workgroup_id_x 1
		.amdhsa_system_sgpr_workgroup_id_y 0
		.amdhsa_system_sgpr_workgroup_id_z 0
		.amdhsa_system_sgpr_workgroup_info 0
		.amdhsa_system_vgpr_workitem_id 0
		.amdhsa_next_free_vgpr 24
		.amdhsa_next_free_sgpr 23
		.amdhsa_named_barrier_count 0
		.amdhsa_reserve_vcc 1
		.amdhsa_float_round_mode_32 0
		.amdhsa_float_round_mode_16_64 0
		.amdhsa_float_denorm_mode_32 3
		.amdhsa_float_denorm_mode_16_64 3
		.amdhsa_fp16_overflow 0
		.amdhsa_memory_ordered 1
		.amdhsa_forward_progress 1
		.amdhsa_inst_pref_size 8
		.amdhsa_round_robin_scheduling 0
		.amdhsa_exception_fp_ieee_invalid_op 0
		.amdhsa_exception_fp_denorm_src 0
		.amdhsa_exception_fp_ieee_div_zero 0
		.amdhsa_exception_fp_ieee_overflow 0
		.amdhsa_exception_fp_ieee_underflow 0
		.amdhsa_exception_fp_ieee_inexact 0
		.amdhsa_exception_int_div_zero 0
	.end_amdhsa_kernel
	.section	.text._ZN9rocsparseL21csrmvt_general_kernelILj256ELj8EllfdddEEvbbT2_NS_24const_host_device_scalarIT6_EEPKT1_S7_PKS1_PKT3_PKT4_PT5_21rocsparse_index_base_b,"axG",@progbits,_ZN9rocsparseL21csrmvt_general_kernelILj256ELj8EllfdddEEvbbT2_NS_24const_host_device_scalarIT6_EEPKT1_S7_PKS1_PKT3_PKT4_PT5_21rocsparse_index_base_b,comdat
.Lfunc_end326:
	.size	_ZN9rocsparseL21csrmvt_general_kernelILj256ELj8EllfdddEEvbbT2_NS_24const_host_device_scalarIT6_EEPKT1_S7_PKS1_PKT3_PKT4_PT5_21rocsparse_index_base_b, .Lfunc_end326-_ZN9rocsparseL21csrmvt_general_kernelILj256ELj8EllfdddEEvbbT2_NS_24const_host_device_scalarIT6_EEPKT1_S7_PKS1_PKT3_PKT4_PT5_21rocsparse_index_base_b
                                        ; -- End function
	.set _ZN9rocsparseL21csrmvt_general_kernelILj256ELj8EllfdddEEvbbT2_NS_24const_host_device_scalarIT6_EEPKT1_S7_PKS1_PKT3_PKT4_PT5_21rocsparse_index_base_b.num_vgpr, 24
	.set _ZN9rocsparseL21csrmvt_general_kernelILj256ELj8EllfdddEEvbbT2_NS_24const_host_device_scalarIT6_EEPKT1_S7_PKS1_PKT3_PKT4_PT5_21rocsparse_index_base_b.num_agpr, 0
	.set _ZN9rocsparseL21csrmvt_general_kernelILj256ELj8EllfdddEEvbbT2_NS_24const_host_device_scalarIT6_EEPKT1_S7_PKS1_PKT3_PKT4_PT5_21rocsparse_index_base_b.numbered_sgpr, 23
	.set _ZN9rocsparseL21csrmvt_general_kernelILj256ELj8EllfdddEEvbbT2_NS_24const_host_device_scalarIT6_EEPKT1_S7_PKS1_PKT3_PKT4_PT5_21rocsparse_index_base_b.num_named_barrier, 0
	.set _ZN9rocsparseL21csrmvt_general_kernelILj256ELj8EllfdddEEvbbT2_NS_24const_host_device_scalarIT6_EEPKT1_S7_PKS1_PKT3_PKT4_PT5_21rocsparse_index_base_b.private_seg_size, 0
	.set _ZN9rocsparseL21csrmvt_general_kernelILj256ELj8EllfdddEEvbbT2_NS_24const_host_device_scalarIT6_EEPKT1_S7_PKS1_PKT3_PKT4_PT5_21rocsparse_index_base_b.uses_vcc, 1
	.set _ZN9rocsparseL21csrmvt_general_kernelILj256ELj8EllfdddEEvbbT2_NS_24const_host_device_scalarIT6_EEPKT1_S7_PKS1_PKT3_PKT4_PT5_21rocsparse_index_base_b.uses_flat_scratch, 0
	.set _ZN9rocsparseL21csrmvt_general_kernelILj256ELj8EllfdddEEvbbT2_NS_24const_host_device_scalarIT6_EEPKT1_S7_PKS1_PKT3_PKT4_PT5_21rocsparse_index_base_b.has_dyn_sized_stack, 0
	.set _ZN9rocsparseL21csrmvt_general_kernelILj256ELj8EllfdddEEvbbT2_NS_24const_host_device_scalarIT6_EEPKT1_S7_PKS1_PKT3_PKT4_PT5_21rocsparse_index_base_b.has_recursion, 0
	.set _ZN9rocsparseL21csrmvt_general_kernelILj256ELj8EllfdddEEvbbT2_NS_24const_host_device_scalarIT6_EEPKT1_S7_PKS1_PKT3_PKT4_PT5_21rocsparse_index_base_b.has_indirect_call, 0
	.section	.AMDGPU.csdata,"",@progbits
; Kernel info:
; codeLenInByte = 908
; TotalNumSgprs: 25
; NumVgprs: 24
; ScratchSize: 0
; MemoryBound: 0
; FloatMode: 240
; IeeeMode: 1
; LDSByteSize: 0 bytes/workgroup (compile time only)
; SGPRBlocks: 0
; VGPRBlocks: 1
; NumSGPRsForWavesPerEU: 25
; NumVGPRsForWavesPerEU: 24
; NamedBarCnt: 0
; Occupancy: 16
; WaveLimiterHint : 1
; COMPUTE_PGM_RSRC2:SCRATCH_EN: 0
; COMPUTE_PGM_RSRC2:USER_SGPR: 2
; COMPUTE_PGM_RSRC2:TRAP_HANDLER: 0
; COMPUTE_PGM_RSRC2:TGID_X_EN: 1
; COMPUTE_PGM_RSRC2:TGID_Y_EN: 0
; COMPUTE_PGM_RSRC2:TGID_Z_EN: 0
; COMPUTE_PGM_RSRC2:TIDIG_COMP_CNT: 0
	.section	.text._ZN9rocsparseL21csrmvt_general_kernelILj256ELj16EllfdddEEvbbT2_NS_24const_host_device_scalarIT6_EEPKT1_S7_PKS1_PKT3_PKT4_PT5_21rocsparse_index_base_b,"axG",@progbits,_ZN9rocsparseL21csrmvt_general_kernelILj256ELj16EllfdddEEvbbT2_NS_24const_host_device_scalarIT6_EEPKT1_S7_PKS1_PKT3_PKT4_PT5_21rocsparse_index_base_b,comdat
	.globl	_ZN9rocsparseL21csrmvt_general_kernelILj256ELj16EllfdddEEvbbT2_NS_24const_host_device_scalarIT6_EEPKT1_S7_PKS1_PKT3_PKT4_PT5_21rocsparse_index_base_b ; -- Begin function _ZN9rocsparseL21csrmvt_general_kernelILj256ELj16EllfdddEEvbbT2_NS_24const_host_device_scalarIT6_EEPKT1_S7_PKS1_PKT3_PKT4_PT5_21rocsparse_index_base_b
	.p2align	8
	.type	_ZN9rocsparseL21csrmvt_general_kernelILj256ELj16EllfdddEEvbbT2_NS_24const_host_device_scalarIT6_EEPKT1_S7_PKS1_PKT3_PKT4_PT5_21rocsparse_index_base_b,@function
_ZN9rocsparseL21csrmvt_general_kernelILj256ELj16EllfdddEEvbbT2_NS_24const_host_device_scalarIT6_EEPKT1_S7_PKS1_PKT3_PKT4_PT5_21rocsparse_index_base_b: ; @_ZN9rocsparseL21csrmvt_general_kernelILj256ELj16EllfdddEEvbbT2_NS_24const_host_device_scalarIT6_EEPKT1_S7_PKS1_PKT3_PKT4_PT5_21rocsparse_index_base_b
; %bb.0:
	s_clause 0x1
	s_load_b64 s[2:3], s[0:1], 0x48
	s_load_b256 s[4:11], s[0:1], 0x8
	s_wait_kmcnt 0x0
	s_bitcmp1_b32 s3, 0
	v_mov_b64_e32 v[2:3], s[6:7]
	s_cselect_b32 s3, -1, 0
	s_delay_alu instid0(SALU_CYCLE_1)
	s_and_b32 vcc_lo, exec_lo, s3
	s_cbranch_vccnz .LBB327_2
; %bb.1:
	v_mov_b32_e32 v1, 0
	flat_load_b64 v[2:3], v1, s[6:7]
.LBB327_2:
	s_mov_b32 s3, exec_lo
	s_wait_loadcnt_dscnt 0x0
	s_delay_alu instid0(VALU_DEP_1)
	v_cmpx_neq_f64_e32 0, v[2:3]
	s_cbranch_execz .LBB327_20
; %bb.3:
	s_clause 0x1
	s_load_b32 s3, s[0:1], 0x0
	s_load_b32 s6, s[0:1], 0x50
	s_bfe_u32 s7, ttmp6, 0x4000c
	s_and_b32 s12, ttmp6, 15
	s_add_co_i32 s7, s7, 1
	s_getreg_b32 s13, hwreg(HW_REG_IB_STS2, 6, 4)
	s_mul_i32 s7, ttmp9, s7
	v_mov_b32_e32 v5, 0
	s_add_co_i32 s7, s12, s7
	s_wait_kmcnt 0x0
	s_and_b32 s3, s3, 1
	s_lshl_b32 s6, s6, 4
	s_cmp_eq_u32 s13, 0
	s_load_b256 s[12:19], s[0:1], 0x28
	s_wait_xcnt 0x0
	s_cselect_b32 s0, ttmp9, s7
	s_mov_b32 s7, 0
	v_lshl_or_b32 v1, s0, 8, v0
	v_and_b32_e32 v0, 15, v0
	s_cmp_eq_u32 s3, 0
	s_mov_b32 s1, -1
	s_delay_alu instid0(VALU_DEP_2) | instskip(NEXT) | instid1(VALU_DEP_1)
	v_lshrrev_b32_e32 v4, 4, v1
	v_cmp_gt_i64_e64 s0, s[4:5], v[4:5]
	s_cbranch_scc0 .LBB327_11
; %bb.4:
	s_and_saveexec_b32 s1, s0
	s_cbranch_execz .LBB327_10
; %bb.5:
	v_mov_b32_e32 v1, 0
	s_mov_b32 s3, 0
	v_mov_b64_e32 v[8:9], v[4:5]
	s_mov_b32 s20, s3
	s_delay_alu instid0(VALU_DEP_2)
	v_sub_nc_u64_e64 v[6:7], v[0:1], s[2:3]
	s_branch .LBB327_7
.LBB327_6:                              ;   in Loop: Header=BB327_7 Depth=1
	s_or_b32 exec_lo, exec_lo, s21
	v_add_nc_u64_e32 v[8:9], s[6:7], v[8:9]
	s_delay_alu instid0(VALU_DEP_1) | instskip(SKIP_1) | instid1(SALU_CYCLE_1)
	v_cmp_le_i64_e32 vcc_lo, s[4:5], v[8:9]
	s_or_b32 s20, vcc_lo, s20
	s_and_not1_b32 exec_lo, exec_lo, s20
	s_cbranch_execz .LBB327_10
.LBB327_7:                              ; =>This Loop Header: Depth=1
                                        ;     Child Loop BB327_9 Depth 2
	s_delay_alu instid0(VALU_DEP_2) | instskip(SKIP_1) | instid1(VALU_DEP_1)
	v_lshlrev_b64_e32 v[10:11], 3, v[8:9]
	s_mov_b32 s21, exec_lo
	v_add_nc_u64_e32 v[12:13], s[10:11], v[10:11]
	v_add_nc_u64_e32 v[10:11], s[8:9], v[10:11]
	global_load_b64 v[14:15], v[12:13], off
	global_load_b64 v[16:17], v[10:11], off
	s_wait_loadcnt 0x1
	s_wait_xcnt 0x0
	v_sub_nc_u64_e64 v[10:11], v[14:15], s[2:3]
	s_wait_loadcnt 0x0
	v_add_nc_u64_e32 v[12:13], v[16:17], v[6:7]
	s_delay_alu instid0(VALU_DEP_1)
	v_cmpx_lt_i64_e64 v[12:13], v[10:11]
	s_cbranch_execz .LBB327_6
; %bb.8:                                ;   in Loop: Header=BB327_7 Depth=1
	s_wait_kmcnt 0x0
	v_lshl_add_u64 v[14:15], v[8:9], 3, s[16:17]
	v_lshl_add_u64 v[16:17], v[12:13], 3, s[12:13]
	;; [unrolled: 1-line block ×3, first 2 shown]
	s_mov_b32 s22, 0
	global_load_b64 v[14:15], v[14:15], off
	s_wait_loadcnt 0x0
	s_wait_xcnt 0x0
	v_mul_f64_e32 v[14:15], v[2:3], v[14:15]
.LBB327_9:                              ;   Parent Loop BB327_7 Depth=1
                                        ; =>  This Inner Loop Header: Depth=2
	global_load_b32 v1, v[18:19], off
	global_load_b64 v[20:21], v[16:17], off
	v_add_nc_u64_e32 v[12:13], 16, v[12:13]
	s_wait_xcnt 0x0
	v_add_nc_u64_e32 v[16:17], 0x80, v[16:17]
	v_add_nc_u64_e32 v[18:19], 64, v[18:19]
	s_delay_alu instid0(VALU_DEP_3)
	v_cmp_ge_i64_e32 vcc_lo, v[12:13], v[10:11]
	s_or_b32 s22, vcc_lo, s22
	s_wait_loadcnt 0x1
	v_cvt_f64_f32_e32 v[22:23], v1
	s_wait_loadcnt 0x0
	v_sub_nc_u64_e64 v[20:21], v[20:21], s[2:3]
	s_delay_alu instid0(VALU_DEP_1) | instskip(NEXT) | instid1(VALU_DEP_3)
	v_lshl_add_u64 v[20:21], v[20:21], 3, s[18:19]
	v_mul_f64_e32 v[22:23], v[14:15], v[22:23]
	global_atomic_add_f64 v[20:21], v[22:23], off scope:SCOPE_DEV
	s_wait_xcnt 0x0
	s_and_not1_b32 exec_lo, exec_lo, s22
	s_cbranch_execnz .LBB327_9
	s_branch .LBB327_6
.LBB327_10:
	s_or_b32 exec_lo, exec_lo, s1
	s_mov_b32 s1, 0
.LBB327_11:
	s_delay_alu instid0(SALU_CYCLE_1)
	s_and_not1_b32 vcc_lo, exec_lo, s1
	s_cbranch_vccnz .LBB327_20
; %bb.12:
	s_and_b32 exec_lo, exec_lo, s0
	s_cbranch_execz .LBB327_20
; %bb.13:
	v_mov_b32_e32 v1, 0
	s_mov_b32 s3, 0
	s_delay_alu instid0(SALU_CYCLE_1) | instskip(NEXT) | instid1(VALU_DEP_1)
	s_mov_b32 s0, s3
	v_sub_nc_u64_e64 v[0:1], v[0:1], s[2:3]
	s_branch .LBB327_15
.LBB327_14:                             ;   in Loop: Header=BB327_15 Depth=1
	s_or_b32 exec_lo, exec_lo, s1
	v_add_nc_u64_e32 v[4:5], s[6:7], v[4:5]
	s_delay_alu instid0(VALU_DEP_1) | instskip(SKIP_1) | instid1(SALU_CYCLE_1)
	v_cmp_le_i64_e32 vcc_lo, s[4:5], v[4:5]
	s_or_b32 s0, vcc_lo, s0
	s_and_not1_b32 exec_lo, exec_lo, s0
	s_cbranch_execz .LBB327_20
.LBB327_15:                             ; =>This Loop Header: Depth=1
                                        ;     Child Loop BB327_18 Depth 2
	v_lshlrev_b64_e32 v[6:7], 3, v[4:5]
	s_mov_b32 s1, exec_lo
	s_delay_alu instid0(VALU_DEP_1)
	v_add_nc_u64_e32 v[8:9], s[10:11], v[6:7]
	v_add_nc_u64_e32 v[6:7], s[8:9], v[6:7]
	global_load_b64 v[10:11], v[8:9], off
	global_load_b64 v[12:13], v[6:7], off
	s_wait_loadcnt 0x1
	s_wait_xcnt 0x0
	v_sub_nc_u64_e64 v[6:7], v[10:11], s[2:3]
	s_wait_loadcnt 0x0
	v_add_nc_u64_e32 v[8:9], v[12:13], v[0:1]
	s_delay_alu instid0(VALU_DEP_1)
	v_cmpx_lt_i64_e64 v[8:9], v[6:7]
	s_cbranch_execz .LBB327_14
; %bb.16:                               ;   in Loop: Header=BB327_15 Depth=1
	s_wait_kmcnt 0x0
	v_lshl_add_u64 v[10:11], v[4:5], 3, s[16:17]
	v_lshl_add_u64 v[12:13], v[8:9], 3, s[12:13]
	;; [unrolled: 1-line block ×3, first 2 shown]
	s_mov_b32 s20, 0
	global_load_b64 v[10:11], v[10:11], off
	s_wait_loadcnt 0x0
	v_mul_f64_e32 v[10:11], v[2:3], v[10:11]
	s_branch .LBB327_18
.LBB327_17:                             ;   in Loop: Header=BB327_18 Depth=2
	s_wait_xcnt 0x0
	s_or_b32 exec_lo, exec_lo, s21
	v_add_nc_u64_e32 v[8:9], 16, v[8:9]
	v_add_nc_u64_e32 v[12:13], 0x80, v[12:13]
	;; [unrolled: 1-line block ×3, first 2 shown]
	s_delay_alu instid0(VALU_DEP_3) | instskip(SKIP_1) | instid1(SALU_CYCLE_1)
	v_cmp_ge_i64_e32 vcc_lo, v[8:9], v[6:7]
	s_or_b32 s20, vcc_lo, s20
	s_and_not1_b32 exec_lo, exec_lo, s20
	s_cbranch_execz .LBB327_14
.LBB327_18:                             ;   Parent Loop BB327_15 Depth=1
                                        ; =>  This Inner Loop Header: Depth=2
	global_load_b64 v[16:17], v[12:13], off
	s_mov_b32 s21, exec_lo
	s_wait_loadcnt 0x0
	v_sub_nc_u64_e64 v[16:17], v[16:17], s[2:3]
	s_wait_xcnt 0x0
	s_delay_alu instid0(VALU_DEP_1)
	v_cmpx_ne_u64_e64 v[16:17], v[4:5]
	s_cbranch_execz .LBB327_17
; %bb.19:                               ;   in Loop: Header=BB327_18 Depth=2
	global_load_b32 v18, v[14:15], off
	v_lshl_add_u64 v[16:17], v[16:17], 3, s[18:19]
	s_wait_loadcnt 0x0
	v_cvt_f64_f32_e32 v[18:19], v18
	s_delay_alu instid0(VALU_DEP_1)
	v_mul_f64_e32 v[18:19], v[10:11], v[18:19]
	s_wait_xcnt 0x0
	global_atomic_add_f64 v[16:17], v[18:19], off scope:SCOPE_DEV
	s_branch .LBB327_17
.LBB327_20:
	s_endpgm
	.section	.rodata,"a",@progbits
	.p2align	6, 0x0
	.amdhsa_kernel _ZN9rocsparseL21csrmvt_general_kernelILj256ELj16EllfdddEEvbbT2_NS_24const_host_device_scalarIT6_EEPKT1_S7_PKS1_PKT3_PKT4_PT5_21rocsparse_index_base_b
		.amdhsa_group_segment_fixed_size 0
		.amdhsa_private_segment_fixed_size 0
		.amdhsa_kernarg_size 336
		.amdhsa_user_sgpr_count 2
		.amdhsa_user_sgpr_dispatch_ptr 0
		.amdhsa_user_sgpr_queue_ptr 0
		.amdhsa_user_sgpr_kernarg_segment_ptr 1
		.amdhsa_user_sgpr_dispatch_id 0
		.amdhsa_user_sgpr_kernarg_preload_length 0
		.amdhsa_user_sgpr_kernarg_preload_offset 0
		.amdhsa_user_sgpr_private_segment_size 0
		.amdhsa_wavefront_size32 1
		.amdhsa_uses_dynamic_stack 0
		.amdhsa_enable_private_segment 0
		.amdhsa_system_sgpr_workgroup_id_x 1
		.amdhsa_system_sgpr_workgroup_id_y 0
		.amdhsa_system_sgpr_workgroup_id_z 0
		.amdhsa_system_sgpr_workgroup_info 0
		.amdhsa_system_vgpr_workitem_id 0
		.amdhsa_next_free_vgpr 24
		.amdhsa_next_free_sgpr 23
		.amdhsa_named_barrier_count 0
		.amdhsa_reserve_vcc 1
		.amdhsa_float_round_mode_32 0
		.amdhsa_float_round_mode_16_64 0
		.amdhsa_float_denorm_mode_32 3
		.amdhsa_float_denorm_mode_16_64 3
		.amdhsa_fp16_overflow 0
		.amdhsa_memory_ordered 1
		.amdhsa_forward_progress 1
		.amdhsa_inst_pref_size 8
		.amdhsa_round_robin_scheduling 0
		.amdhsa_exception_fp_ieee_invalid_op 0
		.amdhsa_exception_fp_denorm_src 0
		.amdhsa_exception_fp_ieee_div_zero 0
		.amdhsa_exception_fp_ieee_overflow 0
		.amdhsa_exception_fp_ieee_underflow 0
		.amdhsa_exception_fp_ieee_inexact 0
		.amdhsa_exception_int_div_zero 0
	.end_amdhsa_kernel
	.section	.text._ZN9rocsparseL21csrmvt_general_kernelILj256ELj16EllfdddEEvbbT2_NS_24const_host_device_scalarIT6_EEPKT1_S7_PKS1_PKT3_PKT4_PT5_21rocsparse_index_base_b,"axG",@progbits,_ZN9rocsparseL21csrmvt_general_kernelILj256ELj16EllfdddEEvbbT2_NS_24const_host_device_scalarIT6_EEPKT1_S7_PKS1_PKT3_PKT4_PT5_21rocsparse_index_base_b,comdat
.Lfunc_end327:
	.size	_ZN9rocsparseL21csrmvt_general_kernelILj256ELj16EllfdddEEvbbT2_NS_24const_host_device_scalarIT6_EEPKT1_S7_PKS1_PKT3_PKT4_PT5_21rocsparse_index_base_b, .Lfunc_end327-_ZN9rocsparseL21csrmvt_general_kernelILj256ELj16EllfdddEEvbbT2_NS_24const_host_device_scalarIT6_EEPKT1_S7_PKS1_PKT3_PKT4_PT5_21rocsparse_index_base_b
                                        ; -- End function
	.set _ZN9rocsparseL21csrmvt_general_kernelILj256ELj16EllfdddEEvbbT2_NS_24const_host_device_scalarIT6_EEPKT1_S7_PKS1_PKT3_PKT4_PT5_21rocsparse_index_base_b.num_vgpr, 24
	.set _ZN9rocsparseL21csrmvt_general_kernelILj256ELj16EllfdddEEvbbT2_NS_24const_host_device_scalarIT6_EEPKT1_S7_PKS1_PKT3_PKT4_PT5_21rocsparse_index_base_b.num_agpr, 0
	.set _ZN9rocsparseL21csrmvt_general_kernelILj256ELj16EllfdddEEvbbT2_NS_24const_host_device_scalarIT6_EEPKT1_S7_PKS1_PKT3_PKT4_PT5_21rocsparse_index_base_b.numbered_sgpr, 23
	.set _ZN9rocsparseL21csrmvt_general_kernelILj256ELj16EllfdddEEvbbT2_NS_24const_host_device_scalarIT6_EEPKT1_S7_PKS1_PKT3_PKT4_PT5_21rocsparse_index_base_b.num_named_barrier, 0
	.set _ZN9rocsparseL21csrmvt_general_kernelILj256ELj16EllfdddEEvbbT2_NS_24const_host_device_scalarIT6_EEPKT1_S7_PKS1_PKT3_PKT4_PT5_21rocsparse_index_base_b.private_seg_size, 0
	.set _ZN9rocsparseL21csrmvt_general_kernelILj256ELj16EllfdddEEvbbT2_NS_24const_host_device_scalarIT6_EEPKT1_S7_PKS1_PKT3_PKT4_PT5_21rocsparse_index_base_b.uses_vcc, 1
	.set _ZN9rocsparseL21csrmvt_general_kernelILj256ELj16EllfdddEEvbbT2_NS_24const_host_device_scalarIT6_EEPKT1_S7_PKS1_PKT3_PKT4_PT5_21rocsparse_index_base_b.uses_flat_scratch, 0
	.set _ZN9rocsparseL21csrmvt_general_kernelILj256ELj16EllfdddEEvbbT2_NS_24const_host_device_scalarIT6_EEPKT1_S7_PKS1_PKT3_PKT4_PT5_21rocsparse_index_base_b.has_dyn_sized_stack, 0
	.set _ZN9rocsparseL21csrmvt_general_kernelILj256ELj16EllfdddEEvbbT2_NS_24const_host_device_scalarIT6_EEPKT1_S7_PKS1_PKT3_PKT4_PT5_21rocsparse_index_base_b.has_recursion, 0
	.set _ZN9rocsparseL21csrmvt_general_kernelILj256ELj16EllfdddEEvbbT2_NS_24const_host_device_scalarIT6_EEPKT1_S7_PKS1_PKT3_PKT4_PT5_21rocsparse_index_base_b.has_indirect_call, 0
	.section	.AMDGPU.csdata,"",@progbits
; Kernel info:
; codeLenInByte = 916
; TotalNumSgprs: 25
; NumVgprs: 24
; ScratchSize: 0
; MemoryBound: 0
; FloatMode: 240
; IeeeMode: 1
; LDSByteSize: 0 bytes/workgroup (compile time only)
; SGPRBlocks: 0
; VGPRBlocks: 1
; NumSGPRsForWavesPerEU: 25
; NumVGPRsForWavesPerEU: 24
; NamedBarCnt: 0
; Occupancy: 16
; WaveLimiterHint : 1
; COMPUTE_PGM_RSRC2:SCRATCH_EN: 0
; COMPUTE_PGM_RSRC2:USER_SGPR: 2
; COMPUTE_PGM_RSRC2:TRAP_HANDLER: 0
; COMPUTE_PGM_RSRC2:TGID_X_EN: 1
; COMPUTE_PGM_RSRC2:TGID_Y_EN: 0
; COMPUTE_PGM_RSRC2:TGID_Z_EN: 0
; COMPUTE_PGM_RSRC2:TIDIG_COMP_CNT: 0
	.section	.text._ZN9rocsparseL21csrmvt_general_kernelILj256ELj32EllfdddEEvbbT2_NS_24const_host_device_scalarIT6_EEPKT1_S7_PKS1_PKT3_PKT4_PT5_21rocsparse_index_base_b,"axG",@progbits,_ZN9rocsparseL21csrmvt_general_kernelILj256ELj32EllfdddEEvbbT2_NS_24const_host_device_scalarIT6_EEPKT1_S7_PKS1_PKT3_PKT4_PT5_21rocsparse_index_base_b,comdat
	.globl	_ZN9rocsparseL21csrmvt_general_kernelILj256ELj32EllfdddEEvbbT2_NS_24const_host_device_scalarIT6_EEPKT1_S7_PKS1_PKT3_PKT4_PT5_21rocsparse_index_base_b ; -- Begin function _ZN9rocsparseL21csrmvt_general_kernelILj256ELj32EllfdddEEvbbT2_NS_24const_host_device_scalarIT6_EEPKT1_S7_PKS1_PKT3_PKT4_PT5_21rocsparse_index_base_b
	.p2align	8
	.type	_ZN9rocsparseL21csrmvt_general_kernelILj256ELj32EllfdddEEvbbT2_NS_24const_host_device_scalarIT6_EEPKT1_S7_PKS1_PKT3_PKT4_PT5_21rocsparse_index_base_b,@function
_ZN9rocsparseL21csrmvt_general_kernelILj256ELj32EllfdddEEvbbT2_NS_24const_host_device_scalarIT6_EEPKT1_S7_PKS1_PKT3_PKT4_PT5_21rocsparse_index_base_b: ; @_ZN9rocsparseL21csrmvt_general_kernelILj256ELj32EllfdddEEvbbT2_NS_24const_host_device_scalarIT6_EEPKT1_S7_PKS1_PKT3_PKT4_PT5_21rocsparse_index_base_b
; %bb.0:
	s_clause 0x1
	s_load_b64 s[2:3], s[0:1], 0x48
	s_load_b256 s[4:11], s[0:1], 0x8
	s_wait_kmcnt 0x0
	s_bitcmp1_b32 s3, 0
	v_mov_b64_e32 v[2:3], s[6:7]
	s_cselect_b32 s3, -1, 0
	s_delay_alu instid0(SALU_CYCLE_1)
	s_and_b32 vcc_lo, exec_lo, s3
	s_cbranch_vccnz .LBB328_2
; %bb.1:
	v_mov_b32_e32 v1, 0
	flat_load_b64 v[2:3], v1, s[6:7]
.LBB328_2:
	s_mov_b32 s3, exec_lo
	s_wait_loadcnt_dscnt 0x0
	s_delay_alu instid0(VALU_DEP_1)
	v_cmpx_neq_f64_e32 0, v[2:3]
	s_cbranch_execz .LBB328_20
; %bb.3:
	s_clause 0x1
	s_load_b32 s3, s[0:1], 0x0
	s_load_b32 s6, s[0:1], 0x50
	s_bfe_u32 s7, ttmp6, 0x4000c
	s_and_b32 s12, ttmp6, 15
	s_add_co_i32 s7, s7, 1
	s_getreg_b32 s13, hwreg(HW_REG_IB_STS2, 6, 4)
	s_mul_i32 s7, ttmp9, s7
	v_mov_b32_e32 v5, 0
	s_add_co_i32 s7, s12, s7
	s_wait_kmcnt 0x0
	s_and_b32 s3, s3, 1
	s_lshl_b32 s6, s6, 3
	s_cmp_eq_u32 s13, 0
	s_load_b256 s[12:19], s[0:1], 0x28
	s_wait_xcnt 0x0
	s_cselect_b32 s0, ttmp9, s7
	s_mov_b32 s7, 0
	v_lshl_or_b32 v1, s0, 8, v0
	v_and_b32_e32 v0, 31, v0
	s_cmp_eq_u32 s3, 0
	s_mov_b32 s1, -1
	s_delay_alu instid0(VALU_DEP_2) | instskip(NEXT) | instid1(VALU_DEP_1)
	v_lshrrev_b32_e32 v4, 5, v1
	v_cmp_gt_i64_e64 s0, s[4:5], v[4:5]
	s_cbranch_scc0 .LBB328_11
; %bb.4:
	s_and_saveexec_b32 s1, s0
	s_cbranch_execz .LBB328_10
; %bb.5:
	v_mov_b32_e32 v1, 0
	s_mov_b32 s3, 0
	v_mov_b64_e32 v[8:9], v[4:5]
	s_mov_b32 s20, s3
	s_delay_alu instid0(VALU_DEP_2)
	v_sub_nc_u64_e64 v[6:7], v[0:1], s[2:3]
	s_branch .LBB328_7
.LBB328_6:                              ;   in Loop: Header=BB328_7 Depth=1
	s_or_b32 exec_lo, exec_lo, s21
	v_add_nc_u64_e32 v[8:9], s[6:7], v[8:9]
	s_delay_alu instid0(VALU_DEP_1) | instskip(SKIP_1) | instid1(SALU_CYCLE_1)
	v_cmp_le_i64_e32 vcc_lo, s[4:5], v[8:9]
	s_or_b32 s20, vcc_lo, s20
	s_and_not1_b32 exec_lo, exec_lo, s20
	s_cbranch_execz .LBB328_10
.LBB328_7:                              ; =>This Loop Header: Depth=1
                                        ;     Child Loop BB328_9 Depth 2
	s_delay_alu instid0(VALU_DEP_2) | instskip(SKIP_1) | instid1(VALU_DEP_1)
	v_lshlrev_b64_e32 v[10:11], 3, v[8:9]
	s_mov_b32 s21, exec_lo
	v_add_nc_u64_e32 v[12:13], s[10:11], v[10:11]
	v_add_nc_u64_e32 v[10:11], s[8:9], v[10:11]
	global_load_b64 v[14:15], v[12:13], off
	global_load_b64 v[16:17], v[10:11], off
	s_wait_loadcnt 0x1
	s_wait_xcnt 0x0
	v_sub_nc_u64_e64 v[10:11], v[14:15], s[2:3]
	s_wait_loadcnt 0x0
	v_add_nc_u64_e32 v[12:13], v[16:17], v[6:7]
	s_delay_alu instid0(VALU_DEP_1)
	v_cmpx_lt_i64_e64 v[12:13], v[10:11]
	s_cbranch_execz .LBB328_6
; %bb.8:                                ;   in Loop: Header=BB328_7 Depth=1
	s_wait_kmcnt 0x0
	v_lshl_add_u64 v[14:15], v[8:9], 3, s[16:17]
	v_lshl_add_u64 v[16:17], v[12:13], 3, s[12:13]
	;; [unrolled: 1-line block ×3, first 2 shown]
	s_mov_b32 s22, 0
	global_load_b64 v[14:15], v[14:15], off
	s_wait_loadcnt 0x0
	s_wait_xcnt 0x0
	v_mul_f64_e32 v[14:15], v[2:3], v[14:15]
.LBB328_9:                              ;   Parent Loop BB328_7 Depth=1
                                        ; =>  This Inner Loop Header: Depth=2
	global_load_b32 v1, v[18:19], off
	global_load_b64 v[20:21], v[16:17], off
	v_add_nc_u64_e32 v[12:13], 32, v[12:13]
	s_wait_xcnt 0x0
	v_add_nc_u64_e32 v[16:17], 0x100, v[16:17]
	v_add_nc_u64_e32 v[18:19], 0x80, v[18:19]
	s_delay_alu instid0(VALU_DEP_3)
	v_cmp_ge_i64_e32 vcc_lo, v[12:13], v[10:11]
	s_or_b32 s22, vcc_lo, s22
	s_wait_loadcnt 0x1
	v_cvt_f64_f32_e32 v[22:23], v1
	s_wait_loadcnt 0x0
	v_sub_nc_u64_e64 v[20:21], v[20:21], s[2:3]
	s_delay_alu instid0(VALU_DEP_1) | instskip(NEXT) | instid1(VALU_DEP_3)
	v_lshl_add_u64 v[20:21], v[20:21], 3, s[18:19]
	v_mul_f64_e32 v[22:23], v[14:15], v[22:23]
	global_atomic_add_f64 v[20:21], v[22:23], off scope:SCOPE_DEV
	s_wait_xcnt 0x0
	s_and_not1_b32 exec_lo, exec_lo, s22
	s_cbranch_execnz .LBB328_9
	s_branch .LBB328_6
.LBB328_10:
	s_or_b32 exec_lo, exec_lo, s1
	s_mov_b32 s1, 0
.LBB328_11:
	s_delay_alu instid0(SALU_CYCLE_1)
	s_and_not1_b32 vcc_lo, exec_lo, s1
	s_cbranch_vccnz .LBB328_20
; %bb.12:
	s_and_b32 exec_lo, exec_lo, s0
	s_cbranch_execz .LBB328_20
; %bb.13:
	v_mov_b32_e32 v1, 0
	s_mov_b32 s3, 0
	s_delay_alu instid0(SALU_CYCLE_1) | instskip(NEXT) | instid1(VALU_DEP_1)
	s_mov_b32 s0, s3
	v_sub_nc_u64_e64 v[0:1], v[0:1], s[2:3]
	s_branch .LBB328_15
.LBB328_14:                             ;   in Loop: Header=BB328_15 Depth=1
	s_or_b32 exec_lo, exec_lo, s1
	v_add_nc_u64_e32 v[4:5], s[6:7], v[4:5]
	s_delay_alu instid0(VALU_DEP_1) | instskip(SKIP_1) | instid1(SALU_CYCLE_1)
	v_cmp_le_i64_e32 vcc_lo, s[4:5], v[4:5]
	s_or_b32 s0, vcc_lo, s0
	s_and_not1_b32 exec_lo, exec_lo, s0
	s_cbranch_execz .LBB328_20
.LBB328_15:                             ; =>This Loop Header: Depth=1
                                        ;     Child Loop BB328_18 Depth 2
	v_lshlrev_b64_e32 v[6:7], 3, v[4:5]
	s_mov_b32 s1, exec_lo
	s_delay_alu instid0(VALU_DEP_1)
	v_add_nc_u64_e32 v[8:9], s[10:11], v[6:7]
	v_add_nc_u64_e32 v[6:7], s[8:9], v[6:7]
	global_load_b64 v[10:11], v[8:9], off
	global_load_b64 v[12:13], v[6:7], off
	s_wait_loadcnt 0x1
	s_wait_xcnt 0x0
	v_sub_nc_u64_e64 v[6:7], v[10:11], s[2:3]
	s_wait_loadcnt 0x0
	v_add_nc_u64_e32 v[8:9], v[12:13], v[0:1]
	s_delay_alu instid0(VALU_DEP_1)
	v_cmpx_lt_i64_e64 v[8:9], v[6:7]
	s_cbranch_execz .LBB328_14
; %bb.16:                               ;   in Loop: Header=BB328_15 Depth=1
	s_wait_kmcnt 0x0
	v_lshl_add_u64 v[10:11], v[4:5], 3, s[16:17]
	v_lshl_add_u64 v[12:13], v[8:9], 3, s[12:13]
	;; [unrolled: 1-line block ×3, first 2 shown]
	s_mov_b32 s20, 0
	global_load_b64 v[10:11], v[10:11], off
	s_wait_loadcnt 0x0
	v_mul_f64_e32 v[10:11], v[2:3], v[10:11]
	s_branch .LBB328_18
.LBB328_17:                             ;   in Loop: Header=BB328_18 Depth=2
	s_wait_xcnt 0x0
	s_or_b32 exec_lo, exec_lo, s21
	v_add_nc_u64_e32 v[8:9], 32, v[8:9]
	v_add_nc_u64_e32 v[12:13], 0x100, v[12:13]
	;; [unrolled: 1-line block ×3, first 2 shown]
	s_delay_alu instid0(VALU_DEP_3) | instskip(SKIP_1) | instid1(SALU_CYCLE_1)
	v_cmp_ge_i64_e32 vcc_lo, v[8:9], v[6:7]
	s_or_b32 s20, vcc_lo, s20
	s_and_not1_b32 exec_lo, exec_lo, s20
	s_cbranch_execz .LBB328_14
.LBB328_18:                             ;   Parent Loop BB328_15 Depth=1
                                        ; =>  This Inner Loop Header: Depth=2
	global_load_b64 v[16:17], v[12:13], off
	s_mov_b32 s21, exec_lo
	s_wait_loadcnt 0x0
	v_sub_nc_u64_e64 v[16:17], v[16:17], s[2:3]
	s_wait_xcnt 0x0
	s_delay_alu instid0(VALU_DEP_1)
	v_cmpx_ne_u64_e64 v[16:17], v[4:5]
	s_cbranch_execz .LBB328_17
; %bb.19:                               ;   in Loop: Header=BB328_18 Depth=2
	global_load_b32 v18, v[14:15], off
	v_lshl_add_u64 v[16:17], v[16:17], 3, s[18:19]
	s_wait_loadcnt 0x0
	v_cvt_f64_f32_e32 v[18:19], v18
	s_delay_alu instid0(VALU_DEP_1)
	v_mul_f64_e32 v[18:19], v[10:11], v[18:19]
	s_wait_xcnt 0x0
	global_atomic_add_f64 v[16:17], v[18:19], off scope:SCOPE_DEV
	s_branch .LBB328_17
.LBB328_20:
	s_endpgm
	.section	.rodata,"a",@progbits
	.p2align	6, 0x0
	.amdhsa_kernel _ZN9rocsparseL21csrmvt_general_kernelILj256ELj32EllfdddEEvbbT2_NS_24const_host_device_scalarIT6_EEPKT1_S7_PKS1_PKT3_PKT4_PT5_21rocsparse_index_base_b
		.amdhsa_group_segment_fixed_size 0
		.amdhsa_private_segment_fixed_size 0
		.amdhsa_kernarg_size 336
		.amdhsa_user_sgpr_count 2
		.amdhsa_user_sgpr_dispatch_ptr 0
		.amdhsa_user_sgpr_queue_ptr 0
		.amdhsa_user_sgpr_kernarg_segment_ptr 1
		.amdhsa_user_sgpr_dispatch_id 0
		.amdhsa_user_sgpr_kernarg_preload_length 0
		.amdhsa_user_sgpr_kernarg_preload_offset 0
		.amdhsa_user_sgpr_private_segment_size 0
		.amdhsa_wavefront_size32 1
		.amdhsa_uses_dynamic_stack 0
		.amdhsa_enable_private_segment 0
		.amdhsa_system_sgpr_workgroup_id_x 1
		.amdhsa_system_sgpr_workgroup_id_y 0
		.amdhsa_system_sgpr_workgroup_id_z 0
		.amdhsa_system_sgpr_workgroup_info 0
		.amdhsa_system_vgpr_workitem_id 0
		.amdhsa_next_free_vgpr 24
		.amdhsa_next_free_sgpr 23
		.amdhsa_named_barrier_count 0
		.amdhsa_reserve_vcc 1
		.amdhsa_float_round_mode_32 0
		.amdhsa_float_round_mode_16_64 0
		.amdhsa_float_denorm_mode_32 3
		.amdhsa_float_denorm_mode_16_64 3
		.amdhsa_fp16_overflow 0
		.amdhsa_memory_ordered 1
		.amdhsa_forward_progress 1
		.amdhsa_inst_pref_size 8
		.amdhsa_round_robin_scheduling 0
		.amdhsa_exception_fp_ieee_invalid_op 0
		.amdhsa_exception_fp_denorm_src 0
		.amdhsa_exception_fp_ieee_div_zero 0
		.amdhsa_exception_fp_ieee_overflow 0
		.amdhsa_exception_fp_ieee_underflow 0
		.amdhsa_exception_fp_ieee_inexact 0
		.amdhsa_exception_int_div_zero 0
	.end_amdhsa_kernel
	.section	.text._ZN9rocsparseL21csrmvt_general_kernelILj256ELj32EllfdddEEvbbT2_NS_24const_host_device_scalarIT6_EEPKT1_S7_PKS1_PKT3_PKT4_PT5_21rocsparse_index_base_b,"axG",@progbits,_ZN9rocsparseL21csrmvt_general_kernelILj256ELj32EllfdddEEvbbT2_NS_24const_host_device_scalarIT6_EEPKT1_S7_PKS1_PKT3_PKT4_PT5_21rocsparse_index_base_b,comdat
.Lfunc_end328:
	.size	_ZN9rocsparseL21csrmvt_general_kernelILj256ELj32EllfdddEEvbbT2_NS_24const_host_device_scalarIT6_EEPKT1_S7_PKS1_PKT3_PKT4_PT5_21rocsparse_index_base_b, .Lfunc_end328-_ZN9rocsparseL21csrmvt_general_kernelILj256ELj32EllfdddEEvbbT2_NS_24const_host_device_scalarIT6_EEPKT1_S7_PKS1_PKT3_PKT4_PT5_21rocsparse_index_base_b
                                        ; -- End function
	.set _ZN9rocsparseL21csrmvt_general_kernelILj256ELj32EllfdddEEvbbT2_NS_24const_host_device_scalarIT6_EEPKT1_S7_PKS1_PKT3_PKT4_PT5_21rocsparse_index_base_b.num_vgpr, 24
	.set _ZN9rocsparseL21csrmvt_general_kernelILj256ELj32EllfdddEEvbbT2_NS_24const_host_device_scalarIT6_EEPKT1_S7_PKS1_PKT3_PKT4_PT5_21rocsparse_index_base_b.num_agpr, 0
	.set _ZN9rocsparseL21csrmvt_general_kernelILj256ELj32EllfdddEEvbbT2_NS_24const_host_device_scalarIT6_EEPKT1_S7_PKS1_PKT3_PKT4_PT5_21rocsparse_index_base_b.numbered_sgpr, 23
	.set _ZN9rocsparseL21csrmvt_general_kernelILj256ELj32EllfdddEEvbbT2_NS_24const_host_device_scalarIT6_EEPKT1_S7_PKS1_PKT3_PKT4_PT5_21rocsparse_index_base_b.num_named_barrier, 0
	.set _ZN9rocsparseL21csrmvt_general_kernelILj256ELj32EllfdddEEvbbT2_NS_24const_host_device_scalarIT6_EEPKT1_S7_PKS1_PKT3_PKT4_PT5_21rocsparse_index_base_b.private_seg_size, 0
	.set _ZN9rocsparseL21csrmvt_general_kernelILj256ELj32EllfdddEEvbbT2_NS_24const_host_device_scalarIT6_EEPKT1_S7_PKS1_PKT3_PKT4_PT5_21rocsparse_index_base_b.uses_vcc, 1
	.set _ZN9rocsparseL21csrmvt_general_kernelILj256ELj32EllfdddEEvbbT2_NS_24const_host_device_scalarIT6_EEPKT1_S7_PKS1_PKT3_PKT4_PT5_21rocsparse_index_base_b.uses_flat_scratch, 0
	.set _ZN9rocsparseL21csrmvt_general_kernelILj256ELj32EllfdddEEvbbT2_NS_24const_host_device_scalarIT6_EEPKT1_S7_PKS1_PKT3_PKT4_PT5_21rocsparse_index_base_b.has_dyn_sized_stack, 0
	.set _ZN9rocsparseL21csrmvt_general_kernelILj256ELj32EllfdddEEvbbT2_NS_24const_host_device_scalarIT6_EEPKT1_S7_PKS1_PKT3_PKT4_PT5_21rocsparse_index_base_b.has_recursion, 0
	.set _ZN9rocsparseL21csrmvt_general_kernelILj256ELj32EllfdddEEvbbT2_NS_24const_host_device_scalarIT6_EEPKT1_S7_PKS1_PKT3_PKT4_PT5_21rocsparse_index_base_b.has_indirect_call, 0
	.section	.AMDGPU.csdata,"",@progbits
; Kernel info:
; codeLenInByte = 924
; TotalNumSgprs: 25
; NumVgprs: 24
; ScratchSize: 0
; MemoryBound: 0
; FloatMode: 240
; IeeeMode: 1
; LDSByteSize: 0 bytes/workgroup (compile time only)
; SGPRBlocks: 0
; VGPRBlocks: 1
; NumSGPRsForWavesPerEU: 25
; NumVGPRsForWavesPerEU: 24
; NamedBarCnt: 0
; Occupancy: 16
; WaveLimiterHint : 1
; COMPUTE_PGM_RSRC2:SCRATCH_EN: 0
; COMPUTE_PGM_RSRC2:USER_SGPR: 2
; COMPUTE_PGM_RSRC2:TRAP_HANDLER: 0
; COMPUTE_PGM_RSRC2:TGID_X_EN: 1
; COMPUTE_PGM_RSRC2:TGID_Y_EN: 0
; COMPUTE_PGM_RSRC2:TGID_Z_EN: 0
; COMPUTE_PGM_RSRC2:TIDIG_COMP_CNT: 0
	.section	.text._ZN9rocsparseL21csrmvt_general_kernelILj256ELj64EllfdddEEvbbT2_NS_24const_host_device_scalarIT6_EEPKT1_S7_PKS1_PKT3_PKT4_PT5_21rocsparse_index_base_b,"axG",@progbits,_ZN9rocsparseL21csrmvt_general_kernelILj256ELj64EllfdddEEvbbT2_NS_24const_host_device_scalarIT6_EEPKT1_S7_PKS1_PKT3_PKT4_PT5_21rocsparse_index_base_b,comdat
	.globl	_ZN9rocsparseL21csrmvt_general_kernelILj256ELj64EllfdddEEvbbT2_NS_24const_host_device_scalarIT6_EEPKT1_S7_PKS1_PKT3_PKT4_PT5_21rocsparse_index_base_b ; -- Begin function _ZN9rocsparseL21csrmvt_general_kernelILj256ELj64EllfdddEEvbbT2_NS_24const_host_device_scalarIT6_EEPKT1_S7_PKS1_PKT3_PKT4_PT5_21rocsparse_index_base_b
	.p2align	8
	.type	_ZN9rocsparseL21csrmvt_general_kernelILj256ELj64EllfdddEEvbbT2_NS_24const_host_device_scalarIT6_EEPKT1_S7_PKS1_PKT3_PKT4_PT5_21rocsparse_index_base_b,@function
_ZN9rocsparseL21csrmvt_general_kernelILj256ELj64EllfdddEEvbbT2_NS_24const_host_device_scalarIT6_EEPKT1_S7_PKS1_PKT3_PKT4_PT5_21rocsparse_index_base_b: ; @_ZN9rocsparseL21csrmvt_general_kernelILj256ELj64EllfdddEEvbbT2_NS_24const_host_device_scalarIT6_EEPKT1_S7_PKS1_PKT3_PKT4_PT5_21rocsparse_index_base_b
; %bb.0:
	s_clause 0x1
	s_load_b64 s[2:3], s[0:1], 0x48
	s_load_b256 s[4:11], s[0:1], 0x8
	s_wait_kmcnt 0x0
	s_bitcmp1_b32 s3, 0
	v_mov_b64_e32 v[2:3], s[6:7]
	s_cselect_b32 s3, -1, 0
	s_delay_alu instid0(SALU_CYCLE_1)
	s_and_b32 vcc_lo, exec_lo, s3
	s_cbranch_vccnz .LBB329_2
; %bb.1:
	v_mov_b32_e32 v1, 0
	flat_load_b64 v[2:3], v1, s[6:7]
.LBB329_2:
	s_mov_b32 s3, exec_lo
	s_wait_loadcnt_dscnt 0x0
	s_delay_alu instid0(VALU_DEP_1)
	v_cmpx_neq_f64_e32 0, v[2:3]
	s_cbranch_execz .LBB329_20
; %bb.3:
	s_clause 0x1
	s_load_b32 s3, s[0:1], 0x0
	s_load_b32 s6, s[0:1], 0x50
	s_bfe_u32 s7, ttmp6, 0x4000c
	s_and_b32 s12, ttmp6, 15
	s_add_co_i32 s7, s7, 1
	s_getreg_b32 s13, hwreg(HW_REG_IB_STS2, 6, 4)
	s_mul_i32 s7, ttmp9, s7
	v_mov_b32_e32 v5, 0
	s_add_co_i32 s7, s12, s7
	s_wait_kmcnt 0x0
	s_and_b32 s3, s3, 1
	s_lshl_b32 s6, s6, 2
	s_cmp_eq_u32 s13, 0
	s_load_b256 s[12:19], s[0:1], 0x28
	s_wait_xcnt 0x0
	s_cselect_b32 s0, ttmp9, s7
	s_mov_b32 s7, 0
	v_lshl_or_b32 v1, s0, 8, v0
	v_and_b32_e32 v0, 63, v0
	s_cmp_eq_u32 s3, 0
	s_mov_b32 s1, -1
	s_delay_alu instid0(VALU_DEP_2) | instskip(NEXT) | instid1(VALU_DEP_1)
	v_lshrrev_b32_e32 v4, 6, v1
	v_cmp_gt_i64_e64 s0, s[4:5], v[4:5]
	s_cbranch_scc0 .LBB329_11
; %bb.4:
	s_and_saveexec_b32 s1, s0
	s_cbranch_execz .LBB329_10
; %bb.5:
	v_mov_b32_e32 v1, 0
	s_mov_b32 s3, 0
	v_mov_b64_e32 v[8:9], v[4:5]
	s_mov_b32 s20, s3
	s_delay_alu instid0(VALU_DEP_2)
	v_sub_nc_u64_e64 v[6:7], v[0:1], s[2:3]
	s_branch .LBB329_7
.LBB329_6:                              ;   in Loop: Header=BB329_7 Depth=1
	s_or_b32 exec_lo, exec_lo, s21
	v_add_nc_u64_e32 v[8:9], s[6:7], v[8:9]
	s_delay_alu instid0(VALU_DEP_1) | instskip(SKIP_1) | instid1(SALU_CYCLE_1)
	v_cmp_le_i64_e32 vcc_lo, s[4:5], v[8:9]
	s_or_b32 s20, vcc_lo, s20
	s_and_not1_b32 exec_lo, exec_lo, s20
	s_cbranch_execz .LBB329_10
.LBB329_7:                              ; =>This Loop Header: Depth=1
                                        ;     Child Loop BB329_9 Depth 2
	s_delay_alu instid0(VALU_DEP_2) | instskip(SKIP_1) | instid1(VALU_DEP_1)
	v_lshlrev_b64_e32 v[10:11], 3, v[8:9]
	s_mov_b32 s21, exec_lo
	v_add_nc_u64_e32 v[12:13], s[10:11], v[10:11]
	v_add_nc_u64_e32 v[10:11], s[8:9], v[10:11]
	global_load_b64 v[14:15], v[12:13], off
	global_load_b64 v[16:17], v[10:11], off
	s_wait_loadcnt 0x1
	s_wait_xcnt 0x0
	v_sub_nc_u64_e64 v[10:11], v[14:15], s[2:3]
	s_wait_loadcnt 0x0
	v_add_nc_u64_e32 v[12:13], v[16:17], v[6:7]
	s_delay_alu instid0(VALU_DEP_1)
	v_cmpx_lt_i64_e64 v[12:13], v[10:11]
	s_cbranch_execz .LBB329_6
; %bb.8:                                ;   in Loop: Header=BB329_7 Depth=1
	s_wait_kmcnt 0x0
	v_lshl_add_u64 v[14:15], v[8:9], 3, s[16:17]
	v_lshl_add_u64 v[16:17], v[12:13], 3, s[12:13]
	;; [unrolled: 1-line block ×3, first 2 shown]
	s_mov_b32 s22, 0
	global_load_b64 v[14:15], v[14:15], off
	s_wait_loadcnt 0x0
	s_wait_xcnt 0x0
	v_mul_f64_e32 v[14:15], v[2:3], v[14:15]
.LBB329_9:                              ;   Parent Loop BB329_7 Depth=1
                                        ; =>  This Inner Loop Header: Depth=2
	global_load_b32 v1, v[18:19], off
	global_load_b64 v[20:21], v[16:17], off
	v_add_nc_u64_e32 v[12:13], 64, v[12:13]
	s_wait_xcnt 0x0
	v_add_nc_u64_e32 v[16:17], 0x200, v[16:17]
	v_add_nc_u64_e32 v[18:19], 0x100, v[18:19]
	s_delay_alu instid0(VALU_DEP_3)
	v_cmp_ge_i64_e32 vcc_lo, v[12:13], v[10:11]
	s_or_b32 s22, vcc_lo, s22
	s_wait_loadcnt 0x1
	v_cvt_f64_f32_e32 v[22:23], v1
	s_wait_loadcnt 0x0
	v_sub_nc_u64_e64 v[20:21], v[20:21], s[2:3]
	s_delay_alu instid0(VALU_DEP_1) | instskip(NEXT) | instid1(VALU_DEP_3)
	v_lshl_add_u64 v[20:21], v[20:21], 3, s[18:19]
	v_mul_f64_e32 v[22:23], v[14:15], v[22:23]
	global_atomic_add_f64 v[20:21], v[22:23], off scope:SCOPE_DEV
	s_wait_xcnt 0x0
	s_and_not1_b32 exec_lo, exec_lo, s22
	s_cbranch_execnz .LBB329_9
	s_branch .LBB329_6
.LBB329_10:
	s_or_b32 exec_lo, exec_lo, s1
	s_mov_b32 s1, 0
.LBB329_11:
	s_delay_alu instid0(SALU_CYCLE_1)
	s_and_not1_b32 vcc_lo, exec_lo, s1
	s_cbranch_vccnz .LBB329_20
; %bb.12:
	s_and_b32 exec_lo, exec_lo, s0
	s_cbranch_execz .LBB329_20
; %bb.13:
	v_mov_b32_e32 v1, 0
	s_mov_b32 s3, 0
	s_delay_alu instid0(SALU_CYCLE_1) | instskip(NEXT) | instid1(VALU_DEP_1)
	s_mov_b32 s0, s3
	v_sub_nc_u64_e64 v[0:1], v[0:1], s[2:3]
	s_branch .LBB329_15
.LBB329_14:                             ;   in Loop: Header=BB329_15 Depth=1
	s_or_b32 exec_lo, exec_lo, s1
	v_add_nc_u64_e32 v[4:5], s[6:7], v[4:5]
	s_delay_alu instid0(VALU_DEP_1) | instskip(SKIP_1) | instid1(SALU_CYCLE_1)
	v_cmp_le_i64_e32 vcc_lo, s[4:5], v[4:5]
	s_or_b32 s0, vcc_lo, s0
	s_and_not1_b32 exec_lo, exec_lo, s0
	s_cbranch_execz .LBB329_20
.LBB329_15:                             ; =>This Loop Header: Depth=1
                                        ;     Child Loop BB329_18 Depth 2
	v_lshlrev_b64_e32 v[6:7], 3, v[4:5]
	s_mov_b32 s1, exec_lo
	s_delay_alu instid0(VALU_DEP_1)
	v_add_nc_u64_e32 v[8:9], s[10:11], v[6:7]
	v_add_nc_u64_e32 v[6:7], s[8:9], v[6:7]
	global_load_b64 v[10:11], v[8:9], off
	global_load_b64 v[12:13], v[6:7], off
	s_wait_loadcnt 0x1
	s_wait_xcnt 0x0
	v_sub_nc_u64_e64 v[6:7], v[10:11], s[2:3]
	s_wait_loadcnt 0x0
	v_add_nc_u64_e32 v[8:9], v[12:13], v[0:1]
	s_delay_alu instid0(VALU_DEP_1)
	v_cmpx_lt_i64_e64 v[8:9], v[6:7]
	s_cbranch_execz .LBB329_14
; %bb.16:                               ;   in Loop: Header=BB329_15 Depth=1
	s_wait_kmcnt 0x0
	v_lshl_add_u64 v[10:11], v[4:5], 3, s[16:17]
	v_lshl_add_u64 v[12:13], v[8:9], 3, s[12:13]
	;; [unrolled: 1-line block ×3, first 2 shown]
	s_mov_b32 s20, 0
	global_load_b64 v[10:11], v[10:11], off
	s_wait_loadcnt 0x0
	v_mul_f64_e32 v[10:11], v[2:3], v[10:11]
	s_branch .LBB329_18
.LBB329_17:                             ;   in Loop: Header=BB329_18 Depth=2
	s_wait_xcnt 0x0
	s_or_b32 exec_lo, exec_lo, s21
	v_add_nc_u64_e32 v[8:9], 64, v[8:9]
	v_add_nc_u64_e32 v[12:13], 0x200, v[12:13]
	;; [unrolled: 1-line block ×3, first 2 shown]
	s_delay_alu instid0(VALU_DEP_3) | instskip(SKIP_1) | instid1(SALU_CYCLE_1)
	v_cmp_ge_i64_e32 vcc_lo, v[8:9], v[6:7]
	s_or_b32 s20, vcc_lo, s20
	s_and_not1_b32 exec_lo, exec_lo, s20
	s_cbranch_execz .LBB329_14
.LBB329_18:                             ;   Parent Loop BB329_15 Depth=1
                                        ; =>  This Inner Loop Header: Depth=2
	global_load_b64 v[16:17], v[12:13], off
	s_mov_b32 s21, exec_lo
	s_wait_loadcnt 0x0
	v_sub_nc_u64_e64 v[16:17], v[16:17], s[2:3]
	s_wait_xcnt 0x0
	s_delay_alu instid0(VALU_DEP_1)
	v_cmpx_ne_u64_e64 v[16:17], v[4:5]
	s_cbranch_execz .LBB329_17
; %bb.19:                               ;   in Loop: Header=BB329_18 Depth=2
	global_load_b32 v18, v[14:15], off
	v_lshl_add_u64 v[16:17], v[16:17], 3, s[18:19]
	s_wait_loadcnt 0x0
	v_cvt_f64_f32_e32 v[18:19], v18
	s_delay_alu instid0(VALU_DEP_1)
	v_mul_f64_e32 v[18:19], v[10:11], v[18:19]
	s_wait_xcnt 0x0
	global_atomic_add_f64 v[16:17], v[18:19], off scope:SCOPE_DEV
	s_branch .LBB329_17
.LBB329_20:
	s_endpgm
	.section	.rodata,"a",@progbits
	.p2align	6, 0x0
	.amdhsa_kernel _ZN9rocsparseL21csrmvt_general_kernelILj256ELj64EllfdddEEvbbT2_NS_24const_host_device_scalarIT6_EEPKT1_S7_PKS1_PKT3_PKT4_PT5_21rocsparse_index_base_b
		.amdhsa_group_segment_fixed_size 0
		.amdhsa_private_segment_fixed_size 0
		.amdhsa_kernarg_size 336
		.amdhsa_user_sgpr_count 2
		.amdhsa_user_sgpr_dispatch_ptr 0
		.amdhsa_user_sgpr_queue_ptr 0
		.amdhsa_user_sgpr_kernarg_segment_ptr 1
		.amdhsa_user_sgpr_dispatch_id 0
		.amdhsa_user_sgpr_kernarg_preload_length 0
		.amdhsa_user_sgpr_kernarg_preload_offset 0
		.amdhsa_user_sgpr_private_segment_size 0
		.amdhsa_wavefront_size32 1
		.amdhsa_uses_dynamic_stack 0
		.amdhsa_enable_private_segment 0
		.amdhsa_system_sgpr_workgroup_id_x 1
		.amdhsa_system_sgpr_workgroup_id_y 0
		.amdhsa_system_sgpr_workgroup_id_z 0
		.amdhsa_system_sgpr_workgroup_info 0
		.amdhsa_system_vgpr_workitem_id 0
		.amdhsa_next_free_vgpr 24
		.amdhsa_next_free_sgpr 23
		.amdhsa_named_barrier_count 0
		.amdhsa_reserve_vcc 1
		.amdhsa_float_round_mode_32 0
		.amdhsa_float_round_mode_16_64 0
		.amdhsa_float_denorm_mode_32 3
		.amdhsa_float_denorm_mode_16_64 3
		.amdhsa_fp16_overflow 0
		.amdhsa_memory_ordered 1
		.amdhsa_forward_progress 1
		.amdhsa_inst_pref_size 8
		.amdhsa_round_robin_scheduling 0
		.amdhsa_exception_fp_ieee_invalid_op 0
		.amdhsa_exception_fp_denorm_src 0
		.amdhsa_exception_fp_ieee_div_zero 0
		.amdhsa_exception_fp_ieee_overflow 0
		.amdhsa_exception_fp_ieee_underflow 0
		.amdhsa_exception_fp_ieee_inexact 0
		.amdhsa_exception_int_div_zero 0
	.end_amdhsa_kernel
	.section	.text._ZN9rocsparseL21csrmvt_general_kernelILj256ELj64EllfdddEEvbbT2_NS_24const_host_device_scalarIT6_EEPKT1_S7_PKS1_PKT3_PKT4_PT5_21rocsparse_index_base_b,"axG",@progbits,_ZN9rocsparseL21csrmvt_general_kernelILj256ELj64EllfdddEEvbbT2_NS_24const_host_device_scalarIT6_EEPKT1_S7_PKS1_PKT3_PKT4_PT5_21rocsparse_index_base_b,comdat
.Lfunc_end329:
	.size	_ZN9rocsparseL21csrmvt_general_kernelILj256ELj64EllfdddEEvbbT2_NS_24const_host_device_scalarIT6_EEPKT1_S7_PKS1_PKT3_PKT4_PT5_21rocsparse_index_base_b, .Lfunc_end329-_ZN9rocsparseL21csrmvt_general_kernelILj256ELj64EllfdddEEvbbT2_NS_24const_host_device_scalarIT6_EEPKT1_S7_PKS1_PKT3_PKT4_PT5_21rocsparse_index_base_b
                                        ; -- End function
	.set _ZN9rocsparseL21csrmvt_general_kernelILj256ELj64EllfdddEEvbbT2_NS_24const_host_device_scalarIT6_EEPKT1_S7_PKS1_PKT3_PKT4_PT5_21rocsparse_index_base_b.num_vgpr, 24
	.set _ZN9rocsparseL21csrmvt_general_kernelILj256ELj64EllfdddEEvbbT2_NS_24const_host_device_scalarIT6_EEPKT1_S7_PKS1_PKT3_PKT4_PT5_21rocsparse_index_base_b.num_agpr, 0
	.set _ZN9rocsparseL21csrmvt_general_kernelILj256ELj64EllfdddEEvbbT2_NS_24const_host_device_scalarIT6_EEPKT1_S7_PKS1_PKT3_PKT4_PT5_21rocsparse_index_base_b.numbered_sgpr, 23
	.set _ZN9rocsparseL21csrmvt_general_kernelILj256ELj64EllfdddEEvbbT2_NS_24const_host_device_scalarIT6_EEPKT1_S7_PKS1_PKT3_PKT4_PT5_21rocsparse_index_base_b.num_named_barrier, 0
	.set _ZN9rocsparseL21csrmvt_general_kernelILj256ELj64EllfdddEEvbbT2_NS_24const_host_device_scalarIT6_EEPKT1_S7_PKS1_PKT3_PKT4_PT5_21rocsparse_index_base_b.private_seg_size, 0
	.set _ZN9rocsparseL21csrmvt_general_kernelILj256ELj64EllfdddEEvbbT2_NS_24const_host_device_scalarIT6_EEPKT1_S7_PKS1_PKT3_PKT4_PT5_21rocsparse_index_base_b.uses_vcc, 1
	.set _ZN9rocsparseL21csrmvt_general_kernelILj256ELj64EllfdddEEvbbT2_NS_24const_host_device_scalarIT6_EEPKT1_S7_PKS1_PKT3_PKT4_PT5_21rocsparse_index_base_b.uses_flat_scratch, 0
	.set _ZN9rocsparseL21csrmvt_general_kernelILj256ELj64EllfdddEEvbbT2_NS_24const_host_device_scalarIT6_EEPKT1_S7_PKS1_PKT3_PKT4_PT5_21rocsparse_index_base_b.has_dyn_sized_stack, 0
	.set _ZN9rocsparseL21csrmvt_general_kernelILj256ELj64EllfdddEEvbbT2_NS_24const_host_device_scalarIT6_EEPKT1_S7_PKS1_PKT3_PKT4_PT5_21rocsparse_index_base_b.has_recursion, 0
	.set _ZN9rocsparseL21csrmvt_general_kernelILj256ELj64EllfdddEEvbbT2_NS_24const_host_device_scalarIT6_EEPKT1_S7_PKS1_PKT3_PKT4_PT5_21rocsparse_index_base_b.has_indirect_call, 0
	.section	.AMDGPU.csdata,"",@progbits
; Kernel info:
; codeLenInByte = 924
; TotalNumSgprs: 25
; NumVgprs: 24
; ScratchSize: 0
; MemoryBound: 0
; FloatMode: 240
; IeeeMode: 1
; LDSByteSize: 0 bytes/workgroup (compile time only)
; SGPRBlocks: 0
; VGPRBlocks: 1
; NumSGPRsForWavesPerEU: 25
; NumVGPRsForWavesPerEU: 24
; NamedBarCnt: 0
; Occupancy: 16
; WaveLimiterHint : 1
; COMPUTE_PGM_RSRC2:SCRATCH_EN: 0
; COMPUTE_PGM_RSRC2:USER_SGPR: 2
; COMPUTE_PGM_RSRC2:TRAP_HANDLER: 0
; COMPUTE_PGM_RSRC2:TGID_X_EN: 1
; COMPUTE_PGM_RSRC2:TGID_Y_EN: 0
; COMPUTE_PGM_RSRC2:TGID_Z_EN: 0
; COMPUTE_PGM_RSRC2:TIDIG_COMP_CNT: 0
	.section	.text._ZN9rocsparseL21csrmvn_general_kernelILj256ELj2Eiid21rocsparse_complex_numIdES2_S2_EEvbT2_NS_24const_host_device_scalarIT6_EEPKT1_S9_PKS3_PKT3_PKT4_S6_PT5_21rocsparse_index_base_b,"axG",@progbits,_ZN9rocsparseL21csrmvn_general_kernelILj256ELj2Eiid21rocsparse_complex_numIdES2_S2_EEvbT2_NS_24const_host_device_scalarIT6_EEPKT1_S9_PKS3_PKT3_PKT4_S6_PT5_21rocsparse_index_base_b,comdat
	.globl	_ZN9rocsparseL21csrmvn_general_kernelILj256ELj2Eiid21rocsparse_complex_numIdES2_S2_EEvbT2_NS_24const_host_device_scalarIT6_EEPKT1_S9_PKS3_PKT3_PKT4_S6_PT5_21rocsparse_index_base_b ; -- Begin function _ZN9rocsparseL21csrmvn_general_kernelILj256ELj2Eiid21rocsparse_complex_numIdES2_S2_EEvbT2_NS_24const_host_device_scalarIT6_EEPKT1_S9_PKS3_PKT3_PKT4_S6_PT5_21rocsparse_index_base_b
	.p2align	8
	.type	_ZN9rocsparseL21csrmvn_general_kernelILj256ELj2Eiid21rocsparse_complex_numIdES2_S2_EEvbT2_NS_24const_host_device_scalarIT6_EEPKT1_S9_PKS3_PKT3_PKT4_S6_PT5_21rocsparse_index_base_b,@function
_ZN9rocsparseL21csrmvn_general_kernelILj256ELj2Eiid21rocsparse_complex_numIdES2_S2_EEvbT2_NS_24const_host_device_scalarIT6_EEPKT1_S9_PKS3_PKT3_PKT4_S6_PT5_21rocsparse_index_base_b: ; @_ZN9rocsparseL21csrmvn_general_kernelILj256ELj2Eiid21rocsparse_complex_numIdES2_S2_EEvbT2_NS_24const_host_device_scalarIT6_EEPKT1_S9_PKS3_PKT3_PKT4_S6_PT5_21rocsparse_index_base_b
; %bb.0:
	s_clause 0x1
	s_load_b64 s[12:13], s[0:1], 0x58
	s_load_b64 s[2:3], s[0:1], 0x8
	v_mov_b32_e32 v1, 0
	s_add_nc_u64 s[4:5], s[0:1], 8
	s_load_b64 s[6:7], s[0:1], 0x40
	s_wait_kmcnt 0x0
	s_bitcmp1_b32 s13, 0
	s_cselect_b32 s3, s5, s3
	s_cselect_b32 s2, s4, s2
	flat_load_b128 v[2:5], v1, s[2:3]
	s_wait_xcnt 0x0
	s_add_nc_u64 s[2:3], s[0:1], 64
	s_delay_alu instid0(SALU_CYCLE_1)
	s_cselect_b32 s3, s3, s7
	s_cselect_b32 s2, s2, s6
	flat_load_b128 v[6:9], v1, s[2:3]
	s_wait_loadcnt_dscnt 0x101
	v_cmp_eq_f64_e32 vcc_lo, 0, v[2:3]
	s_wait_xcnt 0x0
	v_cmp_eq_f64_e64 s2, 0, v[4:5]
	s_and_b32 s4, vcc_lo, s2
	s_mov_b32 s2, -1
	s_and_saveexec_b32 s3, s4
	s_cbranch_execz .LBB330_2
; %bb.1:
	s_wait_loadcnt_dscnt 0x0
	v_cmp_neq_f64_e32 vcc_lo, 1.0, v[6:7]
	v_cmp_neq_f64_e64 s2, 0, v[8:9]
	s_or_b32 s2, vcc_lo, s2
	s_delay_alu instid0(SALU_CYCLE_1)
	s_or_not1_b32 s2, s2, exec_lo
.LBB330_2:
	s_or_b32 exec_lo, exec_lo, s3
	s_and_saveexec_b32 s3, s2
	s_cbranch_execz .LBB330_14
; %bb.3:
	s_bfe_u32 s2, ttmp6, 0x4000c
	s_load_b32 s18, s[0:1], 0x4
	s_add_co_i32 s2, s2, 1
	s_and_b32 s3, ttmp6, 15
	s_mul_i32 s2, ttmp9, s2
	s_getreg_b32 s4, hwreg(HW_REG_IB_STS2, 6, 4)
	s_add_co_i32 s3, s3, s2
	s_cmp_eq_u32 s4, 0
	s_mov_b32 s19, 0
	s_cselect_b32 s2, ttmp9, s3
	s_delay_alu instid0(SALU_CYCLE_1) | instskip(NEXT) | instid1(VALU_DEP_1)
	v_lshl_or_b32 v1, s2, 8, v0
	v_lshrrev_b32_e32 v14, 1, v1
	s_wait_kmcnt 0x0
	s_delay_alu instid0(VALU_DEP_1)
	v_cmp_gt_i32_e32 vcc_lo, s18, v14
	s_and_b32 exec_lo, exec_lo, vcc_lo
	s_cbranch_execz .LBB330_14
; %bb.4:
	s_wait_loadcnt_dscnt 0x0
	v_cmp_neq_f64_e64 s2, 0, v[6:7]
	v_cmp_neq_f64_e64 s3, 0, v[8:9]
	v_mul_f64_e32 v[16:17], 0x80000000, v[4:5]
	v_mbcnt_lo_u32_b32 v1, -1, 0
	v_mul_f64_e32 v[18:19], 0, v[2:3]
	s_clause 0x3
	s_load_b32 s22, s[0:1], 0x60
	s_load_b64 s[16:17], s[0:1], 0x38
	s_load_b64 s[14:15], s[0:1], 0x50
	s_load_b256 s[4:11], s[0:1], 0x18
	s_ashr_i32 s13, s12, 31
	v_xor_b32_e32 v10, 1, v1
	s_lshl_b64 s[20:21], s[12:13], 4
	s_delay_alu instid0(VALU_DEP_1) | instskip(SKIP_1) | instid1(VALU_DEP_1)
	v_cmp_gt_i32_e32 vcc_lo, 32, v10
	v_dual_cndmask_b32 v1, v1, v10, vcc_lo :: v_dual_bitop2_b32 v0, 1, v0 bitop3:0x40
	v_subrev_nc_u32_e32 v22, s12, v0
	v_cmp_eq_u32_e32 vcc_lo, 1, v0
	s_delay_alu instid0(VALU_DEP_3)
	v_lshlrev_b32_e32 v23, 2, v1
	s_wait_kmcnt 0x0
	s_lshl_b32 s1, s22, 7
	s_sub_nc_u64 s[16:17], s[16:17], s[20:21]
	s_or_b32 s2, s2, s3
	s_branch .LBB330_7
.LBB330_5:                              ;   in Loop: Header=BB330_7 Depth=1
	s_wait_xcnt 0x0
	s_or_b32 exec_lo, exec_lo, s3
	global_store_b128 v[0:1], v[10:13], off
.LBB330_6:                              ;   in Loop: Header=BB330_7 Depth=1
	s_wait_xcnt 0x0
	s_or_b32 exec_lo, exec_lo, s0
	v_add_nc_u32_e32 v14, s1, v14
	s_delay_alu instid0(VALU_DEP_1) | instskip(SKIP_1) | instid1(SALU_CYCLE_1)
	v_cmp_le_i32_e64 s0, s18, v14
	s_or_b32 s19, s0, s19
	s_and_not1_b32 exec_lo, exec_lo, s19
	s_cbranch_execz .LBB330_14
.LBB330_7:                              ; =>This Loop Header: Depth=1
                                        ;     Child Loop BB330_9 Depth 2
	s_clause 0x1
	global_load_b32 v0, v14, s[6:7] scale_offset
	global_load_b32 v1, v14, s[4:5] scale_offset
	v_mov_b64_e32 v[10:11], 0
	s_mov_b32 s3, exec_lo
	s_wait_loadcnt_dscnt 0x101
	v_subrev_nc_u32_e32 v12, s12, v0
	s_wait_loadcnt_dscnt 0x0
	v_add_nc_u32_e32 v13, v1, v22
	v_mov_b64_e32 v[0:1], 0
	s_wait_xcnt 0x0
	s_delay_alu instid0(VALU_DEP_2)
	v_cmpx_lt_i32_e64 v13, v12
	s_cbranch_execz .LBB330_11
; %bb.8:                                ;   in Loop: Header=BB330_7 Depth=1
	v_mov_b64_e32 v[0:1], 0
	v_mov_b64_e32 v[10:11], 0
	s_mov_b32 s13, 0
.LBB330_9:                              ;   Parent Loop BB330_7 Depth=1
                                        ; =>  This Inner Loop Header: Depth=2
	s_clause 0x1
	global_load_b32 v15, v13, s[8:9] scale_offset
	global_load_b64 v[20:21], v13, s[10:11] scale_offset
	s_wait_xcnt 0x0
	v_add_nc_u32_e32 v13, 2, v13
	s_delay_alu instid0(VALU_DEP_1)
	v_cmp_ge_i32_e64 s0, v13, v12
	s_or_b32 s13, s0, s13
	s_wait_loadcnt 0x1
	global_load_b128 v[24:27], v15, s[16:17] scale_offset
	s_wait_loadcnt 0x1
	v_fma_f64 v[28:29], v[2:3], v[20:21], v[16:17]
	v_fma_f64 v[20:21], v[4:5], v[20:21], v[18:19]
	s_wait_loadcnt 0x0
	s_delay_alu instid0(VALU_DEP_2) | instskip(NEXT) | instid1(VALU_DEP_2)
	v_fmac_f64_e32 v[10:11], v[28:29], v[24:25]
	v_fmac_f64_e32 v[0:1], v[20:21], v[24:25]
	s_delay_alu instid0(VALU_DEP_2) | instskip(NEXT) | instid1(VALU_DEP_2)
	v_fma_f64 v[10:11], -v[20:21], v[26:27], v[10:11]
	v_fmac_f64_e32 v[0:1], v[28:29], v[26:27]
	s_wait_xcnt 0x0
	s_and_not1_b32 exec_lo, exec_lo, s13
	s_cbranch_execnz .LBB330_9
; %bb.10:                               ;   in Loop: Header=BB330_7 Depth=1
	s_or_b32 exec_lo, exec_lo, s13
.LBB330_11:                             ;   in Loop: Header=BB330_7 Depth=1
	s_delay_alu instid0(SALU_CYCLE_1)
	s_or_b32 exec_lo, exec_lo, s3
	ds_bpermute_b32 v20, v23, v10
	ds_bpermute_b32 v21, v23, v11
	;; [unrolled: 1-line block ×4, first 2 shown]
	v_ashrrev_i32_e32 v15, 31, v14
	s_and_saveexec_b32 s0, vcc_lo
	s_cbranch_execz .LBB330_6
; %bb.12:                               ;   in Loop: Header=BB330_7 Depth=1
	s_wait_dscnt 0x2
	v_add_f64_e32 v[10:11], v[10:11], v[20:21]
	s_wait_dscnt 0x0
	v_add_f64_e32 v[12:13], v[0:1], v[12:13]
	v_lshl_add_u64 v[0:1], v[14:15], 4, s[14:15]
	s_and_saveexec_b32 s3, s2
	s_cbranch_execz .LBB330_5
; %bb.13:                               ;   in Loop: Header=BB330_7 Depth=1
	global_load_b128 v[24:27], v[0:1], off
	s_wait_loadcnt 0x0
	v_fmac_f64_e32 v[10:11], v[6:7], v[24:25]
	v_fmac_f64_e32 v[12:13], v[8:9], v[24:25]
	s_delay_alu instid0(VALU_DEP_2) | instskip(NEXT) | instid1(VALU_DEP_2)
	v_fma_f64 v[10:11], -v[8:9], v[26:27], v[10:11]
	v_fmac_f64_e32 v[12:13], v[6:7], v[26:27]
	s_branch .LBB330_5
.LBB330_14:
	s_endpgm
	.section	.rodata,"a",@progbits
	.p2align	6, 0x0
	.amdhsa_kernel _ZN9rocsparseL21csrmvn_general_kernelILj256ELj2Eiid21rocsparse_complex_numIdES2_S2_EEvbT2_NS_24const_host_device_scalarIT6_EEPKT1_S9_PKS3_PKT3_PKT4_S6_PT5_21rocsparse_index_base_b
		.amdhsa_group_segment_fixed_size 0
		.amdhsa_private_segment_fixed_size 0
		.amdhsa_kernarg_size 352
		.amdhsa_user_sgpr_count 2
		.amdhsa_user_sgpr_dispatch_ptr 0
		.amdhsa_user_sgpr_queue_ptr 0
		.amdhsa_user_sgpr_kernarg_segment_ptr 1
		.amdhsa_user_sgpr_dispatch_id 0
		.amdhsa_user_sgpr_kernarg_preload_length 0
		.amdhsa_user_sgpr_kernarg_preload_offset 0
		.amdhsa_user_sgpr_private_segment_size 0
		.amdhsa_wavefront_size32 1
		.amdhsa_uses_dynamic_stack 0
		.amdhsa_enable_private_segment 0
		.amdhsa_system_sgpr_workgroup_id_x 1
		.amdhsa_system_sgpr_workgroup_id_y 0
		.amdhsa_system_sgpr_workgroup_id_z 0
		.amdhsa_system_sgpr_workgroup_info 0
		.amdhsa_system_vgpr_workitem_id 0
		.amdhsa_next_free_vgpr 30
		.amdhsa_next_free_sgpr 23
		.amdhsa_named_barrier_count 0
		.amdhsa_reserve_vcc 1
		.amdhsa_float_round_mode_32 0
		.amdhsa_float_round_mode_16_64 0
		.amdhsa_float_denorm_mode_32 3
		.amdhsa_float_denorm_mode_16_64 3
		.amdhsa_fp16_overflow 0
		.amdhsa_memory_ordered 1
		.amdhsa_forward_progress 1
		.amdhsa_inst_pref_size 7
		.amdhsa_round_robin_scheduling 0
		.amdhsa_exception_fp_ieee_invalid_op 0
		.amdhsa_exception_fp_denorm_src 0
		.amdhsa_exception_fp_ieee_div_zero 0
		.amdhsa_exception_fp_ieee_overflow 0
		.amdhsa_exception_fp_ieee_underflow 0
		.amdhsa_exception_fp_ieee_inexact 0
		.amdhsa_exception_int_div_zero 0
	.end_amdhsa_kernel
	.section	.text._ZN9rocsparseL21csrmvn_general_kernelILj256ELj2Eiid21rocsparse_complex_numIdES2_S2_EEvbT2_NS_24const_host_device_scalarIT6_EEPKT1_S9_PKS3_PKT3_PKT4_S6_PT5_21rocsparse_index_base_b,"axG",@progbits,_ZN9rocsparseL21csrmvn_general_kernelILj256ELj2Eiid21rocsparse_complex_numIdES2_S2_EEvbT2_NS_24const_host_device_scalarIT6_EEPKT1_S9_PKS3_PKT3_PKT4_S6_PT5_21rocsparse_index_base_b,comdat
.Lfunc_end330:
	.size	_ZN9rocsparseL21csrmvn_general_kernelILj256ELj2Eiid21rocsparse_complex_numIdES2_S2_EEvbT2_NS_24const_host_device_scalarIT6_EEPKT1_S9_PKS3_PKT3_PKT4_S6_PT5_21rocsparse_index_base_b, .Lfunc_end330-_ZN9rocsparseL21csrmvn_general_kernelILj256ELj2Eiid21rocsparse_complex_numIdES2_S2_EEvbT2_NS_24const_host_device_scalarIT6_EEPKT1_S9_PKS3_PKT3_PKT4_S6_PT5_21rocsparse_index_base_b
                                        ; -- End function
	.set _ZN9rocsparseL21csrmvn_general_kernelILj256ELj2Eiid21rocsparse_complex_numIdES2_S2_EEvbT2_NS_24const_host_device_scalarIT6_EEPKT1_S9_PKS3_PKT3_PKT4_S6_PT5_21rocsparse_index_base_b.num_vgpr, 30
	.set _ZN9rocsparseL21csrmvn_general_kernelILj256ELj2Eiid21rocsparse_complex_numIdES2_S2_EEvbT2_NS_24const_host_device_scalarIT6_EEPKT1_S9_PKS3_PKT3_PKT4_S6_PT5_21rocsparse_index_base_b.num_agpr, 0
	.set _ZN9rocsparseL21csrmvn_general_kernelILj256ELj2Eiid21rocsparse_complex_numIdES2_S2_EEvbT2_NS_24const_host_device_scalarIT6_EEPKT1_S9_PKS3_PKT3_PKT4_S6_PT5_21rocsparse_index_base_b.numbered_sgpr, 23
	.set _ZN9rocsparseL21csrmvn_general_kernelILj256ELj2Eiid21rocsparse_complex_numIdES2_S2_EEvbT2_NS_24const_host_device_scalarIT6_EEPKT1_S9_PKS3_PKT3_PKT4_S6_PT5_21rocsparse_index_base_b.num_named_barrier, 0
	.set _ZN9rocsparseL21csrmvn_general_kernelILj256ELj2Eiid21rocsparse_complex_numIdES2_S2_EEvbT2_NS_24const_host_device_scalarIT6_EEPKT1_S9_PKS3_PKT3_PKT4_S6_PT5_21rocsparse_index_base_b.private_seg_size, 0
	.set _ZN9rocsparseL21csrmvn_general_kernelILj256ELj2Eiid21rocsparse_complex_numIdES2_S2_EEvbT2_NS_24const_host_device_scalarIT6_EEPKT1_S9_PKS3_PKT3_PKT4_S6_PT5_21rocsparse_index_base_b.uses_vcc, 1
	.set _ZN9rocsparseL21csrmvn_general_kernelILj256ELj2Eiid21rocsparse_complex_numIdES2_S2_EEvbT2_NS_24const_host_device_scalarIT6_EEPKT1_S9_PKS3_PKT3_PKT4_S6_PT5_21rocsparse_index_base_b.uses_flat_scratch, 0
	.set _ZN9rocsparseL21csrmvn_general_kernelILj256ELj2Eiid21rocsparse_complex_numIdES2_S2_EEvbT2_NS_24const_host_device_scalarIT6_EEPKT1_S9_PKS3_PKT3_PKT4_S6_PT5_21rocsparse_index_base_b.has_dyn_sized_stack, 0
	.set _ZN9rocsparseL21csrmvn_general_kernelILj256ELj2Eiid21rocsparse_complex_numIdES2_S2_EEvbT2_NS_24const_host_device_scalarIT6_EEPKT1_S9_PKS3_PKT3_PKT4_S6_PT5_21rocsparse_index_base_b.has_recursion, 0
	.set _ZN9rocsparseL21csrmvn_general_kernelILj256ELj2Eiid21rocsparse_complex_numIdES2_S2_EEvbT2_NS_24const_host_device_scalarIT6_EEPKT1_S9_PKS3_PKT3_PKT4_S6_PT5_21rocsparse_index_base_b.has_indirect_call, 0
	.section	.AMDGPU.csdata,"",@progbits
; Kernel info:
; codeLenInByte = 812
; TotalNumSgprs: 25
; NumVgprs: 30
; ScratchSize: 0
; MemoryBound: 0
; FloatMode: 240
; IeeeMode: 1
; LDSByteSize: 0 bytes/workgroup (compile time only)
; SGPRBlocks: 0
; VGPRBlocks: 1
; NumSGPRsForWavesPerEU: 25
; NumVGPRsForWavesPerEU: 30
; NamedBarCnt: 0
; Occupancy: 16
; WaveLimiterHint : 1
; COMPUTE_PGM_RSRC2:SCRATCH_EN: 0
; COMPUTE_PGM_RSRC2:USER_SGPR: 2
; COMPUTE_PGM_RSRC2:TRAP_HANDLER: 0
; COMPUTE_PGM_RSRC2:TGID_X_EN: 1
; COMPUTE_PGM_RSRC2:TGID_Y_EN: 0
; COMPUTE_PGM_RSRC2:TGID_Z_EN: 0
; COMPUTE_PGM_RSRC2:TIDIG_COMP_CNT: 0
	.section	.text._ZN9rocsparseL21csrmvn_general_kernelILj256ELj4Eiid21rocsparse_complex_numIdES2_S2_EEvbT2_NS_24const_host_device_scalarIT6_EEPKT1_S9_PKS3_PKT3_PKT4_S6_PT5_21rocsparse_index_base_b,"axG",@progbits,_ZN9rocsparseL21csrmvn_general_kernelILj256ELj4Eiid21rocsparse_complex_numIdES2_S2_EEvbT2_NS_24const_host_device_scalarIT6_EEPKT1_S9_PKS3_PKT3_PKT4_S6_PT5_21rocsparse_index_base_b,comdat
	.globl	_ZN9rocsparseL21csrmvn_general_kernelILj256ELj4Eiid21rocsparse_complex_numIdES2_S2_EEvbT2_NS_24const_host_device_scalarIT6_EEPKT1_S9_PKS3_PKT3_PKT4_S6_PT5_21rocsparse_index_base_b ; -- Begin function _ZN9rocsparseL21csrmvn_general_kernelILj256ELj4Eiid21rocsparse_complex_numIdES2_S2_EEvbT2_NS_24const_host_device_scalarIT6_EEPKT1_S9_PKS3_PKT3_PKT4_S6_PT5_21rocsparse_index_base_b
	.p2align	8
	.type	_ZN9rocsparseL21csrmvn_general_kernelILj256ELj4Eiid21rocsparse_complex_numIdES2_S2_EEvbT2_NS_24const_host_device_scalarIT6_EEPKT1_S9_PKS3_PKT3_PKT4_S6_PT5_21rocsparse_index_base_b,@function
_ZN9rocsparseL21csrmvn_general_kernelILj256ELj4Eiid21rocsparse_complex_numIdES2_S2_EEvbT2_NS_24const_host_device_scalarIT6_EEPKT1_S9_PKS3_PKT3_PKT4_S6_PT5_21rocsparse_index_base_b: ; @_ZN9rocsparseL21csrmvn_general_kernelILj256ELj4Eiid21rocsparse_complex_numIdES2_S2_EEvbT2_NS_24const_host_device_scalarIT6_EEPKT1_S9_PKS3_PKT3_PKT4_S6_PT5_21rocsparse_index_base_b
; %bb.0:
	s_clause 0x1
	s_load_b64 s[12:13], s[0:1], 0x58
	s_load_b64 s[2:3], s[0:1], 0x8
	v_mov_b32_e32 v1, 0
	s_add_nc_u64 s[4:5], s[0:1], 8
	s_load_b64 s[6:7], s[0:1], 0x40
	s_wait_kmcnt 0x0
	s_bitcmp1_b32 s13, 0
	s_cselect_b32 s3, s5, s3
	s_cselect_b32 s2, s4, s2
	flat_load_b128 v[2:5], v1, s[2:3]
	s_wait_xcnt 0x0
	s_add_nc_u64 s[2:3], s[0:1], 64
	s_delay_alu instid0(SALU_CYCLE_1)
	s_cselect_b32 s3, s3, s7
	s_cselect_b32 s2, s2, s6
	flat_load_b128 v[6:9], v1, s[2:3]
	s_wait_loadcnt_dscnt 0x101
	v_cmp_eq_f64_e32 vcc_lo, 0, v[2:3]
	s_wait_xcnt 0x0
	v_cmp_eq_f64_e64 s2, 0, v[4:5]
	s_and_b32 s4, vcc_lo, s2
	s_mov_b32 s2, -1
	s_and_saveexec_b32 s3, s4
	s_cbranch_execz .LBB331_2
; %bb.1:
	s_wait_loadcnt_dscnt 0x0
	v_cmp_neq_f64_e32 vcc_lo, 1.0, v[6:7]
	v_cmp_neq_f64_e64 s2, 0, v[8:9]
	s_or_b32 s2, vcc_lo, s2
	s_delay_alu instid0(SALU_CYCLE_1)
	s_or_not1_b32 s2, s2, exec_lo
.LBB331_2:
	s_or_b32 exec_lo, exec_lo, s3
	s_and_saveexec_b32 s3, s2
	s_cbranch_execz .LBB331_14
; %bb.3:
	s_bfe_u32 s2, ttmp6, 0x4000c
	s_load_b32 s18, s[0:1], 0x4
	s_add_co_i32 s2, s2, 1
	s_and_b32 s3, ttmp6, 15
	s_mul_i32 s2, ttmp9, s2
	s_getreg_b32 s4, hwreg(HW_REG_IB_STS2, 6, 4)
	s_add_co_i32 s3, s3, s2
	s_cmp_eq_u32 s4, 0
	s_mov_b32 s19, 0
	s_cselect_b32 s2, ttmp9, s3
	s_delay_alu instid0(SALU_CYCLE_1) | instskip(NEXT) | instid1(VALU_DEP_1)
	v_lshl_or_b32 v1, s2, 8, v0
	v_lshrrev_b32_e32 v14, 2, v1
	s_wait_kmcnt 0x0
	s_delay_alu instid0(VALU_DEP_1)
	v_cmp_gt_i32_e32 vcc_lo, s18, v14
	s_and_b32 exec_lo, exec_lo, vcc_lo
	s_cbranch_execz .LBB331_14
; %bb.4:
	s_wait_loadcnt_dscnt 0x0
	v_cmp_neq_f64_e64 s2, 0, v[6:7]
	v_cmp_neq_f64_e64 s3, 0, v[8:9]
	v_mul_f64_e32 v[16:17], 0x80000000, v[4:5]
	v_mbcnt_lo_u32_b32 v1, -1, 0
	v_mul_f64_e32 v[18:19], 0, v[2:3]
	s_clause 0x3
	s_load_b32 s22, s[0:1], 0x60
	s_load_b64 s[16:17], s[0:1], 0x38
	s_load_b64 s[14:15], s[0:1], 0x50
	s_load_b256 s[4:11], s[0:1], 0x18
	s_ashr_i32 s13, s12, 31
	v_xor_b32_e32 v10, 2, v1
	s_lshl_b64 s[20:21], s[12:13], 4
	s_delay_alu instid0(VALU_DEP_1) | instskip(SKIP_1) | instid1(VALU_DEP_1)
	v_cmp_gt_i32_e32 vcc_lo, 32, v10
	v_dual_cndmask_b32 v10, v1, v10, vcc_lo :: v_dual_bitop2_b32 v11, 1, v1 bitop3:0x14
	v_cmp_gt_i32_e32 vcc_lo, 32, v11
	v_and_b32_e32 v0, 3, v0
	s_wait_kmcnt 0x0
	s_lshl_b32 s1, s22, 6
	s_sub_nc_u64 s[16:17], s[16:17], s[20:21]
	v_cndmask_b32_e32 v1, v1, v11, vcc_lo
	v_subrev_nc_u32_e32 v22, s12, v0
	v_lshlrev_b32_e32 v23, 2, v10
	v_cmp_eq_u32_e32 vcc_lo, 3, v0
	s_delay_alu instid0(VALU_DEP_4)
	v_lshlrev_b32_e32 v24, 2, v1
	s_or_b32 s2, s2, s3
	s_branch .LBB331_7
.LBB331_5:                              ;   in Loop: Header=BB331_7 Depth=1
	s_wait_xcnt 0x0
	s_or_b32 exec_lo, exec_lo, s3
	global_store_b128 v[0:1], v[10:13], off
.LBB331_6:                              ;   in Loop: Header=BB331_7 Depth=1
	s_wait_xcnt 0x0
	s_or_b32 exec_lo, exec_lo, s0
	v_add_nc_u32_e32 v14, s1, v14
	s_delay_alu instid0(VALU_DEP_1) | instskip(SKIP_1) | instid1(SALU_CYCLE_1)
	v_cmp_le_i32_e64 s0, s18, v14
	s_or_b32 s19, s0, s19
	s_and_not1_b32 exec_lo, exec_lo, s19
	s_cbranch_execz .LBB331_14
.LBB331_7:                              ; =>This Loop Header: Depth=1
                                        ;     Child Loop BB331_9 Depth 2
	s_clause 0x1
	global_load_b32 v0, v14, s[6:7] scale_offset
	global_load_b32 v1, v14, s[4:5] scale_offset
	v_mov_b64_e32 v[10:11], 0
	s_mov_b32 s3, exec_lo
	s_wait_loadcnt_dscnt 0x101
	v_subrev_nc_u32_e32 v12, s12, v0
	s_wait_loadcnt_dscnt 0x0
	v_add_nc_u32_e32 v13, v1, v22
	v_mov_b64_e32 v[0:1], 0
	s_wait_xcnt 0x0
	s_delay_alu instid0(VALU_DEP_2)
	v_cmpx_lt_i32_e64 v13, v12
	s_cbranch_execz .LBB331_11
; %bb.8:                                ;   in Loop: Header=BB331_7 Depth=1
	v_mov_b64_e32 v[0:1], 0
	v_mov_b64_e32 v[10:11], 0
	s_mov_b32 s13, 0
.LBB331_9:                              ;   Parent Loop BB331_7 Depth=1
                                        ; =>  This Inner Loop Header: Depth=2
	s_clause 0x1
	global_load_b32 v15, v13, s[8:9] scale_offset
	global_load_b64 v[20:21], v13, s[10:11] scale_offset
	s_wait_xcnt 0x0
	v_add_nc_u32_e32 v13, 4, v13
	s_delay_alu instid0(VALU_DEP_1)
	v_cmp_ge_i32_e64 s0, v13, v12
	s_or_b32 s13, s0, s13
	s_wait_loadcnt 0x1
	global_load_b128 v[26:29], v15, s[16:17] scale_offset
	s_wait_loadcnt 0x1
	v_fma_f64 v[30:31], v[2:3], v[20:21], v[16:17]
	v_fma_f64 v[20:21], v[4:5], v[20:21], v[18:19]
	s_wait_loadcnt 0x0
	s_delay_alu instid0(VALU_DEP_2) | instskip(NEXT) | instid1(VALU_DEP_2)
	v_fmac_f64_e32 v[10:11], v[30:31], v[26:27]
	v_fmac_f64_e32 v[0:1], v[20:21], v[26:27]
	s_delay_alu instid0(VALU_DEP_2) | instskip(NEXT) | instid1(VALU_DEP_2)
	v_fma_f64 v[10:11], -v[20:21], v[28:29], v[10:11]
	v_fmac_f64_e32 v[0:1], v[30:31], v[28:29]
	s_wait_xcnt 0x0
	s_and_not1_b32 exec_lo, exec_lo, s13
	s_cbranch_execnz .LBB331_9
; %bb.10:                               ;   in Loop: Header=BB331_7 Depth=1
	s_or_b32 exec_lo, exec_lo, s13
.LBB331_11:                             ;   in Loop: Header=BB331_7 Depth=1
	s_delay_alu instid0(SALU_CYCLE_1)
	s_or_b32 exec_lo, exec_lo, s3
	ds_bpermute_b32 v12, v23, v10
	ds_bpermute_b32 v13, v23, v11
	;; [unrolled: 1-line block ×4, first 2 shown]
	s_wait_dscnt 0x2
	v_dual_add_f64 v[10:11], v[10:11], v[12:13] :: v_dual_ashrrev_i32 v15, 31, v14
	s_wait_dscnt 0x0
	v_add_f64_e32 v[0:1], v[0:1], v[20:21]
	ds_bpermute_b32 v20, v24, v10
	ds_bpermute_b32 v21, v24, v11
	;; [unrolled: 1-line block ×4, first 2 shown]
	s_and_saveexec_b32 s0, vcc_lo
	s_cbranch_execz .LBB331_6
; %bb.12:                               ;   in Loop: Header=BB331_7 Depth=1
	s_wait_dscnt 0x2
	v_add_f64_e32 v[10:11], v[10:11], v[20:21]
	s_wait_dscnt 0x0
	v_add_f64_e32 v[12:13], v[0:1], v[12:13]
	v_lshl_add_u64 v[0:1], v[14:15], 4, s[14:15]
	s_and_saveexec_b32 s3, s2
	s_cbranch_execz .LBB331_5
; %bb.13:                               ;   in Loop: Header=BB331_7 Depth=1
	global_load_b128 v[26:29], v[0:1], off
	s_wait_loadcnt 0x0
	v_fmac_f64_e32 v[10:11], v[6:7], v[26:27]
	v_fmac_f64_e32 v[12:13], v[8:9], v[26:27]
	s_delay_alu instid0(VALU_DEP_2) | instskip(NEXT) | instid1(VALU_DEP_2)
	v_fma_f64 v[10:11], -v[8:9], v[28:29], v[10:11]
	v_fmac_f64_e32 v[12:13], v[6:7], v[28:29]
	s_branch .LBB331_5
.LBB331_14:
	s_endpgm
	.section	.rodata,"a",@progbits
	.p2align	6, 0x0
	.amdhsa_kernel _ZN9rocsparseL21csrmvn_general_kernelILj256ELj4Eiid21rocsparse_complex_numIdES2_S2_EEvbT2_NS_24const_host_device_scalarIT6_EEPKT1_S9_PKS3_PKT3_PKT4_S6_PT5_21rocsparse_index_base_b
		.amdhsa_group_segment_fixed_size 0
		.amdhsa_private_segment_fixed_size 0
		.amdhsa_kernarg_size 352
		.amdhsa_user_sgpr_count 2
		.amdhsa_user_sgpr_dispatch_ptr 0
		.amdhsa_user_sgpr_queue_ptr 0
		.amdhsa_user_sgpr_kernarg_segment_ptr 1
		.amdhsa_user_sgpr_dispatch_id 0
		.amdhsa_user_sgpr_kernarg_preload_length 0
		.amdhsa_user_sgpr_kernarg_preload_offset 0
		.amdhsa_user_sgpr_private_segment_size 0
		.amdhsa_wavefront_size32 1
		.amdhsa_uses_dynamic_stack 0
		.amdhsa_enable_private_segment 0
		.amdhsa_system_sgpr_workgroup_id_x 1
		.amdhsa_system_sgpr_workgroup_id_y 0
		.amdhsa_system_sgpr_workgroup_id_z 0
		.amdhsa_system_sgpr_workgroup_info 0
		.amdhsa_system_vgpr_workitem_id 0
		.amdhsa_next_free_vgpr 32
		.amdhsa_next_free_sgpr 23
		.amdhsa_named_barrier_count 0
		.amdhsa_reserve_vcc 1
		.amdhsa_float_round_mode_32 0
		.amdhsa_float_round_mode_16_64 0
		.amdhsa_float_denorm_mode_32 3
		.amdhsa_float_denorm_mode_16_64 3
		.amdhsa_fp16_overflow 0
		.amdhsa_memory_ordered 1
		.amdhsa_forward_progress 1
		.amdhsa_inst_pref_size 7
		.amdhsa_round_robin_scheduling 0
		.amdhsa_exception_fp_ieee_invalid_op 0
		.amdhsa_exception_fp_denorm_src 0
		.amdhsa_exception_fp_ieee_div_zero 0
		.amdhsa_exception_fp_ieee_overflow 0
		.amdhsa_exception_fp_ieee_underflow 0
		.amdhsa_exception_fp_ieee_inexact 0
		.amdhsa_exception_int_div_zero 0
	.end_amdhsa_kernel
	.section	.text._ZN9rocsparseL21csrmvn_general_kernelILj256ELj4Eiid21rocsparse_complex_numIdES2_S2_EEvbT2_NS_24const_host_device_scalarIT6_EEPKT1_S9_PKS3_PKT3_PKT4_S6_PT5_21rocsparse_index_base_b,"axG",@progbits,_ZN9rocsparseL21csrmvn_general_kernelILj256ELj4Eiid21rocsparse_complex_numIdES2_S2_EEvbT2_NS_24const_host_device_scalarIT6_EEPKT1_S9_PKS3_PKT3_PKT4_S6_PT5_21rocsparse_index_base_b,comdat
.Lfunc_end331:
	.size	_ZN9rocsparseL21csrmvn_general_kernelILj256ELj4Eiid21rocsparse_complex_numIdES2_S2_EEvbT2_NS_24const_host_device_scalarIT6_EEPKT1_S9_PKS3_PKT3_PKT4_S6_PT5_21rocsparse_index_base_b, .Lfunc_end331-_ZN9rocsparseL21csrmvn_general_kernelILj256ELj4Eiid21rocsparse_complex_numIdES2_S2_EEvbT2_NS_24const_host_device_scalarIT6_EEPKT1_S9_PKS3_PKT3_PKT4_S6_PT5_21rocsparse_index_base_b
                                        ; -- End function
	.set _ZN9rocsparseL21csrmvn_general_kernelILj256ELj4Eiid21rocsparse_complex_numIdES2_S2_EEvbT2_NS_24const_host_device_scalarIT6_EEPKT1_S9_PKS3_PKT3_PKT4_S6_PT5_21rocsparse_index_base_b.num_vgpr, 32
	.set _ZN9rocsparseL21csrmvn_general_kernelILj256ELj4Eiid21rocsparse_complex_numIdES2_S2_EEvbT2_NS_24const_host_device_scalarIT6_EEPKT1_S9_PKS3_PKT3_PKT4_S6_PT5_21rocsparse_index_base_b.num_agpr, 0
	.set _ZN9rocsparseL21csrmvn_general_kernelILj256ELj4Eiid21rocsparse_complex_numIdES2_S2_EEvbT2_NS_24const_host_device_scalarIT6_EEPKT1_S9_PKS3_PKT3_PKT4_S6_PT5_21rocsparse_index_base_b.numbered_sgpr, 23
	.set _ZN9rocsparseL21csrmvn_general_kernelILj256ELj4Eiid21rocsparse_complex_numIdES2_S2_EEvbT2_NS_24const_host_device_scalarIT6_EEPKT1_S9_PKS3_PKT3_PKT4_S6_PT5_21rocsparse_index_base_b.num_named_barrier, 0
	.set _ZN9rocsparseL21csrmvn_general_kernelILj256ELj4Eiid21rocsparse_complex_numIdES2_S2_EEvbT2_NS_24const_host_device_scalarIT6_EEPKT1_S9_PKS3_PKT3_PKT4_S6_PT5_21rocsparse_index_base_b.private_seg_size, 0
	.set _ZN9rocsparseL21csrmvn_general_kernelILj256ELj4Eiid21rocsparse_complex_numIdES2_S2_EEvbT2_NS_24const_host_device_scalarIT6_EEPKT1_S9_PKS3_PKT3_PKT4_S6_PT5_21rocsparse_index_base_b.uses_vcc, 1
	.set _ZN9rocsparseL21csrmvn_general_kernelILj256ELj4Eiid21rocsparse_complex_numIdES2_S2_EEvbT2_NS_24const_host_device_scalarIT6_EEPKT1_S9_PKS3_PKT3_PKT4_S6_PT5_21rocsparse_index_base_b.uses_flat_scratch, 0
	.set _ZN9rocsparseL21csrmvn_general_kernelILj256ELj4Eiid21rocsparse_complex_numIdES2_S2_EEvbT2_NS_24const_host_device_scalarIT6_EEPKT1_S9_PKS3_PKT3_PKT4_S6_PT5_21rocsparse_index_base_b.has_dyn_sized_stack, 0
	.set _ZN9rocsparseL21csrmvn_general_kernelILj256ELj4Eiid21rocsparse_complex_numIdES2_S2_EEvbT2_NS_24const_host_device_scalarIT6_EEPKT1_S9_PKS3_PKT3_PKT4_S6_PT5_21rocsparse_index_base_b.has_recursion, 0
	.set _ZN9rocsparseL21csrmvn_general_kernelILj256ELj4Eiid21rocsparse_complex_numIdES2_S2_EEvbT2_NS_24const_host_device_scalarIT6_EEPKT1_S9_PKS3_PKT3_PKT4_S6_PT5_21rocsparse_index_base_b.has_indirect_call, 0
	.section	.AMDGPU.csdata,"",@progbits
; Kernel info:
; codeLenInByte = 880
; TotalNumSgprs: 25
; NumVgprs: 32
; ScratchSize: 0
; MemoryBound: 0
; FloatMode: 240
; IeeeMode: 1
; LDSByteSize: 0 bytes/workgroup (compile time only)
; SGPRBlocks: 0
; VGPRBlocks: 1
; NumSGPRsForWavesPerEU: 25
; NumVGPRsForWavesPerEU: 32
; NamedBarCnt: 0
; Occupancy: 16
; WaveLimiterHint : 1
; COMPUTE_PGM_RSRC2:SCRATCH_EN: 0
; COMPUTE_PGM_RSRC2:USER_SGPR: 2
; COMPUTE_PGM_RSRC2:TRAP_HANDLER: 0
; COMPUTE_PGM_RSRC2:TGID_X_EN: 1
; COMPUTE_PGM_RSRC2:TGID_Y_EN: 0
; COMPUTE_PGM_RSRC2:TGID_Z_EN: 0
; COMPUTE_PGM_RSRC2:TIDIG_COMP_CNT: 0
	.section	.text._ZN9rocsparseL21csrmvn_general_kernelILj256ELj8Eiid21rocsparse_complex_numIdES2_S2_EEvbT2_NS_24const_host_device_scalarIT6_EEPKT1_S9_PKS3_PKT3_PKT4_S6_PT5_21rocsparse_index_base_b,"axG",@progbits,_ZN9rocsparseL21csrmvn_general_kernelILj256ELj8Eiid21rocsparse_complex_numIdES2_S2_EEvbT2_NS_24const_host_device_scalarIT6_EEPKT1_S9_PKS3_PKT3_PKT4_S6_PT5_21rocsparse_index_base_b,comdat
	.globl	_ZN9rocsparseL21csrmvn_general_kernelILj256ELj8Eiid21rocsparse_complex_numIdES2_S2_EEvbT2_NS_24const_host_device_scalarIT6_EEPKT1_S9_PKS3_PKT3_PKT4_S6_PT5_21rocsparse_index_base_b ; -- Begin function _ZN9rocsparseL21csrmvn_general_kernelILj256ELj8Eiid21rocsparse_complex_numIdES2_S2_EEvbT2_NS_24const_host_device_scalarIT6_EEPKT1_S9_PKS3_PKT3_PKT4_S6_PT5_21rocsparse_index_base_b
	.p2align	8
	.type	_ZN9rocsparseL21csrmvn_general_kernelILj256ELj8Eiid21rocsparse_complex_numIdES2_S2_EEvbT2_NS_24const_host_device_scalarIT6_EEPKT1_S9_PKS3_PKT3_PKT4_S6_PT5_21rocsparse_index_base_b,@function
_ZN9rocsparseL21csrmvn_general_kernelILj256ELj8Eiid21rocsparse_complex_numIdES2_S2_EEvbT2_NS_24const_host_device_scalarIT6_EEPKT1_S9_PKS3_PKT3_PKT4_S6_PT5_21rocsparse_index_base_b: ; @_ZN9rocsparseL21csrmvn_general_kernelILj256ELj8Eiid21rocsparse_complex_numIdES2_S2_EEvbT2_NS_24const_host_device_scalarIT6_EEPKT1_S9_PKS3_PKT3_PKT4_S6_PT5_21rocsparse_index_base_b
; %bb.0:
	s_clause 0x1
	s_load_b64 s[12:13], s[0:1], 0x58
	s_load_b64 s[2:3], s[0:1], 0x8
	v_mov_b32_e32 v1, 0
	s_add_nc_u64 s[4:5], s[0:1], 8
	s_load_b64 s[6:7], s[0:1], 0x40
	s_wait_kmcnt 0x0
	s_bitcmp1_b32 s13, 0
	s_cselect_b32 s3, s5, s3
	s_cselect_b32 s2, s4, s2
	flat_load_b128 v[2:5], v1, s[2:3]
	s_wait_xcnt 0x0
	s_add_nc_u64 s[2:3], s[0:1], 64
	s_delay_alu instid0(SALU_CYCLE_1)
	s_cselect_b32 s3, s3, s7
	s_cselect_b32 s2, s2, s6
	flat_load_b128 v[6:9], v1, s[2:3]
	s_wait_loadcnt_dscnt 0x101
	v_cmp_eq_f64_e32 vcc_lo, 0, v[2:3]
	s_wait_xcnt 0x0
	v_cmp_eq_f64_e64 s2, 0, v[4:5]
	s_and_b32 s4, vcc_lo, s2
	s_mov_b32 s2, -1
	s_and_saveexec_b32 s3, s4
	s_cbranch_execz .LBB332_2
; %bb.1:
	s_wait_loadcnt_dscnt 0x0
	v_cmp_neq_f64_e32 vcc_lo, 1.0, v[6:7]
	v_cmp_neq_f64_e64 s2, 0, v[8:9]
	s_or_b32 s2, vcc_lo, s2
	s_delay_alu instid0(SALU_CYCLE_1)
	s_or_not1_b32 s2, s2, exec_lo
.LBB332_2:
	s_or_b32 exec_lo, exec_lo, s3
	s_and_saveexec_b32 s3, s2
	s_cbranch_execz .LBB332_14
; %bb.3:
	s_bfe_u32 s2, ttmp6, 0x4000c
	s_load_b32 s18, s[0:1], 0x4
	s_add_co_i32 s2, s2, 1
	s_and_b32 s3, ttmp6, 15
	s_mul_i32 s2, ttmp9, s2
	s_getreg_b32 s4, hwreg(HW_REG_IB_STS2, 6, 4)
	s_add_co_i32 s3, s3, s2
	s_cmp_eq_u32 s4, 0
	s_mov_b32 s19, 0
	s_cselect_b32 s2, ttmp9, s3
	s_delay_alu instid0(SALU_CYCLE_1) | instskip(NEXT) | instid1(VALU_DEP_1)
	v_lshl_or_b32 v1, s2, 8, v0
	v_lshrrev_b32_e32 v14, 3, v1
	s_wait_kmcnt 0x0
	s_delay_alu instid0(VALU_DEP_1)
	v_cmp_gt_i32_e32 vcc_lo, s18, v14
	s_and_b32 exec_lo, exec_lo, vcc_lo
	s_cbranch_execz .LBB332_14
; %bb.4:
	v_mbcnt_lo_u32_b32 v1, -1, 0
	s_wait_loadcnt_dscnt 0x0
	v_cmp_neq_f64_e64 s2, 0, v[6:7]
	v_cmp_neq_f64_e64 s3, 0, v[8:9]
	v_mul_f64_e32 v[16:17], 0x80000000, v[4:5]
	v_dual_mul_f64 v[18:19], 0, v[2:3] :: v_dual_bitop2_b32 v10, 4, v1 bitop3:0x14
	v_xor_b32_e32 v12, 1, v1
	v_xor_b32_e32 v11, 2, v1
	s_clause 0x3
	s_load_b64 s[14:15], s[0:1], 0x50
	s_load_b32 s22, s[0:1], 0x60
	s_load_b64 s[16:17], s[0:1], 0x38
	s_load_b256 s[4:11], s[0:1], 0x18
	s_ashr_i32 s13, s12, 31
	v_cmp_gt_i32_e32 vcc_lo, 32, v10
	v_and_b32_e32 v0, 7, v0
	s_lshl_b64 s[20:21], s[12:13], 4
	v_cndmask_b32_e32 v10, v1, v10, vcc_lo
	v_cmp_gt_i32_e32 vcc_lo, 32, v11
	s_delay_alu instid0(VALU_DEP_3) | instskip(SKIP_2) | instid1(VALU_DEP_2)
	v_subrev_nc_u32_e32 v22, s12, v0
	v_cndmask_b32_e32 v11, v1, v11, vcc_lo
	v_cmp_gt_i32_e32 vcc_lo, 32, v12
	v_dual_lshlrev_b32 v23, 2, v10 :: v_dual_lshlrev_b32 v24, 2, v11
	v_cndmask_b32_e32 v1, v1, v12, vcc_lo
	s_wait_kmcnt 0x0
	s_lshl_b32 s1, s22, 5
	s_sub_nc_u64 s[16:17], s[16:17], s[20:21]
	v_cmp_eq_u32_e32 vcc_lo, 7, v0
	v_lshlrev_b32_e32 v25, 2, v1
	s_or_b32 s2, s2, s3
	s_branch .LBB332_7
.LBB332_5:                              ;   in Loop: Header=BB332_7 Depth=1
	s_wait_xcnt 0x0
	s_or_b32 exec_lo, exec_lo, s3
	global_store_b128 v[0:1], v[10:13], off
.LBB332_6:                              ;   in Loop: Header=BB332_7 Depth=1
	s_wait_xcnt 0x0
	s_or_b32 exec_lo, exec_lo, s0
	v_add_nc_u32_e32 v14, s1, v14
	s_delay_alu instid0(VALU_DEP_1) | instskip(SKIP_1) | instid1(SALU_CYCLE_1)
	v_cmp_le_i32_e64 s0, s18, v14
	s_or_b32 s19, s0, s19
	s_and_not1_b32 exec_lo, exec_lo, s19
	s_cbranch_execz .LBB332_14
.LBB332_7:                              ; =>This Loop Header: Depth=1
                                        ;     Child Loop BB332_9 Depth 2
	s_clause 0x1
	global_load_b32 v0, v14, s[6:7] scale_offset
	global_load_b32 v1, v14, s[4:5] scale_offset
	s_wait_dscnt 0x2
	v_mov_b64_e32 v[10:11], 0
	s_mov_b32 s3, exec_lo
	s_wait_loadcnt 0x1
	v_subrev_nc_u32_e32 v12, s12, v0
	s_wait_loadcnt 0x0
	v_add_nc_u32_e32 v13, v1, v22
	v_mov_b64_e32 v[0:1], 0
	s_wait_xcnt 0x0
	s_delay_alu instid0(VALU_DEP_2)
	v_cmpx_lt_i32_e64 v13, v12
	s_cbranch_execz .LBB332_11
; %bb.8:                                ;   in Loop: Header=BB332_7 Depth=1
	v_mov_b64_e32 v[0:1], 0
	v_mov_b64_e32 v[10:11], 0
	s_mov_b32 s13, 0
.LBB332_9:                              ;   Parent Loop BB332_7 Depth=1
                                        ; =>  This Inner Loop Header: Depth=2
	global_load_b32 v15, v13, s[8:9] scale_offset
	s_wait_dscnt 0x0
	global_load_b64 v[20:21], v13, s[10:11] scale_offset
	s_wait_xcnt 0x0
	v_add_nc_u32_e32 v13, 8, v13
	s_delay_alu instid0(VALU_DEP_1)
	v_cmp_ge_i32_e64 s0, v13, v12
	s_or_b32 s13, s0, s13
	s_wait_loadcnt 0x1
	global_load_b128 v[26:29], v15, s[16:17] scale_offset
	s_wait_loadcnt 0x1
	v_fma_f64 v[30:31], v[2:3], v[20:21], v[16:17]
	v_fma_f64 v[20:21], v[4:5], v[20:21], v[18:19]
	s_wait_loadcnt 0x0
	s_delay_alu instid0(VALU_DEP_2) | instskip(NEXT) | instid1(VALU_DEP_2)
	v_fmac_f64_e32 v[10:11], v[30:31], v[26:27]
	v_fmac_f64_e32 v[0:1], v[20:21], v[26:27]
	s_delay_alu instid0(VALU_DEP_2) | instskip(NEXT) | instid1(VALU_DEP_2)
	v_fma_f64 v[10:11], -v[20:21], v[28:29], v[10:11]
	v_fmac_f64_e32 v[0:1], v[30:31], v[28:29]
	s_wait_xcnt 0x0
	s_and_not1_b32 exec_lo, exec_lo, s13
	s_cbranch_execnz .LBB332_9
; %bb.10:                               ;   in Loop: Header=BB332_7 Depth=1
	s_or_b32 exec_lo, exec_lo, s13
.LBB332_11:                             ;   in Loop: Header=BB332_7 Depth=1
	s_delay_alu instid0(SALU_CYCLE_1)
	s_or_b32 exec_lo, exec_lo, s3
	ds_bpermute_b32 v12, v23, v10
	ds_bpermute_b32 v13, v23, v11
	s_wait_dscnt 0x3
	ds_bpermute_b32 v20, v23, v0
	s_wait_dscnt 0x3
	;; [unrolled: 2-line block ×3, first 2 shown]
	v_dual_add_f64 v[10:11], v[10:11], v[12:13] :: v_dual_ashrrev_i32 v15, 31, v14
	s_wait_dscnt 0x0
	v_add_f64_e32 v[12:13], v[0:1], v[20:21]
	ds_bpermute_b32 v0, v24, v10
	ds_bpermute_b32 v1, v24, v11
	;; [unrolled: 1-line block ×4, first 2 shown]
	s_wait_dscnt 0x2
	v_add_f64_e32 v[0:1], v[10:11], v[0:1]
	s_wait_dscnt 0x0
	v_add_f64_e32 v[12:13], v[12:13], v[20:21]
	ds_bpermute_b32 v10, v25, v0
	ds_bpermute_b32 v11, v25, v1
	;; [unrolled: 1-line block ×4, first 2 shown]
	s_and_saveexec_b32 s0, vcc_lo
	s_cbranch_execz .LBB332_6
; %bb.12:                               ;   in Loop: Header=BB332_7 Depth=1
	s_wait_dscnt 0x2
	v_add_f64_e32 v[10:11], v[0:1], v[10:11]
	s_wait_dscnt 0x0
	v_add_f64_e32 v[12:13], v[12:13], v[20:21]
	v_lshl_add_u64 v[0:1], v[14:15], 4, s[14:15]
	s_and_saveexec_b32 s3, s2
	s_cbranch_execz .LBB332_5
; %bb.13:                               ;   in Loop: Header=BB332_7 Depth=1
	global_load_b128 v[26:29], v[0:1], off
	s_wait_loadcnt 0x0
	v_fmac_f64_e32 v[10:11], v[6:7], v[26:27]
	v_fmac_f64_e32 v[12:13], v[8:9], v[26:27]
	s_delay_alu instid0(VALU_DEP_2) | instskip(NEXT) | instid1(VALU_DEP_2)
	v_fma_f64 v[10:11], -v[8:9], v[28:29], v[10:11]
	v_fmac_f64_e32 v[12:13], v[6:7], v[28:29]
	s_branch .LBB332_5
.LBB332_14:
	s_endpgm
	.section	.rodata,"a",@progbits
	.p2align	6, 0x0
	.amdhsa_kernel _ZN9rocsparseL21csrmvn_general_kernelILj256ELj8Eiid21rocsparse_complex_numIdES2_S2_EEvbT2_NS_24const_host_device_scalarIT6_EEPKT1_S9_PKS3_PKT3_PKT4_S6_PT5_21rocsparse_index_base_b
		.amdhsa_group_segment_fixed_size 0
		.amdhsa_private_segment_fixed_size 0
		.amdhsa_kernarg_size 352
		.amdhsa_user_sgpr_count 2
		.amdhsa_user_sgpr_dispatch_ptr 0
		.amdhsa_user_sgpr_queue_ptr 0
		.amdhsa_user_sgpr_kernarg_segment_ptr 1
		.amdhsa_user_sgpr_dispatch_id 0
		.amdhsa_user_sgpr_kernarg_preload_length 0
		.amdhsa_user_sgpr_kernarg_preload_offset 0
		.amdhsa_user_sgpr_private_segment_size 0
		.amdhsa_wavefront_size32 1
		.amdhsa_uses_dynamic_stack 0
		.amdhsa_enable_private_segment 0
		.amdhsa_system_sgpr_workgroup_id_x 1
		.amdhsa_system_sgpr_workgroup_id_y 0
		.amdhsa_system_sgpr_workgroup_id_z 0
		.amdhsa_system_sgpr_workgroup_info 0
		.amdhsa_system_vgpr_workitem_id 0
		.amdhsa_next_free_vgpr 32
		.amdhsa_next_free_sgpr 23
		.amdhsa_named_barrier_count 0
		.amdhsa_reserve_vcc 1
		.amdhsa_float_round_mode_32 0
		.amdhsa_float_round_mode_16_64 0
		.amdhsa_float_denorm_mode_32 3
		.amdhsa_float_denorm_mode_16_64 3
		.amdhsa_fp16_overflow 0
		.amdhsa_memory_ordered 1
		.amdhsa_forward_progress 1
		.amdhsa_inst_pref_size 8
		.amdhsa_round_robin_scheduling 0
		.amdhsa_exception_fp_ieee_invalid_op 0
		.amdhsa_exception_fp_denorm_src 0
		.amdhsa_exception_fp_ieee_div_zero 0
		.amdhsa_exception_fp_ieee_overflow 0
		.amdhsa_exception_fp_ieee_underflow 0
		.amdhsa_exception_fp_ieee_inexact 0
		.amdhsa_exception_int_div_zero 0
	.end_amdhsa_kernel
	.section	.text._ZN9rocsparseL21csrmvn_general_kernelILj256ELj8Eiid21rocsparse_complex_numIdES2_S2_EEvbT2_NS_24const_host_device_scalarIT6_EEPKT1_S9_PKS3_PKT3_PKT4_S6_PT5_21rocsparse_index_base_b,"axG",@progbits,_ZN9rocsparseL21csrmvn_general_kernelILj256ELj8Eiid21rocsparse_complex_numIdES2_S2_EEvbT2_NS_24const_host_device_scalarIT6_EEPKT1_S9_PKS3_PKT3_PKT4_S6_PT5_21rocsparse_index_base_b,comdat
.Lfunc_end332:
	.size	_ZN9rocsparseL21csrmvn_general_kernelILj256ELj8Eiid21rocsparse_complex_numIdES2_S2_EEvbT2_NS_24const_host_device_scalarIT6_EEPKT1_S9_PKS3_PKT3_PKT4_S6_PT5_21rocsparse_index_base_b, .Lfunc_end332-_ZN9rocsparseL21csrmvn_general_kernelILj256ELj8Eiid21rocsparse_complex_numIdES2_S2_EEvbT2_NS_24const_host_device_scalarIT6_EEPKT1_S9_PKS3_PKT3_PKT4_S6_PT5_21rocsparse_index_base_b
                                        ; -- End function
	.set _ZN9rocsparseL21csrmvn_general_kernelILj256ELj8Eiid21rocsparse_complex_numIdES2_S2_EEvbT2_NS_24const_host_device_scalarIT6_EEPKT1_S9_PKS3_PKT3_PKT4_S6_PT5_21rocsparse_index_base_b.num_vgpr, 32
	.set _ZN9rocsparseL21csrmvn_general_kernelILj256ELj8Eiid21rocsparse_complex_numIdES2_S2_EEvbT2_NS_24const_host_device_scalarIT6_EEPKT1_S9_PKS3_PKT3_PKT4_S6_PT5_21rocsparse_index_base_b.num_agpr, 0
	.set _ZN9rocsparseL21csrmvn_general_kernelILj256ELj8Eiid21rocsparse_complex_numIdES2_S2_EEvbT2_NS_24const_host_device_scalarIT6_EEPKT1_S9_PKS3_PKT3_PKT4_S6_PT5_21rocsparse_index_base_b.numbered_sgpr, 23
	.set _ZN9rocsparseL21csrmvn_general_kernelILj256ELj8Eiid21rocsparse_complex_numIdES2_S2_EEvbT2_NS_24const_host_device_scalarIT6_EEPKT1_S9_PKS3_PKT3_PKT4_S6_PT5_21rocsparse_index_base_b.num_named_barrier, 0
	.set _ZN9rocsparseL21csrmvn_general_kernelILj256ELj8Eiid21rocsparse_complex_numIdES2_S2_EEvbT2_NS_24const_host_device_scalarIT6_EEPKT1_S9_PKS3_PKT3_PKT4_S6_PT5_21rocsparse_index_base_b.private_seg_size, 0
	.set _ZN9rocsparseL21csrmvn_general_kernelILj256ELj8Eiid21rocsparse_complex_numIdES2_S2_EEvbT2_NS_24const_host_device_scalarIT6_EEPKT1_S9_PKS3_PKT3_PKT4_S6_PT5_21rocsparse_index_base_b.uses_vcc, 1
	.set _ZN9rocsparseL21csrmvn_general_kernelILj256ELj8Eiid21rocsparse_complex_numIdES2_S2_EEvbT2_NS_24const_host_device_scalarIT6_EEPKT1_S9_PKS3_PKT3_PKT4_S6_PT5_21rocsparse_index_base_b.uses_flat_scratch, 0
	.set _ZN9rocsparseL21csrmvn_general_kernelILj256ELj8Eiid21rocsparse_complex_numIdES2_S2_EEvbT2_NS_24const_host_device_scalarIT6_EEPKT1_S9_PKS3_PKT3_PKT4_S6_PT5_21rocsparse_index_base_b.has_dyn_sized_stack, 0
	.set _ZN9rocsparseL21csrmvn_general_kernelILj256ELj8Eiid21rocsparse_complex_numIdES2_S2_EEvbT2_NS_24const_host_device_scalarIT6_EEPKT1_S9_PKS3_PKT3_PKT4_S6_PT5_21rocsparse_index_base_b.has_recursion, 0
	.set _ZN9rocsparseL21csrmvn_general_kernelILj256ELj8Eiid21rocsparse_complex_numIdES2_S2_EEvbT2_NS_24const_host_device_scalarIT6_EEPKT1_S9_PKS3_PKT3_PKT4_S6_PT5_21rocsparse_index_base_b.has_indirect_call, 0
	.section	.AMDGPU.csdata,"",@progbits
; Kernel info:
; codeLenInByte = 956
; TotalNumSgprs: 25
; NumVgprs: 32
; ScratchSize: 0
; MemoryBound: 0
; FloatMode: 240
; IeeeMode: 1
; LDSByteSize: 0 bytes/workgroup (compile time only)
; SGPRBlocks: 0
; VGPRBlocks: 1
; NumSGPRsForWavesPerEU: 25
; NumVGPRsForWavesPerEU: 32
; NamedBarCnt: 0
; Occupancy: 16
; WaveLimiterHint : 1
; COMPUTE_PGM_RSRC2:SCRATCH_EN: 0
; COMPUTE_PGM_RSRC2:USER_SGPR: 2
; COMPUTE_PGM_RSRC2:TRAP_HANDLER: 0
; COMPUTE_PGM_RSRC2:TGID_X_EN: 1
; COMPUTE_PGM_RSRC2:TGID_Y_EN: 0
; COMPUTE_PGM_RSRC2:TGID_Z_EN: 0
; COMPUTE_PGM_RSRC2:TIDIG_COMP_CNT: 0
	.section	.text._ZN9rocsparseL21csrmvn_general_kernelILj256ELj16Eiid21rocsparse_complex_numIdES2_S2_EEvbT2_NS_24const_host_device_scalarIT6_EEPKT1_S9_PKS3_PKT3_PKT4_S6_PT5_21rocsparse_index_base_b,"axG",@progbits,_ZN9rocsparseL21csrmvn_general_kernelILj256ELj16Eiid21rocsparse_complex_numIdES2_S2_EEvbT2_NS_24const_host_device_scalarIT6_EEPKT1_S9_PKS3_PKT3_PKT4_S6_PT5_21rocsparse_index_base_b,comdat
	.globl	_ZN9rocsparseL21csrmvn_general_kernelILj256ELj16Eiid21rocsparse_complex_numIdES2_S2_EEvbT2_NS_24const_host_device_scalarIT6_EEPKT1_S9_PKS3_PKT3_PKT4_S6_PT5_21rocsparse_index_base_b ; -- Begin function _ZN9rocsparseL21csrmvn_general_kernelILj256ELj16Eiid21rocsparse_complex_numIdES2_S2_EEvbT2_NS_24const_host_device_scalarIT6_EEPKT1_S9_PKS3_PKT3_PKT4_S6_PT5_21rocsparse_index_base_b
	.p2align	8
	.type	_ZN9rocsparseL21csrmvn_general_kernelILj256ELj16Eiid21rocsparse_complex_numIdES2_S2_EEvbT2_NS_24const_host_device_scalarIT6_EEPKT1_S9_PKS3_PKT3_PKT4_S6_PT5_21rocsparse_index_base_b,@function
_ZN9rocsparseL21csrmvn_general_kernelILj256ELj16Eiid21rocsparse_complex_numIdES2_S2_EEvbT2_NS_24const_host_device_scalarIT6_EEPKT1_S9_PKS3_PKT3_PKT4_S6_PT5_21rocsparse_index_base_b: ; @_ZN9rocsparseL21csrmvn_general_kernelILj256ELj16Eiid21rocsparse_complex_numIdES2_S2_EEvbT2_NS_24const_host_device_scalarIT6_EEPKT1_S9_PKS3_PKT3_PKT4_S6_PT5_21rocsparse_index_base_b
; %bb.0:
	s_clause 0x1
	s_load_b64 s[12:13], s[0:1], 0x58
	s_load_b64 s[2:3], s[0:1], 0x8
	v_mov_b32_e32 v1, 0
	s_add_nc_u64 s[4:5], s[0:1], 8
	s_load_b64 s[6:7], s[0:1], 0x40
	s_wait_kmcnt 0x0
	s_bitcmp1_b32 s13, 0
	s_cselect_b32 s3, s5, s3
	s_cselect_b32 s2, s4, s2
	flat_load_b128 v[2:5], v1, s[2:3]
	s_wait_xcnt 0x0
	s_add_nc_u64 s[2:3], s[0:1], 64
	s_delay_alu instid0(SALU_CYCLE_1)
	s_cselect_b32 s3, s3, s7
	s_cselect_b32 s2, s2, s6
	flat_load_b128 v[6:9], v1, s[2:3]
	s_wait_loadcnt_dscnt 0x101
	v_cmp_eq_f64_e32 vcc_lo, 0, v[2:3]
	s_wait_xcnt 0x0
	v_cmp_eq_f64_e64 s2, 0, v[4:5]
	s_and_b32 s4, vcc_lo, s2
	s_mov_b32 s2, -1
	s_and_saveexec_b32 s3, s4
	s_cbranch_execz .LBB333_2
; %bb.1:
	s_wait_loadcnt_dscnt 0x0
	v_cmp_neq_f64_e32 vcc_lo, 1.0, v[6:7]
	v_cmp_neq_f64_e64 s2, 0, v[8:9]
	s_or_b32 s2, vcc_lo, s2
	s_delay_alu instid0(SALU_CYCLE_1)
	s_or_not1_b32 s2, s2, exec_lo
.LBB333_2:
	s_or_b32 exec_lo, exec_lo, s3
	s_and_saveexec_b32 s3, s2
	s_cbranch_execz .LBB333_14
; %bb.3:
	s_bfe_u32 s2, ttmp6, 0x4000c
	s_load_b32 s18, s[0:1], 0x4
	s_add_co_i32 s2, s2, 1
	s_and_b32 s3, ttmp6, 15
	s_mul_i32 s2, ttmp9, s2
	s_getreg_b32 s4, hwreg(HW_REG_IB_STS2, 6, 4)
	s_add_co_i32 s3, s3, s2
	s_cmp_eq_u32 s4, 0
	s_mov_b32 s19, 0
	s_cselect_b32 s2, ttmp9, s3
	s_delay_alu instid0(SALU_CYCLE_1) | instskip(NEXT) | instid1(VALU_DEP_1)
	v_lshl_or_b32 v1, s2, 8, v0
	v_lshrrev_b32_e32 v14, 4, v1
	s_wait_kmcnt 0x0
	s_delay_alu instid0(VALU_DEP_1)
	v_cmp_gt_i32_e32 vcc_lo, s18, v14
	s_and_b32 exec_lo, exec_lo, vcc_lo
	s_cbranch_execz .LBB333_14
; %bb.4:
	v_mbcnt_lo_u32_b32 v1, -1, 0
	s_wait_loadcnt_dscnt 0x0
	v_cmp_neq_f64_e64 s2, 0, v[6:7]
	v_cmp_neq_f64_e64 s3, 0, v[8:9]
	v_mul_f64_e32 v[16:17], 0x80000000, v[4:5]
	v_dual_mul_f64 v[18:19], 0, v[2:3] :: v_dual_bitop2_b32 v0, 15, v0 bitop3:0x40
	v_xor_b32_e32 v11, 4, v1
	v_xor_b32_e32 v10, 8, v1
	s_clause 0x3
	s_load_b64 s[14:15], s[0:1], 0x50
	s_load_b32 s22, s[0:1], 0x60
	s_load_b64 s[16:17], s[0:1], 0x38
	s_load_b256 s[4:11], s[0:1], 0x18
	s_ashr_i32 s13, s12, 31
	v_subrev_nc_u32_e32 v22, s12, v0
	v_cmp_gt_i32_e32 vcc_lo, 32, v10
	s_lshl_b64 s[20:21], s[12:13], 4
	v_dual_cndmask_b32 v10, v1, v10, vcc_lo :: v_dual_bitop2_b32 v12, 2, v1 bitop3:0x14
	v_cmp_gt_i32_e32 vcc_lo, 32, v11
	s_delay_alu instid0(VALU_DEP_2) | instskip(NEXT) | instid1(VALU_DEP_3)
	v_dual_lshlrev_b32 v23, 2, v10 :: v_dual_cndmask_b32 v11, v1, v11, vcc_lo
	v_cmp_gt_i32_e32 vcc_lo, 32, v12
	v_xor_b32_e32 v13, 1, v1
	s_wait_kmcnt 0x0
	s_lshl_b32 s1, s22, 4
	s_sub_nc_u64 s[16:17], s[16:17], s[20:21]
	v_dual_lshlrev_b32 v24, 2, v11 :: v_dual_cndmask_b32 v12, v1, v12, vcc_lo
	v_cmp_gt_i32_e32 vcc_lo, 32, v13
	s_or_b32 s2, s2, s3
	s_delay_alu instid0(VALU_DEP_2) | instskip(SKIP_1) | instid1(VALU_DEP_2)
	v_dual_cndmask_b32 v1, v1, v13, vcc_lo :: v_dual_lshlrev_b32 v25, 2, v12
	v_cmp_eq_u32_e32 vcc_lo, 15, v0
	v_lshlrev_b32_e32 v26, 2, v1
	s_branch .LBB333_7
.LBB333_5:                              ;   in Loop: Header=BB333_7 Depth=1
	s_wait_xcnt 0x0
	s_or_b32 exec_lo, exec_lo, s3
	global_store_b128 v[0:1], v[10:13], off
.LBB333_6:                              ;   in Loop: Header=BB333_7 Depth=1
	s_wait_xcnt 0x0
	s_or_b32 exec_lo, exec_lo, s0
	v_add_nc_u32_e32 v14, s1, v14
	s_delay_alu instid0(VALU_DEP_1) | instskip(SKIP_1) | instid1(SALU_CYCLE_1)
	v_cmp_le_i32_e64 s0, s18, v14
	s_or_b32 s19, s0, s19
	s_and_not1_b32 exec_lo, exec_lo, s19
	s_cbranch_execz .LBB333_14
.LBB333_7:                              ; =>This Loop Header: Depth=1
                                        ;     Child Loop BB333_9 Depth 2
	s_clause 0x1
	global_load_b32 v0, v14, s[6:7] scale_offset
	global_load_b32 v1, v14, s[4:5] scale_offset
	s_wait_dscnt 0x2
	v_mov_b64_e32 v[10:11], 0
	s_mov_b32 s3, exec_lo
	s_wait_loadcnt 0x1
	v_subrev_nc_u32_e32 v12, s12, v0
	s_wait_loadcnt 0x0
	v_add_nc_u32_e32 v13, v1, v22
	v_mov_b64_e32 v[0:1], 0
	s_wait_xcnt 0x0
	s_delay_alu instid0(VALU_DEP_2)
	v_cmpx_lt_i32_e64 v13, v12
	s_cbranch_execz .LBB333_11
; %bb.8:                                ;   in Loop: Header=BB333_7 Depth=1
	v_mov_b64_e32 v[0:1], 0
	v_mov_b64_e32 v[10:11], 0
	s_mov_b32 s13, 0
.LBB333_9:                              ;   Parent Loop BB333_7 Depth=1
                                        ; =>  This Inner Loop Header: Depth=2
	global_load_b32 v15, v13, s[8:9] scale_offset
	s_wait_dscnt 0x0
	global_load_b64 v[20:21], v13, s[10:11] scale_offset
	s_wait_xcnt 0x0
	v_add_nc_u32_e32 v13, 16, v13
	s_delay_alu instid0(VALU_DEP_1)
	v_cmp_ge_i32_e64 s0, v13, v12
	s_or_b32 s13, s0, s13
	s_wait_loadcnt 0x1
	global_load_b128 v[28:31], v15, s[16:17] scale_offset
	s_wait_loadcnt 0x1
	v_fma_f64 v[32:33], v[2:3], v[20:21], v[16:17]
	v_fma_f64 v[20:21], v[4:5], v[20:21], v[18:19]
	s_wait_loadcnt 0x0
	s_delay_alu instid0(VALU_DEP_2) | instskip(NEXT) | instid1(VALU_DEP_2)
	v_fmac_f64_e32 v[10:11], v[32:33], v[28:29]
	v_fmac_f64_e32 v[0:1], v[20:21], v[28:29]
	s_delay_alu instid0(VALU_DEP_2) | instskip(NEXT) | instid1(VALU_DEP_2)
	v_fma_f64 v[10:11], -v[20:21], v[30:31], v[10:11]
	v_fmac_f64_e32 v[0:1], v[32:33], v[30:31]
	s_wait_xcnt 0x0
	s_and_not1_b32 exec_lo, exec_lo, s13
	s_cbranch_execnz .LBB333_9
; %bb.10:                               ;   in Loop: Header=BB333_7 Depth=1
	s_or_b32 exec_lo, exec_lo, s13
.LBB333_11:                             ;   in Loop: Header=BB333_7 Depth=1
	s_delay_alu instid0(SALU_CYCLE_1)
	s_or_b32 exec_lo, exec_lo, s3
	ds_bpermute_b32 v12, v23, v10
	ds_bpermute_b32 v13, v23, v11
	s_wait_dscnt 0x3
	ds_bpermute_b32 v20, v23, v0
	s_wait_dscnt 0x3
	;; [unrolled: 2-line block ×3, first 2 shown]
	v_dual_add_f64 v[10:11], v[10:11], v[12:13] :: v_dual_ashrrev_i32 v15, 31, v14
	s_wait_dscnt 0x0
	v_add_f64_e32 v[0:1], v[0:1], v[20:21]
	ds_bpermute_b32 v12, v24, v10
	ds_bpermute_b32 v13, v24, v11
	;; [unrolled: 1-line block ×4, first 2 shown]
	s_wait_dscnt 0x2
	v_add_f64_e32 v[10:11], v[10:11], v[12:13]
	s_wait_dscnt 0x0
	v_add_f64_e32 v[12:13], v[0:1], v[20:21]
	ds_bpermute_b32 v0, v25, v10
	ds_bpermute_b32 v1, v25, v11
	;; [unrolled: 1-line block ×4, first 2 shown]
	s_wait_dscnt 0x2
	v_add_f64_e32 v[0:1], v[10:11], v[0:1]
	s_wait_dscnt 0x0
	v_add_f64_e32 v[12:13], v[12:13], v[20:21]
	ds_bpermute_b32 v10, v26, v0
	ds_bpermute_b32 v11, v26, v1
	;; [unrolled: 1-line block ×4, first 2 shown]
	s_and_saveexec_b32 s0, vcc_lo
	s_cbranch_execz .LBB333_6
; %bb.12:                               ;   in Loop: Header=BB333_7 Depth=1
	s_wait_dscnt 0x2
	v_add_f64_e32 v[10:11], v[0:1], v[10:11]
	s_wait_dscnt 0x0
	v_add_f64_e32 v[12:13], v[12:13], v[20:21]
	v_lshl_add_u64 v[0:1], v[14:15], 4, s[14:15]
	s_and_saveexec_b32 s3, s2
	s_cbranch_execz .LBB333_5
; %bb.13:                               ;   in Loop: Header=BB333_7 Depth=1
	global_load_b128 v[28:31], v[0:1], off
	s_wait_loadcnt 0x0
	v_fmac_f64_e32 v[10:11], v[6:7], v[28:29]
	v_fmac_f64_e32 v[12:13], v[8:9], v[28:29]
	s_delay_alu instid0(VALU_DEP_2) | instskip(NEXT) | instid1(VALU_DEP_2)
	v_fma_f64 v[10:11], -v[8:9], v[30:31], v[10:11]
	v_fmac_f64_e32 v[12:13], v[6:7], v[30:31]
	s_branch .LBB333_5
.LBB333_14:
	s_endpgm
	.section	.rodata,"a",@progbits
	.p2align	6, 0x0
	.amdhsa_kernel _ZN9rocsparseL21csrmvn_general_kernelILj256ELj16Eiid21rocsparse_complex_numIdES2_S2_EEvbT2_NS_24const_host_device_scalarIT6_EEPKT1_S9_PKS3_PKT3_PKT4_S6_PT5_21rocsparse_index_base_b
		.amdhsa_group_segment_fixed_size 0
		.amdhsa_private_segment_fixed_size 0
		.amdhsa_kernarg_size 352
		.amdhsa_user_sgpr_count 2
		.amdhsa_user_sgpr_dispatch_ptr 0
		.amdhsa_user_sgpr_queue_ptr 0
		.amdhsa_user_sgpr_kernarg_segment_ptr 1
		.amdhsa_user_sgpr_dispatch_id 0
		.amdhsa_user_sgpr_kernarg_preload_length 0
		.amdhsa_user_sgpr_kernarg_preload_offset 0
		.amdhsa_user_sgpr_private_segment_size 0
		.amdhsa_wavefront_size32 1
		.amdhsa_uses_dynamic_stack 0
		.amdhsa_enable_private_segment 0
		.amdhsa_system_sgpr_workgroup_id_x 1
		.amdhsa_system_sgpr_workgroup_id_y 0
		.amdhsa_system_sgpr_workgroup_id_z 0
		.amdhsa_system_sgpr_workgroup_info 0
		.amdhsa_system_vgpr_workitem_id 0
		.amdhsa_next_free_vgpr 34
		.amdhsa_next_free_sgpr 23
		.amdhsa_named_barrier_count 0
		.amdhsa_reserve_vcc 1
		.amdhsa_float_round_mode_32 0
		.amdhsa_float_round_mode_16_64 0
		.amdhsa_float_denorm_mode_32 3
		.amdhsa_float_denorm_mode_16_64 3
		.amdhsa_fp16_overflow 0
		.amdhsa_memory_ordered 1
		.amdhsa_forward_progress 1
		.amdhsa_inst_pref_size 9
		.amdhsa_round_robin_scheduling 0
		.amdhsa_exception_fp_ieee_invalid_op 0
		.amdhsa_exception_fp_denorm_src 0
		.amdhsa_exception_fp_ieee_div_zero 0
		.amdhsa_exception_fp_ieee_overflow 0
		.amdhsa_exception_fp_ieee_underflow 0
		.amdhsa_exception_fp_ieee_inexact 0
		.amdhsa_exception_int_div_zero 0
	.end_amdhsa_kernel
	.section	.text._ZN9rocsparseL21csrmvn_general_kernelILj256ELj16Eiid21rocsparse_complex_numIdES2_S2_EEvbT2_NS_24const_host_device_scalarIT6_EEPKT1_S9_PKS3_PKT3_PKT4_S6_PT5_21rocsparse_index_base_b,"axG",@progbits,_ZN9rocsparseL21csrmvn_general_kernelILj256ELj16Eiid21rocsparse_complex_numIdES2_S2_EEvbT2_NS_24const_host_device_scalarIT6_EEPKT1_S9_PKS3_PKT3_PKT4_S6_PT5_21rocsparse_index_base_b,comdat
.Lfunc_end333:
	.size	_ZN9rocsparseL21csrmvn_general_kernelILj256ELj16Eiid21rocsparse_complex_numIdES2_S2_EEvbT2_NS_24const_host_device_scalarIT6_EEPKT1_S9_PKS3_PKT3_PKT4_S6_PT5_21rocsparse_index_base_b, .Lfunc_end333-_ZN9rocsparseL21csrmvn_general_kernelILj256ELj16Eiid21rocsparse_complex_numIdES2_S2_EEvbT2_NS_24const_host_device_scalarIT6_EEPKT1_S9_PKS3_PKT3_PKT4_S6_PT5_21rocsparse_index_base_b
                                        ; -- End function
	.set _ZN9rocsparseL21csrmvn_general_kernelILj256ELj16Eiid21rocsparse_complex_numIdES2_S2_EEvbT2_NS_24const_host_device_scalarIT6_EEPKT1_S9_PKS3_PKT3_PKT4_S6_PT5_21rocsparse_index_base_b.num_vgpr, 34
	.set _ZN9rocsparseL21csrmvn_general_kernelILj256ELj16Eiid21rocsparse_complex_numIdES2_S2_EEvbT2_NS_24const_host_device_scalarIT6_EEPKT1_S9_PKS3_PKT3_PKT4_S6_PT5_21rocsparse_index_base_b.num_agpr, 0
	.set _ZN9rocsparseL21csrmvn_general_kernelILj256ELj16Eiid21rocsparse_complex_numIdES2_S2_EEvbT2_NS_24const_host_device_scalarIT6_EEPKT1_S9_PKS3_PKT3_PKT4_S6_PT5_21rocsparse_index_base_b.numbered_sgpr, 23
	.set _ZN9rocsparseL21csrmvn_general_kernelILj256ELj16Eiid21rocsparse_complex_numIdES2_S2_EEvbT2_NS_24const_host_device_scalarIT6_EEPKT1_S9_PKS3_PKT3_PKT4_S6_PT5_21rocsparse_index_base_b.num_named_barrier, 0
	.set _ZN9rocsparseL21csrmvn_general_kernelILj256ELj16Eiid21rocsparse_complex_numIdES2_S2_EEvbT2_NS_24const_host_device_scalarIT6_EEPKT1_S9_PKS3_PKT3_PKT4_S6_PT5_21rocsparse_index_base_b.private_seg_size, 0
	.set _ZN9rocsparseL21csrmvn_general_kernelILj256ELj16Eiid21rocsparse_complex_numIdES2_S2_EEvbT2_NS_24const_host_device_scalarIT6_EEPKT1_S9_PKS3_PKT3_PKT4_S6_PT5_21rocsparse_index_base_b.uses_vcc, 1
	.set _ZN9rocsparseL21csrmvn_general_kernelILj256ELj16Eiid21rocsparse_complex_numIdES2_S2_EEvbT2_NS_24const_host_device_scalarIT6_EEPKT1_S9_PKS3_PKT3_PKT4_S6_PT5_21rocsparse_index_base_b.uses_flat_scratch, 0
	.set _ZN9rocsparseL21csrmvn_general_kernelILj256ELj16Eiid21rocsparse_complex_numIdES2_S2_EEvbT2_NS_24const_host_device_scalarIT6_EEPKT1_S9_PKS3_PKT3_PKT4_S6_PT5_21rocsparse_index_base_b.has_dyn_sized_stack, 0
	.set _ZN9rocsparseL21csrmvn_general_kernelILj256ELj16Eiid21rocsparse_complex_numIdES2_S2_EEvbT2_NS_24const_host_device_scalarIT6_EEPKT1_S9_PKS3_PKT3_PKT4_S6_PT5_21rocsparse_index_base_b.has_recursion, 0
	.set _ZN9rocsparseL21csrmvn_general_kernelILj256ELj16Eiid21rocsparse_complex_numIdES2_S2_EEvbT2_NS_24const_host_device_scalarIT6_EEPKT1_S9_PKS3_PKT3_PKT4_S6_PT5_21rocsparse_index_base_b.has_indirect_call, 0
	.section	.AMDGPU.csdata,"",@progbits
; Kernel info:
; codeLenInByte = 1036
; TotalNumSgprs: 25
; NumVgprs: 34
; ScratchSize: 0
; MemoryBound: 0
; FloatMode: 240
; IeeeMode: 1
; LDSByteSize: 0 bytes/workgroup (compile time only)
; SGPRBlocks: 0
; VGPRBlocks: 2
; NumSGPRsForWavesPerEU: 25
; NumVGPRsForWavesPerEU: 34
; NamedBarCnt: 0
; Occupancy: 16
; WaveLimiterHint : 1
; COMPUTE_PGM_RSRC2:SCRATCH_EN: 0
; COMPUTE_PGM_RSRC2:USER_SGPR: 2
; COMPUTE_PGM_RSRC2:TRAP_HANDLER: 0
; COMPUTE_PGM_RSRC2:TGID_X_EN: 1
; COMPUTE_PGM_RSRC2:TGID_Y_EN: 0
; COMPUTE_PGM_RSRC2:TGID_Z_EN: 0
; COMPUTE_PGM_RSRC2:TIDIG_COMP_CNT: 0
	.section	.text._ZN9rocsparseL21csrmvn_general_kernelILj256ELj32Eiid21rocsparse_complex_numIdES2_S2_EEvbT2_NS_24const_host_device_scalarIT6_EEPKT1_S9_PKS3_PKT3_PKT4_S6_PT5_21rocsparse_index_base_b,"axG",@progbits,_ZN9rocsparseL21csrmvn_general_kernelILj256ELj32Eiid21rocsparse_complex_numIdES2_S2_EEvbT2_NS_24const_host_device_scalarIT6_EEPKT1_S9_PKS3_PKT3_PKT4_S6_PT5_21rocsparse_index_base_b,comdat
	.globl	_ZN9rocsparseL21csrmvn_general_kernelILj256ELj32Eiid21rocsparse_complex_numIdES2_S2_EEvbT2_NS_24const_host_device_scalarIT6_EEPKT1_S9_PKS3_PKT3_PKT4_S6_PT5_21rocsparse_index_base_b ; -- Begin function _ZN9rocsparseL21csrmvn_general_kernelILj256ELj32Eiid21rocsparse_complex_numIdES2_S2_EEvbT2_NS_24const_host_device_scalarIT6_EEPKT1_S9_PKS3_PKT3_PKT4_S6_PT5_21rocsparse_index_base_b
	.p2align	8
	.type	_ZN9rocsparseL21csrmvn_general_kernelILj256ELj32Eiid21rocsparse_complex_numIdES2_S2_EEvbT2_NS_24const_host_device_scalarIT6_EEPKT1_S9_PKS3_PKT3_PKT4_S6_PT5_21rocsparse_index_base_b,@function
_ZN9rocsparseL21csrmvn_general_kernelILj256ELj32Eiid21rocsparse_complex_numIdES2_S2_EEvbT2_NS_24const_host_device_scalarIT6_EEPKT1_S9_PKS3_PKT3_PKT4_S6_PT5_21rocsparse_index_base_b: ; @_ZN9rocsparseL21csrmvn_general_kernelILj256ELj32Eiid21rocsparse_complex_numIdES2_S2_EEvbT2_NS_24const_host_device_scalarIT6_EEPKT1_S9_PKS3_PKT3_PKT4_S6_PT5_21rocsparse_index_base_b
; %bb.0:
	s_clause 0x1
	s_load_b64 s[12:13], s[0:1], 0x58
	s_load_b64 s[2:3], s[0:1], 0x8
	v_mov_b32_e32 v1, 0
	s_add_nc_u64 s[4:5], s[0:1], 8
	s_load_b64 s[6:7], s[0:1], 0x40
	s_wait_kmcnt 0x0
	s_bitcmp1_b32 s13, 0
	s_cselect_b32 s3, s5, s3
	s_cselect_b32 s2, s4, s2
	flat_load_b128 v[2:5], v1, s[2:3]
	s_wait_xcnt 0x0
	s_add_nc_u64 s[2:3], s[0:1], 64
	s_delay_alu instid0(SALU_CYCLE_1)
	s_cselect_b32 s3, s3, s7
	s_cselect_b32 s2, s2, s6
	flat_load_b128 v[6:9], v1, s[2:3]
	s_wait_loadcnt_dscnt 0x101
	v_cmp_eq_f64_e32 vcc_lo, 0, v[2:3]
	s_wait_xcnt 0x0
	v_cmp_eq_f64_e64 s2, 0, v[4:5]
	s_and_b32 s4, vcc_lo, s2
	s_mov_b32 s2, -1
	s_and_saveexec_b32 s3, s4
	s_cbranch_execz .LBB334_2
; %bb.1:
	s_wait_loadcnt_dscnt 0x0
	v_cmp_neq_f64_e32 vcc_lo, 1.0, v[6:7]
	v_cmp_neq_f64_e64 s2, 0, v[8:9]
	s_or_b32 s2, vcc_lo, s2
	s_delay_alu instid0(SALU_CYCLE_1)
	s_or_not1_b32 s2, s2, exec_lo
.LBB334_2:
	s_or_b32 exec_lo, exec_lo, s3
	s_and_saveexec_b32 s3, s2
	s_cbranch_execz .LBB334_14
; %bb.3:
	s_bfe_u32 s2, ttmp6, 0x4000c
	s_load_b32 s18, s[0:1], 0x4
	s_add_co_i32 s2, s2, 1
	s_and_b32 s3, ttmp6, 15
	s_mul_i32 s2, ttmp9, s2
	s_getreg_b32 s4, hwreg(HW_REG_IB_STS2, 6, 4)
	s_add_co_i32 s3, s3, s2
	s_cmp_eq_u32 s4, 0
	s_mov_b32 s19, 0
	s_cselect_b32 s2, ttmp9, s3
	s_delay_alu instid0(SALU_CYCLE_1) | instskip(NEXT) | instid1(VALU_DEP_1)
	v_lshl_or_b32 v1, s2, 8, v0
	v_lshrrev_b32_e32 v14, 5, v1
	s_wait_kmcnt 0x0
	s_delay_alu instid0(VALU_DEP_1)
	v_cmp_gt_i32_e32 vcc_lo, s18, v14
	s_and_b32 exec_lo, exec_lo, vcc_lo
	s_cbranch_execz .LBB334_14
; %bb.4:
	v_mbcnt_lo_u32_b32 v11, -1, 0
	s_wait_loadcnt_dscnt 0x0
	v_cmp_neq_f64_e64 s2, 0, v[6:7]
	v_cmp_neq_f64_e64 s3, 0, v[8:9]
	v_dual_mul_f64 v[16:17], 0, v[2:3] :: v_dual_bitop2_b32 v10, 31, v0 bitop3:0x40
	v_xor_b32_e32 v13, 8, v11
	v_xor_b32_e32 v12, 16, v11
	v_mul_f64_e32 v[0:1], 0x80000000, v[4:5]
	s_clause 0x3
	s_load_b64 s[14:15], s[0:1], 0x50
	s_load_b32 s22, s[0:1], 0x60
	s_load_b64 s[16:17], s[0:1], 0x38
	s_load_b256 s[4:11], s[0:1], 0x18
	s_ashr_i32 s13, s12, 31
	v_cmp_gt_i32_e32 vcc_lo, 32, v12
	v_subrev_nc_u32_e32 v22, s12, v10
	s_lshl_b64 s[20:21], s[12:13], 4
	v_dual_cndmask_b32 v12, v11, v12, vcc_lo :: v_dual_bitop2_b32 v18, 2, v11 bitop3:0x14
	v_cmp_gt_i32_e32 vcc_lo, 32, v13
	s_delay_alu instid0(VALU_DEP_2) | instskip(SKIP_1) | instid1(VALU_DEP_2)
	v_dual_lshlrev_b32 v23, 2, v12 :: v_dual_bitop2_b32 v15, 4, v11 bitop3:0x14
	v_dual_cndmask_b32 v13, v11, v13, vcc_lo :: v_dual_bitop2_b32 v19, 1, v11 bitop3:0x14
	v_cmp_gt_i32_e32 vcc_lo, 32, v15
	s_delay_alu instid0(VALU_DEP_2)
	v_lshlrev_b32_e32 v24, 2, v13
	s_wait_kmcnt 0x0
	s_lshl_b32 s1, s22, 3
	s_sub_nc_u64 s[16:17], s[16:17], s[20:21]
	v_cndmask_b32_e32 v15, v11, v15, vcc_lo
	v_cmp_gt_i32_e32 vcc_lo, 32, v18
	s_or_b32 s2, s2, s3
	v_cndmask_b32_e32 v18, v11, v18, vcc_lo
	v_cmp_gt_i32_e32 vcc_lo, 32, v19
	s_delay_alu instid0(VALU_DEP_2) | instskip(SKIP_2) | instid1(VALU_DEP_3)
	v_dual_cndmask_b32 v11, v11, v19 :: v_dual_lshlrev_b32 v26, 2, v18
	v_lshlrev_b32_e32 v25, 2, v15
	v_cmp_eq_u32_e32 vcc_lo, 31, v10
	v_lshlrev_b32_e32 v27, 2, v11
	s_branch .LBB334_7
.LBB334_5:                              ;   in Loop: Header=BB334_7 Depth=1
	s_wait_xcnt 0x0
	s_or_b32 exec_lo, exec_lo, s3
	global_store_b128 v[18:19], v[10:13], off
.LBB334_6:                              ;   in Loop: Header=BB334_7 Depth=1
	s_wait_xcnt 0x0
	s_or_b32 exec_lo, exec_lo, s0
	v_add_nc_u32_e32 v14, s1, v14
	s_delay_alu instid0(VALU_DEP_1) | instskip(SKIP_1) | instid1(SALU_CYCLE_1)
	v_cmp_le_i32_e64 s0, s18, v14
	s_or_b32 s19, s0, s19
	s_and_not1_b32 exec_lo, exec_lo, s19
	s_cbranch_execz .LBB334_14
.LBB334_7:                              ; =>This Loop Header: Depth=1
                                        ;     Child Loop BB334_9 Depth 2
	s_clause 0x1
	global_load_b32 v10, v14, s[6:7] scale_offset
	global_load_b32 v11, v14, s[4:5] scale_offset
	v_mov_b64_e32 v[12:13], 0
	s_mov_b32 s3, exec_lo
	s_wait_loadcnt 0x1
	v_subrev_nc_u32_e32 v15, s12, v10
	s_wait_loadcnt_dscnt 0x1
	v_add_nc_u32_e32 v18, v11, v22
	v_mov_b64_e32 v[10:11], 0
	s_wait_xcnt 0x0
	s_delay_alu instid0(VALU_DEP_2)
	v_cmpx_lt_i32_e64 v18, v15
	s_cbranch_execz .LBB334_11
; %bb.8:                                ;   in Loop: Header=BB334_7 Depth=1
	v_mov_b64_e32 v[10:11], 0
	v_mov_b64_e32 v[12:13], 0
	s_mov_b32 s13, 0
.LBB334_9:                              ;   Parent Loop BB334_7 Depth=1
                                        ; =>  This Inner Loop Header: Depth=2
	s_wait_dscnt 0x0
	s_clause 0x1
	global_load_b32 v19, v18, s[8:9] scale_offset
	global_load_b64 v[20:21], v18, s[10:11] scale_offset
	s_wait_xcnt 0x0
	v_add_nc_u32_e32 v18, 32, v18
	s_delay_alu instid0(VALU_DEP_1)
	v_cmp_ge_i32_e64 s0, v18, v15
	s_or_b32 s13, s0, s13
	s_wait_loadcnt 0x1
	global_load_b128 v[28:31], v19, s[16:17] scale_offset
	s_wait_loadcnt 0x1
	v_fma_f64 v[32:33], v[2:3], v[20:21], v[0:1]
	v_fma_f64 v[20:21], v[4:5], v[20:21], v[16:17]
	s_wait_loadcnt 0x0
	s_delay_alu instid0(VALU_DEP_2) | instskip(NEXT) | instid1(VALU_DEP_2)
	v_fmac_f64_e32 v[12:13], v[32:33], v[28:29]
	v_fmac_f64_e32 v[10:11], v[20:21], v[28:29]
	s_delay_alu instid0(VALU_DEP_2) | instskip(NEXT) | instid1(VALU_DEP_2)
	v_fma_f64 v[12:13], -v[20:21], v[30:31], v[12:13]
	v_fmac_f64_e32 v[10:11], v[32:33], v[30:31]
	s_wait_xcnt 0x0
	s_and_not1_b32 exec_lo, exec_lo, s13
	s_cbranch_execnz .LBB334_9
; %bb.10:                               ;   in Loop: Header=BB334_7 Depth=1
	s_or_b32 exec_lo, exec_lo, s13
.LBB334_11:                             ;   in Loop: Header=BB334_7 Depth=1
	s_delay_alu instid0(SALU_CYCLE_1)
	s_or_b32 exec_lo, exec_lo, s3
	ds_bpermute_b32 v18, v23, v12
	s_wait_dscnt 0x1
	ds_bpermute_b32 v19, v23, v13
	ds_bpermute_b32 v20, v23, v10
	;; [unrolled: 1-line block ×3, first 2 shown]
	v_ashrrev_i32_e32 v15, 31, v14
	s_wait_dscnt 0x2
	v_add_f64_e32 v[12:13], v[12:13], v[18:19]
	s_wait_dscnt 0x0
	v_add_f64_e32 v[10:11], v[10:11], v[20:21]
	ds_bpermute_b32 v18, v24, v12
	ds_bpermute_b32 v19, v24, v13
	ds_bpermute_b32 v20, v24, v10
	ds_bpermute_b32 v21, v24, v11
	s_wait_dscnt 0x2
	v_add_f64_e32 v[12:13], v[12:13], v[18:19]
	s_wait_dscnt 0x0
	v_add_f64_e32 v[10:11], v[10:11], v[20:21]
	ds_bpermute_b32 v18, v25, v12
	ds_bpermute_b32 v19, v25, v13
	ds_bpermute_b32 v20, v25, v10
	ds_bpermute_b32 v21, v25, v11
	s_wait_dscnt 0x2
	v_add_f64_e32 v[12:13], v[12:13], v[18:19]
	s_wait_dscnt 0x0
	v_add_f64_e32 v[18:19], v[10:11], v[20:21]
	ds_bpermute_b32 v10, v26, v12
	ds_bpermute_b32 v11, v26, v13
	ds_bpermute_b32 v20, v26, v18
	ds_bpermute_b32 v21, v26, v19
	s_wait_dscnt 0x2
	v_add_f64_e32 v[10:11], v[12:13], v[10:11]
	s_wait_dscnt 0x0
	v_add_f64_e32 v[12:13], v[18:19], v[20:21]
	ds_bpermute_b32 v20, v27, v10
	ds_bpermute_b32 v21, v27, v11
	ds_bpermute_b32 v18, v27, v12
	ds_bpermute_b32 v19, v27, v13
	s_and_saveexec_b32 s0, vcc_lo
	s_cbranch_execz .LBB334_6
; %bb.12:                               ;   in Loop: Header=BB334_7 Depth=1
	s_wait_dscnt 0x2
	v_add_f64_e32 v[10:11], v[10:11], v[20:21]
	s_wait_dscnt 0x0
	v_add_f64_e32 v[12:13], v[12:13], v[18:19]
	v_lshl_add_u64 v[18:19], v[14:15], 4, s[14:15]
	s_and_saveexec_b32 s3, s2
	s_cbranch_execz .LBB334_5
; %bb.13:                               ;   in Loop: Header=BB334_7 Depth=1
	global_load_b128 v[28:31], v[18:19], off
	s_wait_loadcnt 0x0
	v_fmac_f64_e32 v[10:11], v[6:7], v[28:29]
	v_fmac_f64_e32 v[12:13], v[8:9], v[28:29]
	s_delay_alu instid0(VALU_DEP_2) | instskip(NEXT) | instid1(VALU_DEP_2)
	v_fma_f64 v[10:11], -v[8:9], v[30:31], v[10:11]
	v_fmac_f64_e32 v[12:13], v[6:7], v[30:31]
	s_branch .LBB334_5
.LBB334_14:
	s_endpgm
	.section	.rodata,"a",@progbits
	.p2align	6, 0x0
	.amdhsa_kernel _ZN9rocsparseL21csrmvn_general_kernelILj256ELj32Eiid21rocsparse_complex_numIdES2_S2_EEvbT2_NS_24const_host_device_scalarIT6_EEPKT1_S9_PKS3_PKT3_PKT4_S6_PT5_21rocsparse_index_base_b
		.amdhsa_group_segment_fixed_size 0
		.amdhsa_private_segment_fixed_size 0
		.amdhsa_kernarg_size 352
		.amdhsa_user_sgpr_count 2
		.amdhsa_user_sgpr_dispatch_ptr 0
		.amdhsa_user_sgpr_queue_ptr 0
		.amdhsa_user_sgpr_kernarg_segment_ptr 1
		.amdhsa_user_sgpr_dispatch_id 0
		.amdhsa_user_sgpr_kernarg_preload_length 0
		.amdhsa_user_sgpr_kernarg_preload_offset 0
		.amdhsa_user_sgpr_private_segment_size 0
		.amdhsa_wavefront_size32 1
		.amdhsa_uses_dynamic_stack 0
		.amdhsa_enable_private_segment 0
		.amdhsa_system_sgpr_workgroup_id_x 1
		.amdhsa_system_sgpr_workgroup_id_y 0
		.amdhsa_system_sgpr_workgroup_id_z 0
		.amdhsa_system_sgpr_workgroup_info 0
		.amdhsa_system_vgpr_workitem_id 0
		.amdhsa_next_free_vgpr 34
		.amdhsa_next_free_sgpr 23
		.amdhsa_named_barrier_count 0
		.amdhsa_reserve_vcc 1
		.amdhsa_float_round_mode_32 0
		.amdhsa_float_round_mode_16_64 0
		.amdhsa_float_denorm_mode_32 3
		.amdhsa_float_denorm_mode_16_64 3
		.amdhsa_fp16_overflow 0
		.amdhsa_memory_ordered 1
		.amdhsa_forward_progress 1
		.amdhsa_inst_pref_size 9
		.amdhsa_round_robin_scheduling 0
		.amdhsa_exception_fp_ieee_invalid_op 0
		.amdhsa_exception_fp_denorm_src 0
		.amdhsa_exception_fp_ieee_div_zero 0
		.amdhsa_exception_fp_ieee_overflow 0
		.amdhsa_exception_fp_ieee_underflow 0
		.amdhsa_exception_fp_ieee_inexact 0
		.amdhsa_exception_int_div_zero 0
	.end_amdhsa_kernel
	.section	.text._ZN9rocsparseL21csrmvn_general_kernelILj256ELj32Eiid21rocsparse_complex_numIdES2_S2_EEvbT2_NS_24const_host_device_scalarIT6_EEPKT1_S9_PKS3_PKT3_PKT4_S6_PT5_21rocsparse_index_base_b,"axG",@progbits,_ZN9rocsparseL21csrmvn_general_kernelILj256ELj32Eiid21rocsparse_complex_numIdES2_S2_EEvbT2_NS_24const_host_device_scalarIT6_EEPKT1_S9_PKS3_PKT3_PKT4_S6_PT5_21rocsparse_index_base_b,comdat
.Lfunc_end334:
	.size	_ZN9rocsparseL21csrmvn_general_kernelILj256ELj32Eiid21rocsparse_complex_numIdES2_S2_EEvbT2_NS_24const_host_device_scalarIT6_EEPKT1_S9_PKS3_PKT3_PKT4_S6_PT5_21rocsparse_index_base_b, .Lfunc_end334-_ZN9rocsparseL21csrmvn_general_kernelILj256ELj32Eiid21rocsparse_complex_numIdES2_S2_EEvbT2_NS_24const_host_device_scalarIT6_EEPKT1_S9_PKS3_PKT3_PKT4_S6_PT5_21rocsparse_index_base_b
                                        ; -- End function
	.set _ZN9rocsparseL21csrmvn_general_kernelILj256ELj32Eiid21rocsparse_complex_numIdES2_S2_EEvbT2_NS_24const_host_device_scalarIT6_EEPKT1_S9_PKS3_PKT3_PKT4_S6_PT5_21rocsparse_index_base_b.num_vgpr, 34
	.set _ZN9rocsparseL21csrmvn_general_kernelILj256ELj32Eiid21rocsparse_complex_numIdES2_S2_EEvbT2_NS_24const_host_device_scalarIT6_EEPKT1_S9_PKS3_PKT3_PKT4_S6_PT5_21rocsparse_index_base_b.num_agpr, 0
	.set _ZN9rocsparseL21csrmvn_general_kernelILj256ELj32Eiid21rocsparse_complex_numIdES2_S2_EEvbT2_NS_24const_host_device_scalarIT6_EEPKT1_S9_PKS3_PKT3_PKT4_S6_PT5_21rocsparse_index_base_b.numbered_sgpr, 23
	.set _ZN9rocsparseL21csrmvn_general_kernelILj256ELj32Eiid21rocsparse_complex_numIdES2_S2_EEvbT2_NS_24const_host_device_scalarIT6_EEPKT1_S9_PKS3_PKT3_PKT4_S6_PT5_21rocsparse_index_base_b.num_named_barrier, 0
	.set _ZN9rocsparseL21csrmvn_general_kernelILj256ELj32Eiid21rocsparse_complex_numIdES2_S2_EEvbT2_NS_24const_host_device_scalarIT6_EEPKT1_S9_PKS3_PKT3_PKT4_S6_PT5_21rocsparse_index_base_b.private_seg_size, 0
	.set _ZN9rocsparseL21csrmvn_general_kernelILj256ELj32Eiid21rocsparse_complex_numIdES2_S2_EEvbT2_NS_24const_host_device_scalarIT6_EEPKT1_S9_PKS3_PKT3_PKT4_S6_PT5_21rocsparse_index_base_b.uses_vcc, 1
	.set _ZN9rocsparseL21csrmvn_general_kernelILj256ELj32Eiid21rocsparse_complex_numIdES2_S2_EEvbT2_NS_24const_host_device_scalarIT6_EEPKT1_S9_PKS3_PKT3_PKT4_S6_PT5_21rocsparse_index_base_b.uses_flat_scratch, 0
	.set _ZN9rocsparseL21csrmvn_general_kernelILj256ELj32Eiid21rocsparse_complex_numIdES2_S2_EEvbT2_NS_24const_host_device_scalarIT6_EEPKT1_S9_PKS3_PKT3_PKT4_S6_PT5_21rocsparse_index_base_b.has_dyn_sized_stack, 0
	.set _ZN9rocsparseL21csrmvn_general_kernelILj256ELj32Eiid21rocsparse_complex_numIdES2_S2_EEvbT2_NS_24const_host_device_scalarIT6_EEPKT1_S9_PKS3_PKT3_PKT4_S6_PT5_21rocsparse_index_base_b.has_recursion, 0
	.set _ZN9rocsparseL21csrmvn_general_kernelILj256ELj32Eiid21rocsparse_complex_numIdES2_S2_EEvbT2_NS_24const_host_device_scalarIT6_EEPKT1_S9_PKS3_PKT3_PKT4_S6_PT5_21rocsparse_index_base_b.has_indirect_call, 0
	.section	.AMDGPU.csdata,"",@progbits
; Kernel info:
; codeLenInByte = 1092
; TotalNumSgprs: 25
; NumVgprs: 34
; ScratchSize: 0
; MemoryBound: 0
; FloatMode: 240
; IeeeMode: 1
; LDSByteSize: 0 bytes/workgroup (compile time only)
; SGPRBlocks: 0
; VGPRBlocks: 2
; NumSGPRsForWavesPerEU: 25
; NumVGPRsForWavesPerEU: 34
; NamedBarCnt: 0
; Occupancy: 16
; WaveLimiterHint : 1
; COMPUTE_PGM_RSRC2:SCRATCH_EN: 0
; COMPUTE_PGM_RSRC2:USER_SGPR: 2
; COMPUTE_PGM_RSRC2:TRAP_HANDLER: 0
; COMPUTE_PGM_RSRC2:TGID_X_EN: 1
; COMPUTE_PGM_RSRC2:TGID_Y_EN: 0
; COMPUTE_PGM_RSRC2:TGID_Z_EN: 0
; COMPUTE_PGM_RSRC2:TIDIG_COMP_CNT: 0
	.section	.text._ZN9rocsparseL21csrmvn_general_kernelILj256ELj64Eiid21rocsparse_complex_numIdES2_S2_EEvbT2_NS_24const_host_device_scalarIT6_EEPKT1_S9_PKS3_PKT3_PKT4_S6_PT5_21rocsparse_index_base_b,"axG",@progbits,_ZN9rocsparseL21csrmvn_general_kernelILj256ELj64Eiid21rocsparse_complex_numIdES2_S2_EEvbT2_NS_24const_host_device_scalarIT6_EEPKT1_S9_PKS3_PKT3_PKT4_S6_PT5_21rocsparse_index_base_b,comdat
	.globl	_ZN9rocsparseL21csrmvn_general_kernelILj256ELj64Eiid21rocsparse_complex_numIdES2_S2_EEvbT2_NS_24const_host_device_scalarIT6_EEPKT1_S9_PKS3_PKT3_PKT4_S6_PT5_21rocsparse_index_base_b ; -- Begin function _ZN9rocsparseL21csrmvn_general_kernelILj256ELj64Eiid21rocsparse_complex_numIdES2_S2_EEvbT2_NS_24const_host_device_scalarIT6_EEPKT1_S9_PKS3_PKT3_PKT4_S6_PT5_21rocsparse_index_base_b
	.p2align	8
	.type	_ZN9rocsparseL21csrmvn_general_kernelILj256ELj64Eiid21rocsparse_complex_numIdES2_S2_EEvbT2_NS_24const_host_device_scalarIT6_EEPKT1_S9_PKS3_PKT3_PKT4_S6_PT5_21rocsparse_index_base_b,@function
_ZN9rocsparseL21csrmvn_general_kernelILj256ELj64Eiid21rocsparse_complex_numIdES2_S2_EEvbT2_NS_24const_host_device_scalarIT6_EEPKT1_S9_PKS3_PKT3_PKT4_S6_PT5_21rocsparse_index_base_b: ; @_ZN9rocsparseL21csrmvn_general_kernelILj256ELj64Eiid21rocsparse_complex_numIdES2_S2_EEvbT2_NS_24const_host_device_scalarIT6_EEPKT1_S9_PKS3_PKT3_PKT4_S6_PT5_21rocsparse_index_base_b
; %bb.0:
	s_clause 0x1
	s_load_b64 s[12:13], s[0:1], 0x58
	s_load_b64 s[2:3], s[0:1], 0x8
	v_mov_b32_e32 v1, 0
	s_add_nc_u64 s[4:5], s[0:1], 8
	s_load_b64 s[6:7], s[0:1], 0x40
	s_wait_kmcnt 0x0
	s_bitcmp1_b32 s13, 0
	s_cselect_b32 s3, s5, s3
	s_cselect_b32 s2, s4, s2
	flat_load_b128 v[2:5], v1, s[2:3]
	s_wait_xcnt 0x0
	s_add_nc_u64 s[2:3], s[0:1], 64
	s_delay_alu instid0(SALU_CYCLE_1)
	s_cselect_b32 s3, s3, s7
	s_cselect_b32 s2, s2, s6
	flat_load_b128 v[6:9], v1, s[2:3]
	s_wait_loadcnt_dscnt 0x101
	v_cmp_eq_f64_e32 vcc_lo, 0, v[2:3]
	s_wait_xcnt 0x0
	v_cmp_eq_f64_e64 s2, 0, v[4:5]
	s_and_b32 s4, vcc_lo, s2
	s_mov_b32 s2, -1
	s_and_saveexec_b32 s3, s4
	s_cbranch_execz .LBB335_2
; %bb.1:
	s_wait_loadcnt_dscnt 0x0
	v_cmp_neq_f64_e32 vcc_lo, 1.0, v[6:7]
	v_cmp_neq_f64_e64 s2, 0, v[8:9]
	s_or_b32 s2, vcc_lo, s2
	s_delay_alu instid0(SALU_CYCLE_1)
	s_or_not1_b32 s2, s2, exec_lo
.LBB335_2:
	s_or_b32 exec_lo, exec_lo, s3
	s_and_saveexec_b32 s3, s2
	s_cbranch_execz .LBB335_14
; %bb.3:
	s_bfe_u32 s2, ttmp6, 0x4000c
	s_load_b32 s16, s[0:1], 0x4
	s_add_co_i32 s2, s2, 1
	s_and_b32 s3, ttmp6, 15
	s_mul_i32 s2, ttmp9, s2
	s_getreg_b32 s4, hwreg(HW_REG_IB_STS2, 6, 4)
	s_add_co_i32 s3, s3, s2
	s_cmp_eq_u32 s4, 0
	s_mov_b32 s17, 0
	s_cselect_b32 s2, ttmp9, s3
	s_delay_alu instid0(SALU_CYCLE_1) | instskip(NEXT) | instid1(VALU_DEP_1)
	v_lshl_or_b32 v1, s2, 8, v0
	v_lshrrev_b32_e32 v14, 6, v1
	s_wait_kmcnt 0x0
	s_delay_alu instid0(VALU_DEP_1)
	v_cmp_gt_i32_e32 vcc_lo, s16, v14
	s_and_b32 exec_lo, exec_lo, vcc_lo
	s_cbranch_execz .LBB335_14
; %bb.4:
	v_mbcnt_lo_u32_b32 v10, -1, 0
	s_clause 0x3
	s_load_b256 s[4:11], s[0:1], 0x18
	s_load_b64 s[2:3], s[0:1], 0x50
	s_load_b32 s20, s[0:1], 0x60
	s_load_b64 s[14:15], s[0:1], 0x38
	s_wait_loadcnt_dscnt 0x0
	v_cmp_neq_f64_e64 s0, 0, v[6:7]
	v_cmp_neq_f64_e64 s1, 0, v[8:9]
	v_xor_b32_e32 v13, 16, v10
	v_or_b32_e32 v12, 32, v10
	v_dual_mul_f64 v[16:17], 0, v[2:3] :: v_dual_bitop2_b32 v11, 63, v0 bitop3:0x40
	v_mul_f64_e32 v[0:1], 0x80000000, v[4:5]
	s_ashr_i32 s13, s12, 31
	s_delay_alu instid0(VALU_DEP_3) | instskip(NEXT) | instid1(VALU_DEP_3)
	v_cmp_gt_i32_e32 vcc_lo, 32, v12
	v_subrev_nc_u32_e32 v22, s12, v11
	s_lshl_b64 s[18:19], s[12:13], 4
	v_dual_cndmask_b32 v12, v10, v12, vcc_lo :: v_dual_bitop2_b32 v15, 4, v10 bitop3:0x14
	s_wait_kmcnt 0x0
	s_lshl_b32 s13, s20, 2
	s_delay_alu instid0(VALU_DEP_1) | instskip(SKIP_3) | instid1(VALU_DEP_3)
	v_dual_lshlrev_b32 v23, 2, v12 :: v_dual_bitop2_b32 v12, 8, v10 bitop3:0x14
	v_cmp_gt_i32_e32 vcc_lo, 32, v13
	s_sub_nc_u64 s[14:15], s[14:15], s[18:19]
	v_cndmask_b32_e32 v13, v10, v13, vcc_lo
	v_cmp_gt_i32_e32 vcc_lo, 32, v12
	v_xor_b32_e32 v18, 2, v10
	s_delay_alu instid0(VALU_DEP_3)
	v_dual_lshlrev_b32 v24, 2, v13 :: v_dual_bitop2_b32 v19, 1, v10 bitop3:0x14
	v_cndmask_b32_e32 v12, v10, v12, vcc_lo
	v_cmp_gt_i32_e32 vcc_lo, 32, v15
	s_or_b32 s1, s0, s1
	v_cndmask_b32_e32 v15, v10, v15, vcc_lo
	v_cmp_gt_i32_e32 vcc_lo, 32, v18
	s_delay_alu instid0(VALU_DEP_2) | instskip(SKIP_2) | instid1(VALU_DEP_2)
	v_dual_lshlrev_b32 v25, 2, v12 :: v_dual_lshlrev_b32 v26, 2, v15
	v_cndmask_b32_e32 v18, v10, v18, vcc_lo
	v_cmp_gt_i32_e32 vcc_lo, 32, v19
	v_dual_cndmask_b32 v10, v10, v19 :: v_dual_lshlrev_b32 v27, 2, v18
	v_cmp_eq_u32_e32 vcc_lo, 63, v11
	s_delay_alu instid0(VALU_DEP_2)
	v_lshlrev_b32_e32 v28, 2, v10
	s_branch .LBB335_7
.LBB335_5:                              ;   in Loop: Header=BB335_7 Depth=1
	s_wait_xcnt 0x0
	s_or_b32 exec_lo, exec_lo, s18
	global_store_b128 v[18:19], v[10:13], off
.LBB335_6:                              ;   in Loop: Header=BB335_7 Depth=1
	s_wait_xcnt 0x0
	s_or_b32 exec_lo, exec_lo, s0
	v_add_nc_u32_e32 v14, s13, v14
	s_delay_alu instid0(VALU_DEP_1) | instskip(SKIP_1) | instid1(SALU_CYCLE_1)
	v_cmp_le_i32_e64 s0, s16, v14
	s_or_b32 s17, s0, s17
	s_and_not1_b32 exec_lo, exec_lo, s17
	s_cbranch_execz .LBB335_14
.LBB335_7:                              ; =>This Loop Header: Depth=1
                                        ;     Child Loop BB335_9 Depth 2
	s_clause 0x1
	global_load_b32 v10, v14, s[6:7] scale_offset
	global_load_b32 v11, v14, s[4:5] scale_offset
	v_mov_b64_e32 v[12:13], 0
	s_mov_b32 s18, exec_lo
	s_wait_loadcnt 0x1
	v_subrev_nc_u32_e32 v15, s12, v10
	s_wait_loadcnt_dscnt 0x1
	v_add_nc_u32_e32 v18, v11, v22
	v_mov_b64_e32 v[10:11], 0
	s_wait_xcnt 0x0
	s_delay_alu instid0(VALU_DEP_2)
	v_cmpx_lt_i32_e64 v18, v15
	s_cbranch_execz .LBB335_11
; %bb.8:                                ;   in Loop: Header=BB335_7 Depth=1
	v_mov_b64_e32 v[10:11], 0
	v_mov_b64_e32 v[12:13], 0
	s_mov_b32 s19, 0
.LBB335_9:                              ;   Parent Loop BB335_7 Depth=1
                                        ; =>  This Inner Loop Header: Depth=2
	s_wait_dscnt 0x0
	s_clause 0x1
	global_load_b32 v19, v18, s[8:9] scale_offset
	global_load_b64 v[20:21], v18, s[10:11] scale_offset
	s_wait_xcnt 0x0
	v_add_nc_u32_e32 v18, 64, v18
	s_delay_alu instid0(VALU_DEP_1)
	v_cmp_ge_i32_e64 s0, v18, v15
	s_or_b32 s19, s0, s19
	s_wait_loadcnt 0x1
	global_load_b128 v[30:33], v19, s[14:15] scale_offset
	s_wait_loadcnt 0x1
	v_fma_f64 v[34:35], v[2:3], v[20:21], v[0:1]
	v_fma_f64 v[20:21], v[4:5], v[20:21], v[16:17]
	s_wait_loadcnt 0x0
	s_delay_alu instid0(VALU_DEP_2) | instskip(NEXT) | instid1(VALU_DEP_2)
	v_fmac_f64_e32 v[12:13], v[34:35], v[30:31]
	v_fmac_f64_e32 v[10:11], v[20:21], v[30:31]
	s_delay_alu instid0(VALU_DEP_2) | instskip(NEXT) | instid1(VALU_DEP_2)
	v_fma_f64 v[12:13], -v[20:21], v[32:33], v[12:13]
	v_fmac_f64_e32 v[10:11], v[34:35], v[32:33]
	s_wait_xcnt 0x0
	s_and_not1_b32 exec_lo, exec_lo, s19
	s_cbranch_execnz .LBB335_9
; %bb.10:                               ;   in Loop: Header=BB335_7 Depth=1
	s_or_b32 exec_lo, exec_lo, s19
.LBB335_11:                             ;   in Loop: Header=BB335_7 Depth=1
	s_delay_alu instid0(SALU_CYCLE_1)
	s_or_b32 exec_lo, exec_lo, s18
	ds_bpermute_b32 v18, v23, v12
	s_wait_dscnt 0x1
	ds_bpermute_b32 v19, v23, v13
	ds_bpermute_b32 v20, v23, v10
	;; [unrolled: 1-line block ×3, first 2 shown]
	v_ashrrev_i32_e32 v15, 31, v14
	s_wait_dscnt 0x2
	v_add_f64_e32 v[12:13], v[12:13], v[18:19]
	s_wait_dscnt 0x0
	v_add_f64_e32 v[10:11], v[10:11], v[20:21]
	ds_bpermute_b32 v18, v24, v12
	ds_bpermute_b32 v19, v24, v13
	ds_bpermute_b32 v20, v24, v10
	ds_bpermute_b32 v21, v24, v11
	s_wait_dscnt 0x2
	v_add_f64_e32 v[12:13], v[12:13], v[18:19]
	s_wait_dscnt 0x0
	v_add_f64_e32 v[10:11], v[10:11], v[20:21]
	ds_bpermute_b32 v18, v25, v12
	ds_bpermute_b32 v19, v25, v13
	ds_bpermute_b32 v20, v25, v10
	ds_bpermute_b32 v21, v25, v11
	;; [unrolled: 8-line block ×5, first 2 shown]
	s_and_saveexec_b32 s0, vcc_lo
	s_cbranch_execz .LBB335_6
; %bb.12:                               ;   in Loop: Header=BB335_7 Depth=1
	s_wait_dscnt 0x2
	v_add_f64_e32 v[10:11], v[10:11], v[20:21]
	s_wait_dscnt 0x0
	v_add_f64_e32 v[12:13], v[12:13], v[18:19]
	v_lshl_add_u64 v[18:19], v[14:15], 4, s[2:3]
	s_and_saveexec_b32 s18, s1
	s_cbranch_execz .LBB335_5
; %bb.13:                               ;   in Loop: Header=BB335_7 Depth=1
	global_load_b128 v[30:33], v[18:19], off
	s_wait_loadcnt 0x0
	v_fmac_f64_e32 v[10:11], v[6:7], v[30:31]
	v_fmac_f64_e32 v[12:13], v[8:9], v[30:31]
	s_delay_alu instid0(VALU_DEP_2) | instskip(NEXT) | instid1(VALU_DEP_2)
	v_fma_f64 v[10:11], -v[8:9], v[32:33], v[10:11]
	v_fmac_f64_e32 v[12:13], v[6:7], v[32:33]
	s_branch .LBB335_5
.LBB335_14:
	s_endpgm
	.section	.rodata,"a",@progbits
	.p2align	6, 0x0
	.amdhsa_kernel _ZN9rocsparseL21csrmvn_general_kernelILj256ELj64Eiid21rocsparse_complex_numIdES2_S2_EEvbT2_NS_24const_host_device_scalarIT6_EEPKT1_S9_PKS3_PKT3_PKT4_S6_PT5_21rocsparse_index_base_b
		.amdhsa_group_segment_fixed_size 0
		.amdhsa_private_segment_fixed_size 0
		.amdhsa_kernarg_size 352
		.amdhsa_user_sgpr_count 2
		.amdhsa_user_sgpr_dispatch_ptr 0
		.amdhsa_user_sgpr_queue_ptr 0
		.amdhsa_user_sgpr_kernarg_segment_ptr 1
		.amdhsa_user_sgpr_dispatch_id 0
		.amdhsa_user_sgpr_kernarg_preload_length 0
		.amdhsa_user_sgpr_kernarg_preload_offset 0
		.amdhsa_user_sgpr_private_segment_size 0
		.amdhsa_wavefront_size32 1
		.amdhsa_uses_dynamic_stack 0
		.amdhsa_enable_private_segment 0
		.amdhsa_system_sgpr_workgroup_id_x 1
		.amdhsa_system_sgpr_workgroup_id_y 0
		.amdhsa_system_sgpr_workgroup_id_z 0
		.amdhsa_system_sgpr_workgroup_info 0
		.amdhsa_system_vgpr_workitem_id 0
		.amdhsa_next_free_vgpr 36
		.amdhsa_next_free_sgpr 21
		.amdhsa_named_barrier_count 0
		.amdhsa_reserve_vcc 1
		.amdhsa_float_round_mode_32 0
		.amdhsa_float_round_mode_16_64 0
		.amdhsa_float_denorm_mode_32 3
		.amdhsa_float_denorm_mode_16_64 3
		.amdhsa_fp16_overflow 0
		.amdhsa_memory_ordered 1
		.amdhsa_forward_progress 1
		.amdhsa_inst_pref_size 10
		.amdhsa_round_robin_scheduling 0
		.amdhsa_exception_fp_ieee_invalid_op 0
		.amdhsa_exception_fp_denorm_src 0
		.amdhsa_exception_fp_ieee_div_zero 0
		.amdhsa_exception_fp_ieee_overflow 0
		.amdhsa_exception_fp_ieee_underflow 0
		.amdhsa_exception_fp_ieee_inexact 0
		.amdhsa_exception_int_div_zero 0
	.end_amdhsa_kernel
	.section	.text._ZN9rocsparseL21csrmvn_general_kernelILj256ELj64Eiid21rocsparse_complex_numIdES2_S2_EEvbT2_NS_24const_host_device_scalarIT6_EEPKT1_S9_PKS3_PKT3_PKT4_S6_PT5_21rocsparse_index_base_b,"axG",@progbits,_ZN9rocsparseL21csrmvn_general_kernelILj256ELj64Eiid21rocsparse_complex_numIdES2_S2_EEvbT2_NS_24const_host_device_scalarIT6_EEPKT1_S9_PKS3_PKT3_PKT4_S6_PT5_21rocsparse_index_base_b,comdat
.Lfunc_end335:
	.size	_ZN9rocsparseL21csrmvn_general_kernelILj256ELj64Eiid21rocsparse_complex_numIdES2_S2_EEvbT2_NS_24const_host_device_scalarIT6_EEPKT1_S9_PKS3_PKT3_PKT4_S6_PT5_21rocsparse_index_base_b, .Lfunc_end335-_ZN9rocsparseL21csrmvn_general_kernelILj256ELj64Eiid21rocsparse_complex_numIdES2_S2_EEvbT2_NS_24const_host_device_scalarIT6_EEPKT1_S9_PKS3_PKT3_PKT4_S6_PT5_21rocsparse_index_base_b
                                        ; -- End function
	.set _ZN9rocsparseL21csrmvn_general_kernelILj256ELj64Eiid21rocsparse_complex_numIdES2_S2_EEvbT2_NS_24const_host_device_scalarIT6_EEPKT1_S9_PKS3_PKT3_PKT4_S6_PT5_21rocsparse_index_base_b.num_vgpr, 36
	.set _ZN9rocsparseL21csrmvn_general_kernelILj256ELj64Eiid21rocsparse_complex_numIdES2_S2_EEvbT2_NS_24const_host_device_scalarIT6_EEPKT1_S9_PKS3_PKT3_PKT4_S6_PT5_21rocsparse_index_base_b.num_agpr, 0
	.set _ZN9rocsparseL21csrmvn_general_kernelILj256ELj64Eiid21rocsparse_complex_numIdES2_S2_EEvbT2_NS_24const_host_device_scalarIT6_EEPKT1_S9_PKS3_PKT3_PKT4_S6_PT5_21rocsparse_index_base_b.numbered_sgpr, 21
	.set _ZN9rocsparseL21csrmvn_general_kernelILj256ELj64Eiid21rocsparse_complex_numIdES2_S2_EEvbT2_NS_24const_host_device_scalarIT6_EEPKT1_S9_PKS3_PKT3_PKT4_S6_PT5_21rocsparse_index_base_b.num_named_barrier, 0
	.set _ZN9rocsparseL21csrmvn_general_kernelILj256ELj64Eiid21rocsparse_complex_numIdES2_S2_EEvbT2_NS_24const_host_device_scalarIT6_EEPKT1_S9_PKS3_PKT3_PKT4_S6_PT5_21rocsparse_index_base_b.private_seg_size, 0
	.set _ZN9rocsparseL21csrmvn_general_kernelILj256ELj64Eiid21rocsparse_complex_numIdES2_S2_EEvbT2_NS_24const_host_device_scalarIT6_EEPKT1_S9_PKS3_PKT3_PKT4_S6_PT5_21rocsparse_index_base_b.uses_vcc, 1
	.set _ZN9rocsparseL21csrmvn_general_kernelILj256ELj64Eiid21rocsparse_complex_numIdES2_S2_EEvbT2_NS_24const_host_device_scalarIT6_EEPKT1_S9_PKS3_PKT3_PKT4_S6_PT5_21rocsparse_index_base_b.uses_flat_scratch, 0
	.set _ZN9rocsparseL21csrmvn_general_kernelILj256ELj64Eiid21rocsparse_complex_numIdES2_S2_EEvbT2_NS_24const_host_device_scalarIT6_EEPKT1_S9_PKS3_PKT3_PKT4_S6_PT5_21rocsparse_index_base_b.has_dyn_sized_stack, 0
	.set _ZN9rocsparseL21csrmvn_general_kernelILj256ELj64Eiid21rocsparse_complex_numIdES2_S2_EEvbT2_NS_24const_host_device_scalarIT6_EEPKT1_S9_PKS3_PKT3_PKT4_S6_PT5_21rocsparse_index_base_b.has_recursion, 0
	.set _ZN9rocsparseL21csrmvn_general_kernelILj256ELj64Eiid21rocsparse_complex_numIdES2_S2_EEvbT2_NS_24const_host_device_scalarIT6_EEPKT1_S9_PKS3_PKT3_PKT4_S6_PT5_21rocsparse_index_base_b.has_indirect_call, 0
	.section	.AMDGPU.csdata,"",@progbits
; Kernel info:
; codeLenInByte = 1168
; TotalNumSgprs: 23
; NumVgprs: 36
; ScratchSize: 0
; MemoryBound: 0
; FloatMode: 240
; IeeeMode: 1
; LDSByteSize: 0 bytes/workgroup (compile time only)
; SGPRBlocks: 0
; VGPRBlocks: 2
; NumSGPRsForWavesPerEU: 23
; NumVGPRsForWavesPerEU: 36
; NamedBarCnt: 0
; Occupancy: 16
; WaveLimiterHint : 1
; COMPUTE_PGM_RSRC2:SCRATCH_EN: 0
; COMPUTE_PGM_RSRC2:USER_SGPR: 2
; COMPUTE_PGM_RSRC2:TRAP_HANDLER: 0
; COMPUTE_PGM_RSRC2:TGID_X_EN: 1
; COMPUTE_PGM_RSRC2:TGID_Y_EN: 0
; COMPUTE_PGM_RSRC2:TGID_Z_EN: 0
; COMPUTE_PGM_RSRC2:TIDIG_COMP_CNT: 0
	.section	.text._ZN9rocsparseL21csrmvt_general_kernelILj256ELj4Eiid21rocsparse_complex_numIdES2_S2_EEvbbT2_NS_24const_host_device_scalarIT6_EEPKT1_S9_PKS3_PKT3_PKT4_PT5_21rocsparse_index_base_b,"axG",@progbits,_ZN9rocsparseL21csrmvt_general_kernelILj256ELj4Eiid21rocsparse_complex_numIdES2_S2_EEvbbT2_NS_24const_host_device_scalarIT6_EEPKT1_S9_PKS3_PKT3_PKT4_PT5_21rocsparse_index_base_b,comdat
	.globl	_ZN9rocsparseL21csrmvt_general_kernelILj256ELj4Eiid21rocsparse_complex_numIdES2_S2_EEvbbT2_NS_24const_host_device_scalarIT6_EEPKT1_S9_PKS3_PKT3_PKT4_PT5_21rocsparse_index_base_b ; -- Begin function _ZN9rocsparseL21csrmvt_general_kernelILj256ELj4Eiid21rocsparse_complex_numIdES2_S2_EEvbbT2_NS_24const_host_device_scalarIT6_EEPKT1_S9_PKS3_PKT3_PKT4_PT5_21rocsparse_index_base_b
	.p2align	8
	.type	_ZN9rocsparseL21csrmvt_general_kernelILj256ELj4Eiid21rocsparse_complex_numIdES2_S2_EEvbbT2_NS_24const_host_device_scalarIT6_EEPKT1_S9_PKS3_PKT3_PKT4_PT5_21rocsparse_index_base_b,@function
_ZN9rocsparseL21csrmvt_general_kernelILj256ELj4Eiid21rocsparse_complex_numIdES2_S2_EEvbbT2_NS_24const_host_device_scalarIT6_EEPKT1_S9_PKS3_PKT3_PKT4_PT5_21rocsparse_index_base_b: ; @_ZN9rocsparseL21csrmvt_general_kernelILj256ELj4Eiid21rocsparse_complex_numIdES2_S2_EEvbbT2_NS_24const_host_device_scalarIT6_EEPKT1_S9_PKS3_PKT3_PKT4_PT5_21rocsparse_index_base_b
; %bb.0:
	s_clause 0x1
	s_load_b64 s[16:17], s[0:1], 0x48
	s_load_b64 s[2:3], s[0:1], 0x8
	v_mov_b32_e32 v1, 0
	s_add_nc_u64 s[4:5], s[0:1], 8
	s_wait_kmcnt 0x0
	s_bitcmp1_b32 s17, 0
	s_cselect_b32 s3, s5, s3
	s_cselect_b32 s2, s4, s2
	flat_load_b128 v[2:5], v1, s[2:3]
	s_wait_loadcnt_dscnt 0x0
	v_cmp_neq_f64_e32 vcc_lo, 0, v[2:3]
	v_cmp_neq_f64_e64 s2, 0, v[4:5]
	s_or_b32 s2, vcc_lo, s2
	s_delay_alu instid0(SALU_CYCLE_1)
	s_and_saveexec_b32 s3, s2
	s_cbranch_execz .LBB336_18
; %bb.1:
	s_clause 0x3
	s_load_b64 s[2:3], s[0:1], 0x0
	s_load_b32 s17, s[0:1], 0x50
	s_load_b128 s[12:15], s[0:1], 0x38
	s_load_b256 s[4:11], s[0:1], 0x18
	s_wait_xcnt 0x0
	s_bfe_u32 s0, ttmp6, 0x4000c
	s_and_b32 s18, ttmp6, 15
	s_add_co_i32 s0, s0, 1
	s_getreg_b32 s19, hwreg(HW_REG_IB_STS2, 6, 4)
	s_mul_i32 s0, ttmp9, s0
	v_and_b32_e32 v7, 3, v0
	s_add_co_i32 s18, s18, s0
	s_wait_kmcnt 0x0
	s_and_b32 s2, s2, 1
	s_lshl_b32 s1, s17, 6
	s_cmp_eq_u32 s19, 0
	s_cselect_b32 s0, ttmp9, s18
	s_cmp_eq_u32 s2, 0
	v_lshl_or_b32 v1, s0, 8, v0
	s_mov_b32 s2, -1
	s_delay_alu instid0(VALU_DEP_1) | instskip(NEXT) | instid1(VALU_DEP_1)
	v_lshrrev_b32_e32 v6, 2, v1
	v_cmp_gt_i32_e64 s0, s3, v6
	s_cbranch_scc0 .LBB336_9
; %bb.2:
	s_and_saveexec_b32 s2, s0
	s_cbranch_execz .LBB336_8
; %bb.3:
	v_subrev_nc_u32_e32 v16, s16, v7
	v_mov_b32_e32 v0, v6
	s_mov_b32 s17, 0
	s_branch .LBB336_5
.LBB336_4:                              ;   in Loop: Header=BB336_5 Depth=1
	s_or_b32 exec_lo, exec_lo, s18
	v_add_nc_u32_e32 v0, s1, v0
	s_delay_alu instid0(VALU_DEP_1) | instskip(SKIP_1) | instid1(SALU_CYCLE_1)
	v_cmp_le_i32_e32 vcc_lo, s3, v0
	s_or_b32 s17, vcc_lo, s17
	s_and_not1_b32 exec_lo, exec_lo, s17
	s_cbranch_execz .LBB336_8
.LBB336_5:                              ; =>This Loop Header: Depth=1
                                        ;     Child Loop BB336_7 Depth 2
	s_clause 0x1
	global_load_b32 v1, v0, s[6:7] scale_offset
	global_load_b32 v8, v0, s[4:5] scale_offset
	s_mov_b32 s18, exec_lo
	s_wait_loadcnt 0x1
	v_subrev_nc_u32_e32 v17, s16, v1
	s_wait_loadcnt 0x0
	v_add_nc_u32_e32 v18, v8, v16
	s_wait_xcnt 0x0
	s_delay_alu instid0(VALU_DEP_1)
	v_cmpx_lt_i32_e64 v18, v17
	s_cbranch_execz .LBB336_4
; %bb.6:                                ;   in Loop: Header=BB336_5 Depth=1
	v_ashrrev_i32_e32 v1, 31, v0
	s_mov_b32 s19, 0
	s_delay_alu instid0(VALU_DEP_1)
	v_lshl_add_u64 v[8:9], v[0:1], 4, s[12:13]
	global_load_b128 v[12:15], v[8:9], off
	s_wait_loadcnt 0x0
	s_wait_xcnt 0x0
	v_mul_f64_e32 v[8:9], v[2:3], v[14:15]
	v_mul_f64_e64 v[10:11], v[14:15], -v[4:5]
	s_delay_alu instid0(VALU_DEP_2) | instskip(NEXT) | instid1(VALU_DEP_2)
	v_fmac_f64_e32 v[8:9], v[4:5], v[12:13]
	v_fmac_f64_e32 v[10:11], v[2:3], v[12:13]
	s_delay_alu instid0(VALU_DEP_2) | instskip(NEXT) | instid1(VALU_DEP_2)
	v_mul_f64_e32 v[12:13], 0x80000000, v[8:9]
	v_mul_f64_e32 v[14:15], 0, v[10:11]
.LBB336_7:                              ;   Parent Loop BB336_5 Depth=1
                                        ; =>  This Inner Loop Header: Depth=2
	s_clause 0x1
	global_load_b64 v[20:21], v18, s[10:11] scale_offset
	global_load_b32 v1, v18, s[8:9] scale_offset
	s_wait_xcnt 0x0
	v_add_nc_u32_e32 v18, 4, v18
	s_delay_alu instid0(VALU_DEP_1)
	v_cmp_ge_i32_e32 vcc_lo, v18, v17
	s_or_b32 s19, vcc_lo, s19
	s_wait_loadcnt 0x1
	v_fma_f64 v[22:23], v[10:11], v[20:21], v[12:13]
	v_fma_f64 v[20:21], v[8:9], v[20:21], v[14:15]
	s_wait_loadcnt 0x0
	v_subrev_nc_u32_e32 v24, s16, v1
	s_delay_alu instid0(VALU_DEP_1) | instskip(NEXT) | instid1(VALU_DEP_1)
	v_ashrrev_i32_e32 v25, 31, v24
	v_lshl_add_u64 v[24:25], v[24:25], 4, s[14:15]
	global_atomic_add_f64 v[24:25], v[22:23], off scope:SCOPE_DEV
	s_wait_xcnt 0x0
	global_atomic_add_f64 v[24:25], v[20:21], off offset:8 scope:SCOPE_DEV
	s_wait_xcnt 0x0
	s_and_not1_b32 exec_lo, exec_lo, s19
	s_cbranch_execnz .LBB336_7
	s_branch .LBB336_4
.LBB336_8:
	s_or_b32 exec_lo, exec_lo, s2
	s_mov_b32 s2, 0
.LBB336_9:
	s_delay_alu instid0(SALU_CYCLE_1)
	s_and_not1_b32 vcc_lo, exec_lo, s2
	s_cbranch_vccnz .LBB336_18
; %bb.10:
	s_and_b32 exec_lo, exec_lo, s0
	s_cbranch_execz .LBB336_18
; %bb.11:
	v_subrev_nc_u32_e32 v18, s16, v7
	s_mov_b32 s0, 0
	s_branch .LBB336_13
.LBB336_12:                             ;   in Loop: Header=BB336_13 Depth=1
	s_or_b32 exec_lo, exec_lo, s2
	v_add_nc_u32_e32 v6, s1, v6
	s_delay_alu instid0(VALU_DEP_1) | instskip(SKIP_1) | instid1(SALU_CYCLE_1)
	v_cmp_le_i32_e32 vcc_lo, s3, v6
	s_or_b32 s0, vcc_lo, s0
	s_and_not1_b32 exec_lo, exec_lo, s0
	s_cbranch_execz .LBB336_18
.LBB336_13:                             ; =>This Loop Header: Depth=1
                                        ;     Child Loop BB336_16 Depth 2
	s_clause 0x1
	global_load_b32 v0, v6, s[6:7] scale_offset
	global_load_b32 v1, v6, s[4:5] scale_offset
	s_mov_b32 s2, exec_lo
	s_wait_loadcnt 0x1
	v_subrev_nc_u32_e32 v19, s16, v0
	s_wait_loadcnt 0x0
	v_add_nc_u32_e32 v0, v1, v18
	s_wait_xcnt 0x0
	s_delay_alu instid0(VALU_DEP_1)
	v_cmpx_lt_i32_e64 v0, v19
	s_cbranch_execz .LBB336_12
; %bb.14:                               ;   in Loop: Header=BB336_13 Depth=1
	v_ashrrev_i32_e32 v7, 31, v6
	s_mov_b32 s17, 0
	s_delay_alu instid0(VALU_DEP_1) | instskip(SKIP_4) | instid1(VALU_DEP_2)
	v_lshl_add_u64 v[8:9], v[6:7], 4, s[12:13]
	global_load_b128 v[12:15], v[8:9], off
	s_wait_loadcnt 0x0
	v_mul_f64_e32 v[8:9], v[2:3], v[14:15]
	v_mul_f64_e64 v[10:11], v[14:15], -v[4:5]
	v_fmac_f64_e32 v[8:9], v[4:5], v[12:13]
	s_delay_alu instid0(VALU_DEP_2) | instskip(NEXT) | instid1(VALU_DEP_2)
	v_fmac_f64_e32 v[10:11], v[2:3], v[12:13]
	v_mul_f64_e32 v[12:13], 0x80000000, v[8:9]
	s_delay_alu instid0(VALU_DEP_2)
	v_mul_f64_e32 v[14:15], 0, v[10:11]
	s_branch .LBB336_16
.LBB336_15:                             ;   in Loop: Header=BB336_16 Depth=2
	s_wait_xcnt 0x0
	s_or_b32 exec_lo, exec_lo, s18
	v_add_nc_u32_e32 v0, 4, v0
	s_delay_alu instid0(VALU_DEP_1) | instskip(SKIP_1) | instid1(SALU_CYCLE_1)
	v_cmp_ge_i32_e32 vcc_lo, v0, v19
	s_or_b32 s17, vcc_lo, s17
	s_and_not1_b32 exec_lo, exec_lo, s17
	s_cbranch_execz .LBB336_12
.LBB336_16:                             ;   Parent Loop BB336_13 Depth=1
                                        ; =>  This Inner Loop Header: Depth=2
	global_load_b32 v1, v0, s[8:9] scale_offset
	s_mov_b32 s18, exec_lo
	s_wait_loadcnt 0x0
	v_subrev_nc_u32_e32 v16, s16, v1
	v_ashrrev_i32_e32 v1, 31, v0
	s_wait_xcnt 0x0
	s_delay_alu instid0(VALU_DEP_2)
	v_cmpx_ne_u32_e64 v16, v6
	s_cbranch_execz .LBB336_15
; %bb.17:                               ;   in Loop: Header=BB336_16 Depth=2
	s_delay_alu instid0(VALU_DEP_2)
	v_lshl_add_u64 v[20:21], v[0:1], 3, s[10:11]
	v_ashrrev_i32_e32 v17, 31, v16
	global_load_b64 v[20:21], v[20:21], off
	v_lshl_add_u64 v[16:17], v[16:17], 4, s[14:15]
	s_wait_loadcnt 0x0
	v_fma_f64 v[22:23], v[10:11], v[20:21], v[12:13]
	s_wait_xcnt 0x0
	v_fma_f64 v[20:21], v[8:9], v[20:21], v[14:15]
	global_atomic_add_f64 v[16:17], v[22:23], off scope:SCOPE_DEV
	s_wait_xcnt 0x0
	global_atomic_add_f64 v[16:17], v[20:21], off offset:8 scope:SCOPE_DEV
	s_branch .LBB336_15
.LBB336_18:
	s_endpgm
	.section	.rodata,"a",@progbits
	.p2align	6, 0x0
	.amdhsa_kernel _ZN9rocsparseL21csrmvt_general_kernelILj256ELj4Eiid21rocsparse_complex_numIdES2_S2_EEvbbT2_NS_24const_host_device_scalarIT6_EEPKT1_S9_PKS3_PKT3_PKT4_PT5_21rocsparse_index_base_b
		.amdhsa_group_segment_fixed_size 0
		.amdhsa_private_segment_fixed_size 0
		.amdhsa_kernarg_size 336
		.amdhsa_user_sgpr_count 2
		.amdhsa_user_sgpr_dispatch_ptr 0
		.amdhsa_user_sgpr_queue_ptr 0
		.amdhsa_user_sgpr_kernarg_segment_ptr 1
		.amdhsa_user_sgpr_dispatch_id 0
		.amdhsa_user_sgpr_kernarg_preload_length 0
		.amdhsa_user_sgpr_kernarg_preload_offset 0
		.amdhsa_user_sgpr_private_segment_size 0
		.amdhsa_wavefront_size32 1
		.amdhsa_uses_dynamic_stack 0
		.amdhsa_enable_private_segment 0
		.amdhsa_system_sgpr_workgroup_id_x 1
		.amdhsa_system_sgpr_workgroup_id_y 0
		.amdhsa_system_sgpr_workgroup_id_z 0
		.amdhsa_system_sgpr_workgroup_info 0
		.amdhsa_system_vgpr_workitem_id 0
		.amdhsa_next_free_vgpr 26
		.amdhsa_next_free_sgpr 20
		.amdhsa_named_barrier_count 0
		.amdhsa_reserve_vcc 1
		.amdhsa_float_round_mode_32 0
		.amdhsa_float_round_mode_16_64 0
		.amdhsa_float_denorm_mode_32 3
		.amdhsa_float_denorm_mode_16_64 3
		.amdhsa_fp16_overflow 0
		.amdhsa_memory_ordered 1
		.amdhsa_forward_progress 1
		.amdhsa_inst_pref_size 8
		.amdhsa_round_robin_scheduling 0
		.amdhsa_exception_fp_ieee_invalid_op 0
		.amdhsa_exception_fp_denorm_src 0
		.amdhsa_exception_fp_ieee_div_zero 0
		.amdhsa_exception_fp_ieee_overflow 0
		.amdhsa_exception_fp_ieee_underflow 0
		.amdhsa_exception_fp_ieee_inexact 0
		.amdhsa_exception_int_div_zero 0
	.end_amdhsa_kernel
	.section	.text._ZN9rocsparseL21csrmvt_general_kernelILj256ELj4Eiid21rocsparse_complex_numIdES2_S2_EEvbbT2_NS_24const_host_device_scalarIT6_EEPKT1_S9_PKS3_PKT3_PKT4_PT5_21rocsparse_index_base_b,"axG",@progbits,_ZN9rocsparseL21csrmvt_general_kernelILj256ELj4Eiid21rocsparse_complex_numIdES2_S2_EEvbbT2_NS_24const_host_device_scalarIT6_EEPKT1_S9_PKS3_PKT3_PKT4_PT5_21rocsparse_index_base_b,comdat
.Lfunc_end336:
	.size	_ZN9rocsparseL21csrmvt_general_kernelILj256ELj4Eiid21rocsparse_complex_numIdES2_S2_EEvbbT2_NS_24const_host_device_scalarIT6_EEPKT1_S9_PKS3_PKT3_PKT4_PT5_21rocsparse_index_base_b, .Lfunc_end336-_ZN9rocsparseL21csrmvt_general_kernelILj256ELj4Eiid21rocsparse_complex_numIdES2_S2_EEvbbT2_NS_24const_host_device_scalarIT6_EEPKT1_S9_PKS3_PKT3_PKT4_PT5_21rocsparse_index_base_b
                                        ; -- End function
	.set _ZN9rocsparseL21csrmvt_general_kernelILj256ELj4Eiid21rocsparse_complex_numIdES2_S2_EEvbbT2_NS_24const_host_device_scalarIT6_EEPKT1_S9_PKS3_PKT3_PKT4_PT5_21rocsparse_index_base_b.num_vgpr, 26
	.set _ZN9rocsparseL21csrmvt_general_kernelILj256ELj4Eiid21rocsparse_complex_numIdES2_S2_EEvbbT2_NS_24const_host_device_scalarIT6_EEPKT1_S9_PKS3_PKT3_PKT4_PT5_21rocsparse_index_base_b.num_agpr, 0
	.set _ZN9rocsparseL21csrmvt_general_kernelILj256ELj4Eiid21rocsparse_complex_numIdES2_S2_EEvbbT2_NS_24const_host_device_scalarIT6_EEPKT1_S9_PKS3_PKT3_PKT4_PT5_21rocsparse_index_base_b.numbered_sgpr, 20
	.set _ZN9rocsparseL21csrmvt_general_kernelILj256ELj4Eiid21rocsparse_complex_numIdES2_S2_EEvbbT2_NS_24const_host_device_scalarIT6_EEPKT1_S9_PKS3_PKT3_PKT4_PT5_21rocsparse_index_base_b.num_named_barrier, 0
	.set _ZN9rocsparseL21csrmvt_general_kernelILj256ELj4Eiid21rocsparse_complex_numIdES2_S2_EEvbbT2_NS_24const_host_device_scalarIT6_EEPKT1_S9_PKS3_PKT3_PKT4_PT5_21rocsparse_index_base_b.private_seg_size, 0
	.set _ZN9rocsparseL21csrmvt_general_kernelILj256ELj4Eiid21rocsparse_complex_numIdES2_S2_EEvbbT2_NS_24const_host_device_scalarIT6_EEPKT1_S9_PKS3_PKT3_PKT4_PT5_21rocsparse_index_base_b.uses_vcc, 1
	.set _ZN9rocsparseL21csrmvt_general_kernelILj256ELj4Eiid21rocsparse_complex_numIdES2_S2_EEvbbT2_NS_24const_host_device_scalarIT6_EEPKT1_S9_PKS3_PKT3_PKT4_PT5_21rocsparse_index_base_b.uses_flat_scratch, 0
	.set _ZN9rocsparseL21csrmvt_general_kernelILj256ELj4Eiid21rocsparse_complex_numIdES2_S2_EEvbbT2_NS_24const_host_device_scalarIT6_EEPKT1_S9_PKS3_PKT3_PKT4_PT5_21rocsparse_index_base_b.has_dyn_sized_stack, 0
	.set _ZN9rocsparseL21csrmvt_general_kernelILj256ELj4Eiid21rocsparse_complex_numIdES2_S2_EEvbbT2_NS_24const_host_device_scalarIT6_EEPKT1_S9_PKS3_PKT3_PKT4_PT5_21rocsparse_index_base_b.has_recursion, 0
	.set _ZN9rocsparseL21csrmvt_general_kernelILj256ELj4Eiid21rocsparse_complex_numIdES2_S2_EEvbbT2_NS_24const_host_device_scalarIT6_EEPKT1_S9_PKS3_PKT3_PKT4_PT5_21rocsparse_index_base_b.has_indirect_call, 0
	.section	.AMDGPU.csdata,"",@progbits
; Kernel info:
; codeLenInByte = 944
; TotalNumSgprs: 22
; NumVgprs: 26
; ScratchSize: 0
; MemoryBound: 0
; FloatMode: 240
; IeeeMode: 1
; LDSByteSize: 0 bytes/workgroup (compile time only)
; SGPRBlocks: 0
; VGPRBlocks: 1
; NumSGPRsForWavesPerEU: 22
; NumVGPRsForWavesPerEU: 26
; NamedBarCnt: 0
; Occupancy: 16
; WaveLimiterHint : 1
; COMPUTE_PGM_RSRC2:SCRATCH_EN: 0
; COMPUTE_PGM_RSRC2:USER_SGPR: 2
; COMPUTE_PGM_RSRC2:TRAP_HANDLER: 0
; COMPUTE_PGM_RSRC2:TGID_X_EN: 1
; COMPUTE_PGM_RSRC2:TGID_Y_EN: 0
; COMPUTE_PGM_RSRC2:TGID_Z_EN: 0
; COMPUTE_PGM_RSRC2:TIDIG_COMP_CNT: 0
	.section	.text._ZN9rocsparseL21csrmvt_general_kernelILj256ELj8Eiid21rocsparse_complex_numIdES2_S2_EEvbbT2_NS_24const_host_device_scalarIT6_EEPKT1_S9_PKS3_PKT3_PKT4_PT5_21rocsparse_index_base_b,"axG",@progbits,_ZN9rocsparseL21csrmvt_general_kernelILj256ELj8Eiid21rocsparse_complex_numIdES2_S2_EEvbbT2_NS_24const_host_device_scalarIT6_EEPKT1_S9_PKS3_PKT3_PKT4_PT5_21rocsparse_index_base_b,comdat
	.globl	_ZN9rocsparseL21csrmvt_general_kernelILj256ELj8Eiid21rocsparse_complex_numIdES2_S2_EEvbbT2_NS_24const_host_device_scalarIT6_EEPKT1_S9_PKS3_PKT3_PKT4_PT5_21rocsparse_index_base_b ; -- Begin function _ZN9rocsparseL21csrmvt_general_kernelILj256ELj8Eiid21rocsparse_complex_numIdES2_S2_EEvbbT2_NS_24const_host_device_scalarIT6_EEPKT1_S9_PKS3_PKT3_PKT4_PT5_21rocsparse_index_base_b
	.p2align	8
	.type	_ZN9rocsparseL21csrmvt_general_kernelILj256ELj8Eiid21rocsparse_complex_numIdES2_S2_EEvbbT2_NS_24const_host_device_scalarIT6_EEPKT1_S9_PKS3_PKT3_PKT4_PT5_21rocsparse_index_base_b,@function
_ZN9rocsparseL21csrmvt_general_kernelILj256ELj8Eiid21rocsparse_complex_numIdES2_S2_EEvbbT2_NS_24const_host_device_scalarIT6_EEPKT1_S9_PKS3_PKT3_PKT4_PT5_21rocsparse_index_base_b: ; @_ZN9rocsparseL21csrmvt_general_kernelILj256ELj8Eiid21rocsparse_complex_numIdES2_S2_EEvbbT2_NS_24const_host_device_scalarIT6_EEPKT1_S9_PKS3_PKT3_PKT4_PT5_21rocsparse_index_base_b
; %bb.0:
	s_clause 0x1
	s_load_b64 s[16:17], s[0:1], 0x48
	s_load_b64 s[2:3], s[0:1], 0x8
	v_mov_b32_e32 v1, 0
	s_add_nc_u64 s[4:5], s[0:1], 8
	s_wait_kmcnt 0x0
	s_bitcmp1_b32 s17, 0
	s_cselect_b32 s3, s5, s3
	s_cselect_b32 s2, s4, s2
	flat_load_b128 v[2:5], v1, s[2:3]
	s_wait_loadcnt_dscnt 0x0
	v_cmp_neq_f64_e32 vcc_lo, 0, v[2:3]
	v_cmp_neq_f64_e64 s2, 0, v[4:5]
	s_or_b32 s2, vcc_lo, s2
	s_delay_alu instid0(SALU_CYCLE_1)
	s_and_saveexec_b32 s3, s2
	s_cbranch_execz .LBB337_18
; %bb.1:
	s_clause 0x3
	s_load_b64 s[2:3], s[0:1], 0x0
	s_load_b32 s17, s[0:1], 0x50
	s_load_b128 s[12:15], s[0:1], 0x38
	s_load_b256 s[4:11], s[0:1], 0x18
	s_wait_xcnt 0x0
	s_bfe_u32 s0, ttmp6, 0x4000c
	s_and_b32 s18, ttmp6, 15
	s_add_co_i32 s0, s0, 1
	s_getreg_b32 s19, hwreg(HW_REG_IB_STS2, 6, 4)
	s_mul_i32 s0, ttmp9, s0
	v_and_b32_e32 v7, 7, v0
	s_add_co_i32 s18, s18, s0
	s_wait_kmcnt 0x0
	s_and_b32 s2, s2, 1
	s_lshl_b32 s1, s17, 5
	s_cmp_eq_u32 s19, 0
	s_cselect_b32 s0, ttmp9, s18
	s_cmp_eq_u32 s2, 0
	v_lshl_or_b32 v1, s0, 8, v0
	s_mov_b32 s2, -1
	s_delay_alu instid0(VALU_DEP_1) | instskip(NEXT) | instid1(VALU_DEP_1)
	v_lshrrev_b32_e32 v6, 3, v1
	v_cmp_gt_i32_e64 s0, s3, v6
	s_cbranch_scc0 .LBB337_9
; %bb.2:
	s_and_saveexec_b32 s2, s0
	s_cbranch_execz .LBB337_8
; %bb.3:
	v_subrev_nc_u32_e32 v16, s16, v7
	v_mov_b32_e32 v0, v6
	s_mov_b32 s17, 0
	s_branch .LBB337_5
.LBB337_4:                              ;   in Loop: Header=BB337_5 Depth=1
	s_or_b32 exec_lo, exec_lo, s18
	v_add_nc_u32_e32 v0, s1, v0
	s_delay_alu instid0(VALU_DEP_1) | instskip(SKIP_1) | instid1(SALU_CYCLE_1)
	v_cmp_le_i32_e32 vcc_lo, s3, v0
	s_or_b32 s17, vcc_lo, s17
	s_and_not1_b32 exec_lo, exec_lo, s17
	s_cbranch_execz .LBB337_8
.LBB337_5:                              ; =>This Loop Header: Depth=1
                                        ;     Child Loop BB337_7 Depth 2
	s_clause 0x1
	global_load_b32 v1, v0, s[6:7] scale_offset
	global_load_b32 v8, v0, s[4:5] scale_offset
	s_mov_b32 s18, exec_lo
	s_wait_loadcnt 0x1
	v_subrev_nc_u32_e32 v17, s16, v1
	s_wait_loadcnt 0x0
	v_add_nc_u32_e32 v18, v8, v16
	s_wait_xcnt 0x0
	s_delay_alu instid0(VALU_DEP_1)
	v_cmpx_lt_i32_e64 v18, v17
	s_cbranch_execz .LBB337_4
; %bb.6:                                ;   in Loop: Header=BB337_5 Depth=1
	v_ashrrev_i32_e32 v1, 31, v0
	s_mov_b32 s19, 0
	s_delay_alu instid0(VALU_DEP_1)
	v_lshl_add_u64 v[8:9], v[0:1], 4, s[12:13]
	global_load_b128 v[12:15], v[8:9], off
	s_wait_loadcnt 0x0
	s_wait_xcnt 0x0
	v_mul_f64_e32 v[8:9], v[2:3], v[14:15]
	v_mul_f64_e64 v[10:11], v[14:15], -v[4:5]
	s_delay_alu instid0(VALU_DEP_2) | instskip(NEXT) | instid1(VALU_DEP_2)
	v_fmac_f64_e32 v[8:9], v[4:5], v[12:13]
	v_fmac_f64_e32 v[10:11], v[2:3], v[12:13]
	s_delay_alu instid0(VALU_DEP_2) | instskip(NEXT) | instid1(VALU_DEP_2)
	v_mul_f64_e32 v[12:13], 0x80000000, v[8:9]
	v_mul_f64_e32 v[14:15], 0, v[10:11]
.LBB337_7:                              ;   Parent Loop BB337_5 Depth=1
                                        ; =>  This Inner Loop Header: Depth=2
	s_clause 0x1
	global_load_b64 v[20:21], v18, s[10:11] scale_offset
	global_load_b32 v1, v18, s[8:9] scale_offset
	s_wait_xcnt 0x0
	v_add_nc_u32_e32 v18, 8, v18
	s_delay_alu instid0(VALU_DEP_1)
	v_cmp_ge_i32_e32 vcc_lo, v18, v17
	s_or_b32 s19, vcc_lo, s19
	s_wait_loadcnt 0x1
	v_fma_f64 v[22:23], v[10:11], v[20:21], v[12:13]
	v_fma_f64 v[20:21], v[8:9], v[20:21], v[14:15]
	s_wait_loadcnt 0x0
	v_subrev_nc_u32_e32 v24, s16, v1
	s_delay_alu instid0(VALU_DEP_1) | instskip(NEXT) | instid1(VALU_DEP_1)
	v_ashrrev_i32_e32 v25, 31, v24
	v_lshl_add_u64 v[24:25], v[24:25], 4, s[14:15]
	global_atomic_add_f64 v[24:25], v[22:23], off scope:SCOPE_DEV
	s_wait_xcnt 0x0
	global_atomic_add_f64 v[24:25], v[20:21], off offset:8 scope:SCOPE_DEV
	s_wait_xcnt 0x0
	s_and_not1_b32 exec_lo, exec_lo, s19
	s_cbranch_execnz .LBB337_7
	s_branch .LBB337_4
.LBB337_8:
	s_or_b32 exec_lo, exec_lo, s2
	s_mov_b32 s2, 0
.LBB337_9:
	s_delay_alu instid0(SALU_CYCLE_1)
	s_and_not1_b32 vcc_lo, exec_lo, s2
	s_cbranch_vccnz .LBB337_18
; %bb.10:
	s_and_b32 exec_lo, exec_lo, s0
	s_cbranch_execz .LBB337_18
; %bb.11:
	v_subrev_nc_u32_e32 v18, s16, v7
	s_mov_b32 s0, 0
	s_branch .LBB337_13
.LBB337_12:                             ;   in Loop: Header=BB337_13 Depth=1
	s_or_b32 exec_lo, exec_lo, s2
	v_add_nc_u32_e32 v6, s1, v6
	s_delay_alu instid0(VALU_DEP_1) | instskip(SKIP_1) | instid1(SALU_CYCLE_1)
	v_cmp_le_i32_e32 vcc_lo, s3, v6
	s_or_b32 s0, vcc_lo, s0
	s_and_not1_b32 exec_lo, exec_lo, s0
	s_cbranch_execz .LBB337_18
.LBB337_13:                             ; =>This Loop Header: Depth=1
                                        ;     Child Loop BB337_16 Depth 2
	s_clause 0x1
	global_load_b32 v0, v6, s[6:7] scale_offset
	global_load_b32 v1, v6, s[4:5] scale_offset
	s_mov_b32 s2, exec_lo
	s_wait_loadcnt 0x1
	v_subrev_nc_u32_e32 v19, s16, v0
	s_wait_loadcnt 0x0
	v_add_nc_u32_e32 v0, v1, v18
	s_wait_xcnt 0x0
	s_delay_alu instid0(VALU_DEP_1)
	v_cmpx_lt_i32_e64 v0, v19
	s_cbranch_execz .LBB337_12
; %bb.14:                               ;   in Loop: Header=BB337_13 Depth=1
	v_ashrrev_i32_e32 v7, 31, v6
	s_mov_b32 s17, 0
	s_delay_alu instid0(VALU_DEP_1) | instskip(SKIP_4) | instid1(VALU_DEP_2)
	v_lshl_add_u64 v[8:9], v[6:7], 4, s[12:13]
	global_load_b128 v[12:15], v[8:9], off
	s_wait_loadcnt 0x0
	v_mul_f64_e32 v[8:9], v[2:3], v[14:15]
	v_mul_f64_e64 v[10:11], v[14:15], -v[4:5]
	v_fmac_f64_e32 v[8:9], v[4:5], v[12:13]
	s_delay_alu instid0(VALU_DEP_2) | instskip(NEXT) | instid1(VALU_DEP_2)
	v_fmac_f64_e32 v[10:11], v[2:3], v[12:13]
	v_mul_f64_e32 v[12:13], 0x80000000, v[8:9]
	s_delay_alu instid0(VALU_DEP_2)
	v_mul_f64_e32 v[14:15], 0, v[10:11]
	s_branch .LBB337_16
.LBB337_15:                             ;   in Loop: Header=BB337_16 Depth=2
	s_wait_xcnt 0x0
	s_or_b32 exec_lo, exec_lo, s18
	v_add_nc_u32_e32 v0, 8, v0
	s_delay_alu instid0(VALU_DEP_1) | instskip(SKIP_1) | instid1(SALU_CYCLE_1)
	v_cmp_ge_i32_e32 vcc_lo, v0, v19
	s_or_b32 s17, vcc_lo, s17
	s_and_not1_b32 exec_lo, exec_lo, s17
	s_cbranch_execz .LBB337_12
.LBB337_16:                             ;   Parent Loop BB337_13 Depth=1
                                        ; =>  This Inner Loop Header: Depth=2
	global_load_b32 v1, v0, s[8:9] scale_offset
	s_mov_b32 s18, exec_lo
	s_wait_loadcnt 0x0
	v_subrev_nc_u32_e32 v16, s16, v1
	v_ashrrev_i32_e32 v1, 31, v0
	s_wait_xcnt 0x0
	s_delay_alu instid0(VALU_DEP_2)
	v_cmpx_ne_u32_e64 v16, v6
	s_cbranch_execz .LBB337_15
; %bb.17:                               ;   in Loop: Header=BB337_16 Depth=2
	s_delay_alu instid0(VALU_DEP_2)
	v_lshl_add_u64 v[20:21], v[0:1], 3, s[10:11]
	v_ashrrev_i32_e32 v17, 31, v16
	global_load_b64 v[20:21], v[20:21], off
	v_lshl_add_u64 v[16:17], v[16:17], 4, s[14:15]
	s_wait_loadcnt 0x0
	v_fma_f64 v[22:23], v[10:11], v[20:21], v[12:13]
	s_wait_xcnt 0x0
	v_fma_f64 v[20:21], v[8:9], v[20:21], v[14:15]
	global_atomic_add_f64 v[16:17], v[22:23], off scope:SCOPE_DEV
	s_wait_xcnt 0x0
	global_atomic_add_f64 v[16:17], v[20:21], off offset:8 scope:SCOPE_DEV
	s_branch .LBB337_15
.LBB337_18:
	s_endpgm
	.section	.rodata,"a",@progbits
	.p2align	6, 0x0
	.amdhsa_kernel _ZN9rocsparseL21csrmvt_general_kernelILj256ELj8Eiid21rocsparse_complex_numIdES2_S2_EEvbbT2_NS_24const_host_device_scalarIT6_EEPKT1_S9_PKS3_PKT3_PKT4_PT5_21rocsparse_index_base_b
		.amdhsa_group_segment_fixed_size 0
		.amdhsa_private_segment_fixed_size 0
		.amdhsa_kernarg_size 336
		.amdhsa_user_sgpr_count 2
		.amdhsa_user_sgpr_dispatch_ptr 0
		.amdhsa_user_sgpr_queue_ptr 0
		.amdhsa_user_sgpr_kernarg_segment_ptr 1
		.amdhsa_user_sgpr_dispatch_id 0
		.amdhsa_user_sgpr_kernarg_preload_length 0
		.amdhsa_user_sgpr_kernarg_preload_offset 0
		.amdhsa_user_sgpr_private_segment_size 0
		.amdhsa_wavefront_size32 1
		.amdhsa_uses_dynamic_stack 0
		.amdhsa_enable_private_segment 0
		.amdhsa_system_sgpr_workgroup_id_x 1
		.amdhsa_system_sgpr_workgroup_id_y 0
		.amdhsa_system_sgpr_workgroup_id_z 0
		.amdhsa_system_sgpr_workgroup_info 0
		.amdhsa_system_vgpr_workitem_id 0
		.amdhsa_next_free_vgpr 26
		.amdhsa_next_free_sgpr 20
		.amdhsa_named_barrier_count 0
		.amdhsa_reserve_vcc 1
		.amdhsa_float_round_mode_32 0
		.amdhsa_float_round_mode_16_64 0
		.amdhsa_float_denorm_mode_32 3
		.amdhsa_float_denorm_mode_16_64 3
		.amdhsa_fp16_overflow 0
		.amdhsa_memory_ordered 1
		.amdhsa_forward_progress 1
		.amdhsa_inst_pref_size 8
		.amdhsa_round_robin_scheduling 0
		.amdhsa_exception_fp_ieee_invalid_op 0
		.amdhsa_exception_fp_denorm_src 0
		.amdhsa_exception_fp_ieee_div_zero 0
		.amdhsa_exception_fp_ieee_overflow 0
		.amdhsa_exception_fp_ieee_underflow 0
		.amdhsa_exception_fp_ieee_inexact 0
		.amdhsa_exception_int_div_zero 0
	.end_amdhsa_kernel
	.section	.text._ZN9rocsparseL21csrmvt_general_kernelILj256ELj8Eiid21rocsparse_complex_numIdES2_S2_EEvbbT2_NS_24const_host_device_scalarIT6_EEPKT1_S9_PKS3_PKT3_PKT4_PT5_21rocsparse_index_base_b,"axG",@progbits,_ZN9rocsparseL21csrmvt_general_kernelILj256ELj8Eiid21rocsparse_complex_numIdES2_S2_EEvbbT2_NS_24const_host_device_scalarIT6_EEPKT1_S9_PKS3_PKT3_PKT4_PT5_21rocsparse_index_base_b,comdat
.Lfunc_end337:
	.size	_ZN9rocsparseL21csrmvt_general_kernelILj256ELj8Eiid21rocsparse_complex_numIdES2_S2_EEvbbT2_NS_24const_host_device_scalarIT6_EEPKT1_S9_PKS3_PKT3_PKT4_PT5_21rocsparse_index_base_b, .Lfunc_end337-_ZN9rocsparseL21csrmvt_general_kernelILj256ELj8Eiid21rocsparse_complex_numIdES2_S2_EEvbbT2_NS_24const_host_device_scalarIT6_EEPKT1_S9_PKS3_PKT3_PKT4_PT5_21rocsparse_index_base_b
                                        ; -- End function
	.set _ZN9rocsparseL21csrmvt_general_kernelILj256ELj8Eiid21rocsparse_complex_numIdES2_S2_EEvbbT2_NS_24const_host_device_scalarIT6_EEPKT1_S9_PKS3_PKT3_PKT4_PT5_21rocsparse_index_base_b.num_vgpr, 26
	.set _ZN9rocsparseL21csrmvt_general_kernelILj256ELj8Eiid21rocsparse_complex_numIdES2_S2_EEvbbT2_NS_24const_host_device_scalarIT6_EEPKT1_S9_PKS3_PKT3_PKT4_PT5_21rocsparse_index_base_b.num_agpr, 0
	.set _ZN9rocsparseL21csrmvt_general_kernelILj256ELj8Eiid21rocsparse_complex_numIdES2_S2_EEvbbT2_NS_24const_host_device_scalarIT6_EEPKT1_S9_PKS3_PKT3_PKT4_PT5_21rocsparse_index_base_b.numbered_sgpr, 20
	.set _ZN9rocsparseL21csrmvt_general_kernelILj256ELj8Eiid21rocsparse_complex_numIdES2_S2_EEvbbT2_NS_24const_host_device_scalarIT6_EEPKT1_S9_PKS3_PKT3_PKT4_PT5_21rocsparse_index_base_b.num_named_barrier, 0
	.set _ZN9rocsparseL21csrmvt_general_kernelILj256ELj8Eiid21rocsparse_complex_numIdES2_S2_EEvbbT2_NS_24const_host_device_scalarIT6_EEPKT1_S9_PKS3_PKT3_PKT4_PT5_21rocsparse_index_base_b.private_seg_size, 0
	.set _ZN9rocsparseL21csrmvt_general_kernelILj256ELj8Eiid21rocsparse_complex_numIdES2_S2_EEvbbT2_NS_24const_host_device_scalarIT6_EEPKT1_S9_PKS3_PKT3_PKT4_PT5_21rocsparse_index_base_b.uses_vcc, 1
	.set _ZN9rocsparseL21csrmvt_general_kernelILj256ELj8Eiid21rocsparse_complex_numIdES2_S2_EEvbbT2_NS_24const_host_device_scalarIT6_EEPKT1_S9_PKS3_PKT3_PKT4_PT5_21rocsparse_index_base_b.uses_flat_scratch, 0
	.set _ZN9rocsparseL21csrmvt_general_kernelILj256ELj8Eiid21rocsparse_complex_numIdES2_S2_EEvbbT2_NS_24const_host_device_scalarIT6_EEPKT1_S9_PKS3_PKT3_PKT4_PT5_21rocsparse_index_base_b.has_dyn_sized_stack, 0
	.set _ZN9rocsparseL21csrmvt_general_kernelILj256ELj8Eiid21rocsparse_complex_numIdES2_S2_EEvbbT2_NS_24const_host_device_scalarIT6_EEPKT1_S9_PKS3_PKT3_PKT4_PT5_21rocsparse_index_base_b.has_recursion, 0
	.set _ZN9rocsparseL21csrmvt_general_kernelILj256ELj8Eiid21rocsparse_complex_numIdES2_S2_EEvbbT2_NS_24const_host_device_scalarIT6_EEPKT1_S9_PKS3_PKT3_PKT4_PT5_21rocsparse_index_base_b.has_indirect_call, 0
	.section	.AMDGPU.csdata,"",@progbits
; Kernel info:
; codeLenInByte = 944
; TotalNumSgprs: 22
; NumVgprs: 26
; ScratchSize: 0
; MemoryBound: 0
; FloatMode: 240
; IeeeMode: 1
; LDSByteSize: 0 bytes/workgroup (compile time only)
; SGPRBlocks: 0
; VGPRBlocks: 1
; NumSGPRsForWavesPerEU: 22
; NumVGPRsForWavesPerEU: 26
; NamedBarCnt: 0
; Occupancy: 16
; WaveLimiterHint : 1
; COMPUTE_PGM_RSRC2:SCRATCH_EN: 0
; COMPUTE_PGM_RSRC2:USER_SGPR: 2
; COMPUTE_PGM_RSRC2:TRAP_HANDLER: 0
; COMPUTE_PGM_RSRC2:TGID_X_EN: 1
; COMPUTE_PGM_RSRC2:TGID_Y_EN: 0
; COMPUTE_PGM_RSRC2:TGID_Z_EN: 0
; COMPUTE_PGM_RSRC2:TIDIG_COMP_CNT: 0
	.section	.text._ZN9rocsparseL21csrmvt_general_kernelILj256ELj16Eiid21rocsparse_complex_numIdES2_S2_EEvbbT2_NS_24const_host_device_scalarIT6_EEPKT1_S9_PKS3_PKT3_PKT4_PT5_21rocsparse_index_base_b,"axG",@progbits,_ZN9rocsparseL21csrmvt_general_kernelILj256ELj16Eiid21rocsparse_complex_numIdES2_S2_EEvbbT2_NS_24const_host_device_scalarIT6_EEPKT1_S9_PKS3_PKT3_PKT4_PT5_21rocsparse_index_base_b,comdat
	.globl	_ZN9rocsparseL21csrmvt_general_kernelILj256ELj16Eiid21rocsparse_complex_numIdES2_S2_EEvbbT2_NS_24const_host_device_scalarIT6_EEPKT1_S9_PKS3_PKT3_PKT4_PT5_21rocsparse_index_base_b ; -- Begin function _ZN9rocsparseL21csrmvt_general_kernelILj256ELj16Eiid21rocsparse_complex_numIdES2_S2_EEvbbT2_NS_24const_host_device_scalarIT6_EEPKT1_S9_PKS3_PKT3_PKT4_PT5_21rocsparse_index_base_b
	.p2align	8
	.type	_ZN9rocsparseL21csrmvt_general_kernelILj256ELj16Eiid21rocsparse_complex_numIdES2_S2_EEvbbT2_NS_24const_host_device_scalarIT6_EEPKT1_S9_PKS3_PKT3_PKT4_PT5_21rocsparse_index_base_b,@function
_ZN9rocsparseL21csrmvt_general_kernelILj256ELj16Eiid21rocsparse_complex_numIdES2_S2_EEvbbT2_NS_24const_host_device_scalarIT6_EEPKT1_S9_PKS3_PKT3_PKT4_PT5_21rocsparse_index_base_b: ; @_ZN9rocsparseL21csrmvt_general_kernelILj256ELj16Eiid21rocsparse_complex_numIdES2_S2_EEvbbT2_NS_24const_host_device_scalarIT6_EEPKT1_S9_PKS3_PKT3_PKT4_PT5_21rocsparse_index_base_b
; %bb.0:
	s_clause 0x1
	s_load_b64 s[16:17], s[0:1], 0x48
	s_load_b64 s[2:3], s[0:1], 0x8
	v_mov_b32_e32 v1, 0
	s_add_nc_u64 s[4:5], s[0:1], 8
	s_wait_kmcnt 0x0
	s_bitcmp1_b32 s17, 0
	s_cselect_b32 s3, s5, s3
	s_cselect_b32 s2, s4, s2
	flat_load_b128 v[2:5], v1, s[2:3]
	s_wait_loadcnt_dscnt 0x0
	v_cmp_neq_f64_e32 vcc_lo, 0, v[2:3]
	v_cmp_neq_f64_e64 s2, 0, v[4:5]
	s_or_b32 s2, vcc_lo, s2
	s_delay_alu instid0(SALU_CYCLE_1)
	s_and_saveexec_b32 s3, s2
	s_cbranch_execz .LBB338_18
; %bb.1:
	s_clause 0x3
	s_load_b64 s[2:3], s[0:1], 0x0
	s_load_b32 s17, s[0:1], 0x50
	s_load_b128 s[12:15], s[0:1], 0x38
	s_load_b256 s[4:11], s[0:1], 0x18
	s_wait_xcnt 0x0
	s_bfe_u32 s0, ttmp6, 0x4000c
	s_and_b32 s18, ttmp6, 15
	s_add_co_i32 s0, s0, 1
	s_getreg_b32 s19, hwreg(HW_REG_IB_STS2, 6, 4)
	s_mul_i32 s0, ttmp9, s0
	v_and_b32_e32 v7, 15, v0
	s_add_co_i32 s18, s18, s0
	s_wait_kmcnt 0x0
	s_and_b32 s2, s2, 1
	s_lshl_b32 s1, s17, 4
	s_cmp_eq_u32 s19, 0
	s_cselect_b32 s0, ttmp9, s18
	s_cmp_eq_u32 s2, 0
	v_lshl_or_b32 v1, s0, 8, v0
	s_mov_b32 s2, -1
	s_delay_alu instid0(VALU_DEP_1) | instskip(NEXT) | instid1(VALU_DEP_1)
	v_lshrrev_b32_e32 v6, 4, v1
	v_cmp_gt_i32_e64 s0, s3, v6
	s_cbranch_scc0 .LBB338_9
; %bb.2:
	s_and_saveexec_b32 s2, s0
	s_cbranch_execz .LBB338_8
; %bb.3:
	v_subrev_nc_u32_e32 v16, s16, v7
	v_mov_b32_e32 v0, v6
	s_mov_b32 s17, 0
	s_branch .LBB338_5
.LBB338_4:                              ;   in Loop: Header=BB338_5 Depth=1
	s_or_b32 exec_lo, exec_lo, s18
	v_add_nc_u32_e32 v0, s1, v0
	s_delay_alu instid0(VALU_DEP_1) | instskip(SKIP_1) | instid1(SALU_CYCLE_1)
	v_cmp_le_i32_e32 vcc_lo, s3, v0
	s_or_b32 s17, vcc_lo, s17
	s_and_not1_b32 exec_lo, exec_lo, s17
	s_cbranch_execz .LBB338_8
.LBB338_5:                              ; =>This Loop Header: Depth=1
                                        ;     Child Loop BB338_7 Depth 2
	s_clause 0x1
	global_load_b32 v1, v0, s[6:7] scale_offset
	global_load_b32 v8, v0, s[4:5] scale_offset
	s_mov_b32 s18, exec_lo
	s_wait_loadcnt 0x1
	v_subrev_nc_u32_e32 v17, s16, v1
	s_wait_loadcnt 0x0
	v_add_nc_u32_e32 v18, v8, v16
	s_wait_xcnt 0x0
	s_delay_alu instid0(VALU_DEP_1)
	v_cmpx_lt_i32_e64 v18, v17
	s_cbranch_execz .LBB338_4
; %bb.6:                                ;   in Loop: Header=BB338_5 Depth=1
	v_ashrrev_i32_e32 v1, 31, v0
	s_mov_b32 s19, 0
	s_delay_alu instid0(VALU_DEP_1)
	v_lshl_add_u64 v[8:9], v[0:1], 4, s[12:13]
	global_load_b128 v[12:15], v[8:9], off
	s_wait_loadcnt 0x0
	s_wait_xcnt 0x0
	v_mul_f64_e32 v[8:9], v[2:3], v[14:15]
	v_mul_f64_e64 v[10:11], v[14:15], -v[4:5]
	s_delay_alu instid0(VALU_DEP_2) | instskip(NEXT) | instid1(VALU_DEP_2)
	v_fmac_f64_e32 v[8:9], v[4:5], v[12:13]
	v_fmac_f64_e32 v[10:11], v[2:3], v[12:13]
	s_delay_alu instid0(VALU_DEP_2) | instskip(NEXT) | instid1(VALU_DEP_2)
	v_mul_f64_e32 v[12:13], 0x80000000, v[8:9]
	v_mul_f64_e32 v[14:15], 0, v[10:11]
.LBB338_7:                              ;   Parent Loop BB338_5 Depth=1
                                        ; =>  This Inner Loop Header: Depth=2
	s_clause 0x1
	global_load_b64 v[20:21], v18, s[10:11] scale_offset
	global_load_b32 v1, v18, s[8:9] scale_offset
	s_wait_xcnt 0x0
	v_add_nc_u32_e32 v18, 16, v18
	s_delay_alu instid0(VALU_DEP_1)
	v_cmp_ge_i32_e32 vcc_lo, v18, v17
	s_or_b32 s19, vcc_lo, s19
	s_wait_loadcnt 0x1
	v_fma_f64 v[22:23], v[10:11], v[20:21], v[12:13]
	v_fma_f64 v[20:21], v[8:9], v[20:21], v[14:15]
	s_wait_loadcnt 0x0
	v_subrev_nc_u32_e32 v24, s16, v1
	s_delay_alu instid0(VALU_DEP_1) | instskip(NEXT) | instid1(VALU_DEP_1)
	v_ashrrev_i32_e32 v25, 31, v24
	v_lshl_add_u64 v[24:25], v[24:25], 4, s[14:15]
	global_atomic_add_f64 v[24:25], v[22:23], off scope:SCOPE_DEV
	s_wait_xcnt 0x0
	global_atomic_add_f64 v[24:25], v[20:21], off offset:8 scope:SCOPE_DEV
	s_wait_xcnt 0x0
	s_and_not1_b32 exec_lo, exec_lo, s19
	s_cbranch_execnz .LBB338_7
	s_branch .LBB338_4
.LBB338_8:
	s_or_b32 exec_lo, exec_lo, s2
	s_mov_b32 s2, 0
.LBB338_9:
	s_delay_alu instid0(SALU_CYCLE_1)
	s_and_not1_b32 vcc_lo, exec_lo, s2
	s_cbranch_vccnz .LBB338_18
; %bb.10:
	s_and_b32 exec_lo, exec_lo, s0
	s_cbranch_execz .LBB338_18
; %bb.11:
	v_subrev_nc_u32_e32 v18, s16, v7
	s_mov_b32 s0, 0
	s_branch .LBB338_13
.LBB338_12:                             ;   in Loop: Header=BB338_13 Depth=1
	s_or_b32 exec_lo, exec_lo, s2
	v_add_nc_u32_e32 v6, s1, v6
	s_delay_alu instid0(VALU_DEP_1) | instskip(SKIP_1) | instid1(SALU_CYCLE_1)
	v_cmp_le_i32_e32 vcc_lo, s3, v6
	s_or_b32 s0, vcc_lo, s0
	s_and_not1_b32 exec_lo, exec_lo, s0
	s_cbranch_execz .LBB338_18
.LBB338_13:                             ; =>This Loop Header: Depth=1
                                        ;     Child Loop BB338_16 Depth 2
	s_clause 0x1
	global_load_b32 v0, v6, s[6:7] scale_offset
	global_load_b32 v1, v6, s[4:5] scale_offset
	s_mov_b32 s2, exec_lo
	s_wait_loadcnt 0x1
	v_subrev_nc_u32_e32 v19, s16, v0
	s_wait_loadcnt 0x0
	v_add_nc_u32_e32 v0, v1, v18
	s_wait_xcnt 0x0
	s_delay_alu instid0(VALU_DEP_1)
	v_cmpx_lt_i32_e64 v0, v19
	s_cbranch_execz .LBB338_12
; %bb.14:                               ;   in Loop: Header=BB338_13 Depth=1
	v_ashrrev_i32_e32 v7, 31, v6
	s_mov_b32 s17, 0
	s_delay_alu instid0(VALU_DEP_1) | instskip(SKIP_4) | instid1(VALU_DEP_2)
	v_lshl_add_u64 v[8:9], v[6:7], 4, s[12:13]
	global_load_b128 v[12:15], v[8:9], off
	s_wait_loadcnt 0x0
	v_mul_f64_e32 v[8:9], v[2:3], v[14:15]
	v_mul_f64_e64 v[10:11], v[14:15], -v[4:5]
	v_fmac_f64_e32 v[8:9], v[4:5], v[12:13]
	s_delay_alu instid0(VALU_DEP_2) | instskip(NEXT) | instid1(VALU_DEP_2)
	v_fmac_f64_e32 v[10:11], v[2:3], v[12:13]
	v_mul_f64_e32 v[12:13], 0x80000000, v[8:9]
	s_delay_alu instid0(VALU_DEP_2)
	v_mul_f64_e32 v[14:15], 0, v[10:11]
	s_branch .LBB338_16
.LBB338_15:                             ;   in Loop: Header=BB338_16 Depth=2
	s_wait_xcnt 0x0
	s_or_b32 exec_lo, exec_lo, s18
	v_add_nc_u32_e32 v0, 16, v0
	s_delay_alu instid0(VALU_DEP_1) | instskip(SKIP_1) | instid1(SALU_CYCLE_1)
	v_cmp_ge_i32_e32 vcc_lo, v0, v19
	s_or_b32 s17, vcc_lo, s17
	s_and_not1_b32 exec_lo, exec_lo, s17
	s_cbranch_execz .LBB338_12
.LBB338_16:                             ;   Parent Loop BB338_13 Depth=1
                                        ; =>  This Inner Loop Header: Depth=2
	global_load_b32 v1, v0, s[8:9] scale_offset
	s_mov_b32 s18, exec_lo
	s_wait_loadcnt 0x0
	v_subrev_nc_u32_e32 v16, s16, v1
	v_ashrrev_i32_e32 v1, 31, v0
	s_wait_xcnt 0x0
	s_delay_alu instid0(VALU_DEP_2)
	v_cmpx_ne_u32_e64 v16, v6
	s_cbranch_execz .LBB338_15
; %bb.17:                               ;   in Loop: Header=BB338_16 Depth=2
	s_delay_alu instid0(VALU_DEP_2)
	v_lshl_add_u64 v[20:21], v[0:1], 3, s[10:11]
	v_ashrrev_i32_e32 v17, 31, v16
	global_load_b64 v[20:21], v[20:21], off
	v_lshl_add_u64 v[16:17], v[16:17], 4, s[14:15]
	s_wait_loadcnt 0x0
	v_fma_f64 v[22:23], v[10:11], v[20:21], v[12:13]
	s_wait_xcnt 0x0
	v_fma_f64 v[20:21], v[8:9], v[20:21], v[14:15]
	global_atomic_add_f64 v[16:17], v[22:23], off scope:SCOPE_DEV
	s_wait_xcnt 0x0
	global_atomic_add_f64 v[16:17], v[20:21], off offset:8 scope:SCOPE_DEV
	s_branch .LBB338_15
.LBB338_18:
	s_endpgm
	.section	.rodata,"a",@progbits
	.p2align	6, 0x0
	.amdhsa_kernel _ZN9rocsparseL21csrmvt_general_kernelILj256ELj16Eiid21rocsparse_complex_numIdES2_S2_EEvbbT2_NS_24const_host_device_scalarIT6_EEPKT1_S9_PKS3_PKT3_PKT4_PT5_21rocsparse_index_base_b
		.amdhsa_group_segment_fixed_size 0
		.amdhsa_private_segment_fixed_size 0
		.amdhsa_kernarg_size 336
		.amdhsa_user_sgpr_count 2
		.amdhsa_user_sgpr_dispatch_ptr 0
		.amdhsa_user_sgpr_queue_ptr 0
		.amdhsa_user_sgpr_kernarg_segment_ptr 1
		.amdhsa_user_sgpr_dispatch_id 0
		.amdhsa_user_sgpr_kernarg_preload_length 0
		.amdhsa_user_sgpr_kernarg_preload_offset 0
		.amdhsa_user_sgpr_private_segment_size 0
		.amdhsa_wavefront_size32 1
		.amdhsa_uses_dynamic_stack 0
		.amdhsa_enable_private_segment 0
		.amdhsa_system_sgpr_workgroup_id_x 1
		.amdhsa_system_sgpr_workgroup_id_y 0
		.amdhsa_system_sgpr_workgroup_id_z 0
		.amdhsa_system_sgpr_workgroup_info 0
		.amdhsa_system_vgpr_workitem_id 0
		.amdhsa_next_free_vgpr 26
		.amdhsa_next_free_sgpr 20
		.amdhsa_named_barrier_count 0
		.amdhsa_reserve_vcc 1
		.amdhsa_float_round_mode_32 0
		.amdhsa_float_round_mode_16_64 0
		.amdhsa_float_denorm_mode_32 3
		.amdhsa_float_denorm_mode_16_64 3
		.amdhsa_fp16_overflow 0
		.amdhsa_memory_ordered 1
		.amdhsa_forward_progress 1
		.amdhsa_inst_pref_size 8
		.amdhsa_round_robin_scheduling 0
		.amdhsa_exception_fp_ieee_invalid_op 0
		.amdhsa_exception_fp_denorm_src 0
		.amdhsa_exception_fp_ieee_div_zero 0
		.amdhsa_exception_fp_ieee_overflow 0
		.amdhsa_exception_fp_ieee_underflow 0
		.amdhsa_exception_fp_ieee_inexact 0
		.amdhsa_exception_int_div_zero 0
	.end_amdhsa_kernel
	.section	.text._ZN9rocsparseL21csrmvt_general_kernelILj256ELj16Eiid21rocsparse_complex_numIdES2_S2_EEvbbT2_NS_24const_host_device_scalarIT6_EEPKT1_S9_PKS3_PKT3_PKT4_PT5_21rocsparse_index_base_b,"axG",@progbits,_ZN9rocsparseL21csrmvt_general_kernelILj256ELj16Eiid21rocsparse_complex_numIdES2_S2_EEvbbT2_NS_24const_host_device_scalarIT6_EEPKT1_S9_PKS3_PKT3_PKT4_PT5_21rocsparse_index_base_b,comdat
.Lfunc_end338:
	.size	_ZN9rocsparseL21csrmvt_general_kernelILj256ELj16Eiid21rocsparse_complex_numIdES2_S2_EEvbbT2_NS_24const_host_device_scalarIT6_EEPKT1_S9_PKS3_PKT3_PKT4_PT5_21rocsparse_index_base_b, .Lfunc_end338-_ZN9rocsparseL21csrmvt_general_kernelILj256ELj16Eiid21rocsparse_complex_numIdES2_S2_EEvbbT2_NS_24const_host_device_scalarIT6_EEPKT1_S9_PKS3_PKT3_PKT4_PT5_21rocsparse_index_base_b
                                        ; -- End function
	.set _ZN9rocsparseL21csrmvt_general_kernelILj256ELj16Eiid21rocsparse_complex_numIdES2_S2_EEvbbT2_NS_24const_host_device_scalarIT6_EEPKT1_S9_PKS3_PKT3_PKT4_PT5_21rocsparse_index_base_b.num_vgpr, 26
	.set _ZN9rocsparseL21csrmvt_general_kernelILj256ELj16Eiid21rocsparse_complex_numIdES2_S2_EEvbbT2_NS_24const_host_device_scalarIT6_EEPKT1_S9_PKS3_PKT3_PKT4_PT5_21rocsparse_index_base_b.num_agpr, 0
	.set _ZN9rocsparseL21csrmvt_general_kernelILj256ELj16Eiid21rocsparse_complex_numIdES2_S2_EEvbbT2_NS_24const_host_device_scalarIT6_EEPKT1_S9_PKS3_PKT3_PKT4_PT5_21rocsparse_index_base_b.numbered_sgpr, 20
	.set _ZN9rocsparseL21csrmvt_general_kernelILj256ELj16Eiid21rocsparse_complex_numIdES2_S2_EEvbbT2_NS_24const_host_device_scalarIT6_EEPKT1_S9_PKS3_PKT3_PKT4_PT5_21rocsparse_index_base_b.num_named_barrier, 0
	.set _ZN9rocsparseL21csrmvt_general_kernelILj256ELj16Eiid21rocsparse_complex_numIdES2_S2_EEvbbT2_NS_24const_host_device_scalarIT6_EEPKT1_S9_PKS3_PKT3_PKT4_PT5_21rocsparse_index_base_b.private_seg_size, 0
	.set _ZN9rocsparseL21csrmvt_general_kernelILj256ELj16Eiid21rocsparse_complex_numIdES2_S2_EEvbbT2_NS_24const_host_device_scalarIT6_EEPKT1_S9_PKS3_PKT3_PKT4_PT5_21rocsparse_index_base_b.uses_vcc, 1
	.set _ZN9rocsparseL21csrmvt_general_kernelILj256ELj16Eiid21rocsparse_complex_numIdES2_S2_EEvbbT2_NS_24const_host_device_scalarIT6_EEPKT1_S9_PKS3_PKT3_PKT4_PT5_21rocsparse_index_base_b.uses_flat_scratch, 0
	.set _ZN9rocsparseL21csrmvt_general_kernelILj256ELj16Eiid21rocsparse_complex_numIdES2_S2_EEvbbT2_NS_24const_host_device_scalarIT6_EEPKT1_S9_PKS3_PKT3_PKT4_PT5_21rocsparse_index_base_b.has_dyn_sized_stack, 0
	.set _ZN9rocsparseL21csrmvt_general_kernelILj256ELj16Eiid21rocsparse_complex_numIdES2_S2_EEvbbT2_NS_24const_host_device_scalarIT6_EEPKT1_S9_PKS3_PKT3_PKT4_PT5_21rocsparse_index_base_b.has_recursion, 0
	.set _ZN9rocsparseL21csrmvt_general_kernelILj256ELj16Eiid21rocsparse_complex_numIdES2_S2_EEvbbT2_NS_24const_host_device_scalarIT6_EEPKT1_S9_PKS3_PKT3_PKT4_PT5_21rocsparse_index_base_b.has_indirect_call, 0
	.section	.AMDGPU.csdata,"",@progbits
; Kernel info:
; codeLenInByte = 944
; TotalNumSgprs: 22
; NumVgprs: 26
; ScratchSize: 0
; MemoryBound: 0
; FloatMode: 240
; IeeeMode: 1
; LDSByteSize: 0 bytes/workgroup (compile time only)
; SGPRBlocks: 0
; VGPRBlocks: 1
; NumSGPRsForWavesPerEU: 22
; NumVGPRsForWavesPerEU: 26
; NamedBarCnt: 0
; Occupancy: 16
; WaveLimiterHint : 1
; COMPUTE_PGM_RSRC2:SCRATCH_EN: 0
; COMPUTE_PGM_RSRC2:USER_SGPR: 2
; COMPUTE_PGM_RSRC2:TRAP_HANDLER: 0
; COMPUTE_PGM_RSRC2:TGID_X_EN: 1
; COMPUTE_PGM_RSRC2:TGID_Y_EN: 0
; COMPUTE_PGM_RSRC2:TGID_Z_EN: 0
; COMPUTE_PGM_RSRC2:TIDIG_COMP_CNT: 0
	.section	.text._ZN9rocsparseL21csrmvt_general_kernelILj256ELj32Eiid21rocsparse_complex_numIdES2_S2_EEvbbT2_NS_24const_host_device_scalarIT6_EEPKT1_S9_PKS3_PKT3_PKT4_PT5_21rocsparse_index_base_b,"axG",@progbits,_ZN9rocsparseL21csrmvt_general_kernelILj256ELj32Eiid21rocsparse_complex_numIdES2_S2_EEvbbT2_NS_24const_host_device_scalarIT6_EEPKT1_S9_PKS3_PKT3_PKT4_PT5_21rocsparse_index_base_b,comdat
	.globl	_ZN9rocsparseL21csrmvt_general_kernelILj256ELj32Eiid21rocsparse_complex_numIdES2_S2_EEvbbT2_NS_24const_host_device_scalarIT6_EEPKT1_S9_PKS3_PKT3_PKT4_PT5_21rocsparse_index_base_b ; -- Begin function _ZN9rocsparseL21csrmvt_general_kernelILj256ELj32Eiid21rocsparse_complex_numIdES2_S2_EEvbbT2_NS_24const_host_device_scalarIT6_EEPKT1_S9_PKS3_PKT3_PKT4_PT5_21rocsparse_index_base_b
	.p2align	8
	.type	_ZN9rocsparseL21csrmvt_general_kernelILj256ELj32Eiid21rocsparse_complex_numIdES2_S2_EEvbbT2_NS_24const_host_device_scalarIT6_EEPKT1_S9_PKS3_PKT3_PKT4_PT5_21rocsparse_index_base_b,@function
_ZN9rocsparseL21csrmvt_general_kernelILj256ELj32Eiid21rocsparse_complex_numIdES2_S2_EEvbbT2_NS_24const_host_device_scalarIT6_EEPKT1_S9_PKS3_PKT3_PKT4_PT5_21rocsparse_index_base_b: ; @_ZN9rocsparseL21csrmvt_general_kernelILj256ELj32Eiid21rocsparse_complex_numIdES2_S2_EEvbbT2_NS_24const_host_device_scalarIT6_EEPKT1_S9_PKS3_PKT3_PKT4_PT5_21rocsparse_index_base_b
; %bb.0:
	s_clause 0x1
	s_load_b64 s[16:17], s[0:1], 0x48
	s_load_b64 s[2:3], s[0:1], 0x8
	v_mov_b32_e32 v1, 0
	s_add_nc_u64 s[4:5], s[0:1], 8
	s_wait_kmcnt 0x0
	s_bitcmp1_b32 s17, 0
	s_cselect_b32 s3, s5, s3
	s_cselect_b32 s2, s4, s2
	flat_load_b128 v[2:5], v1, s[2:3]
	s_wait_loadcnt_dscnt 0x0
	v_cmp_neq_f64_e32 vcc_lo, 0, v[2:3]
	v_cmp_neq_f64_e64 s2, 0, v[4:5]
	s_or_b32 s2, vcc_lo, s2
	s_delay_alu instid0(SALU_CYCLE_1)
	s_and_saveexec_b32 s3, s2
	s_cbranch_execz .LBB339_18
; %bb.1:
	s_clause 0x3
	s_load_b64 s[2:3], s[0:1], 0x0
	s_load_b32 s17, s[0:1], 0x50
	s_load_b128 s[12:15], s[0:1], 0x38
	s_load_b256 s[4:11], s[0:1], 0x18
	s_wait_xcnt 0x0
	s_bfe_u32 s0, ttmp6, 0x4000c
	s_and_b32 s18, ttmp6, 15
	s_add_co_i32 s0, s0, 1
	s_getreg_b32 s19, hwreg(HW_REG_IB_STS2, 6, 4)
	s_mul_i32 s0, ttmp9, s0
	v_and_b32_e32 v7, 31, v0
	s_add_co_i32 s18, s18, s0
	s_wait_kmcnt 0x0
	s_and_b32 s2, s2, 1
	s_lshl_b32 s1, s17, 3
	s_cmp_eq_u32 s19, 0
	s_cselect_b32 s0, ttmp9, s18
	s_cmp_eq_u32 s2, 0
	v_lshl_or_b32 v1, s0, 8, v0
	s_mov_b32 s2, -1
	s_delay_alu instid0(VALU_DEP_1) | instskip(NEXT) | instid1(VALU_DEP_1)
	v_lshrrev_b32_e32 v6, 5, v1
	v_cmp_gt_i32_e64 s0, s3, v6
	s_cbranch_scc0 .LBB339_9
; %bb.2:
	s_and_saveexec_b32 s2, s0
	s_cbranch_execz .LBB339_8
; %bb.3:
	v_subrev_nc_u32_e32 v16, s16, v7
	v_mov_b32_e32 v0, v6
	s_mov_b32 s17, 0
	s_branch .LBB339_5
.LBB339_4:                              ;   in Loop: Header=BB339_5 Depth=1
	s_or_b32 exec_lo, exec_lo, s18
	v_add_nc_u32_e32 v0, s1, v0
	s_delay_alu instid0(VALU_DEP_1) | instskip(SKIP_1) | instid1(SALU_CYCLE_1)
	v_cmp_le_i32_e32 vcc_lo, s3, v0
	s_or_b32 s17, vcc_lo, s17
	s_and_not1_b32 exec_lo, exec_lo, s17
	s_cbranch_execz .LBB339_8
.LBB339_5:                              ; =>This Loop Header: Depth=1
                                        ;     Child Loop BB339_7 Depth 2
	s_clause 0x1
	global_load_b32 v1, v0, s[6:7] scale_offset
	global_load_b32 v8, v0, s[4:5] scale_offset
	s_mov_b32 s18, exec_lo
	s_wait_loadcnt 0x1
	v_subrev_nc_u32_e32 v17, s16, v1
	s_wait_loadcnt 0x0
	v_add_nc_u32_e32 v18, v8, v16
	s_wait_xcnt 0x0
	s_delay_alu instid0(VALU_DEP_1)
	v_cmpx_lt_i32_e64 v18, v17
	s_cbranch_execz .LBB339_4
; %bb.6:                                ;   in Loop: Header=BB339_5 Depth=1
	v_ashrrev_i32_e32 v1, 31, v0
	s_mov_b32 s19, 0
	s_delay_alu instid0(VALU_DEP_1)
	v_lshl_add_u64 v[8:9], v[0:1], 4, s[12:13]
	global_load_b128 v[12:15], v[8:9], off
	s_wait_loadcnt 0x0
	s_wait_xcnt 0x0
	v_mul_f64_e32 v[8:9], v[2:3], v[14:15]
	v_mul_f64_e64 v[10:11], v[14:15], -v[4:5]
	s_delay_alu instid0(VALU_DEP_2) | instskip(NEXT) | instid1(VALU_DEP_2)
	v_fmac_f64_e32 v[8:9], v[4:5], v[12:13]
	v_fmac_f64_e32 v[10:11], v[2:3], v[12:13]
	s_delay_alu instid0(VALU_DEP_2) | instskip(NEXT) | instid1(VALU_DEP_2)
	v_mul_f64_e32 v[12:13], 0x80000000, v[8:9]
	v_mul_f64_e32 v[14:15], 0, v[10:11]
.LBB339_7:                              ;   Parent Loop BB339_5 Depth=1
                                        ; =>  This Inner Loop Header: Depth=2
	s_clause 0x1
	global_load_b64 v[20:21], v18, s[10:11] scale_offset
	global_load_b32 v1, v18, s[8:9] scale_offset
	s_wait_xcnt 0x0
	v_add_nc_u32_e32 v18, 32, v18
	s_delay_alu instid0(VALU_DEP_1)
	v_cmp_ge_i32_e32 vcc_lo, v18, v17
	s_or_b32 s19, vcc_lo, s19
	s_wait_loadcnt 0x1
	v_fma_f64 v[22:23], v[10:11], v[20:21], v[12:13]
	v_fma_f64 v[20:21], v[8:9], v[20:21], v[14:15]
	s_wait_loadcnt 0x0
	v_subrev_nc_u32_e32 v24, s16, v1
	s_delay_alu instid0(VALU_DEP_1) | instskip(NEXT) | instid1(VALU_DEP_1)
	v_ashrrev_i32_e32 v25, 31, v24
	v_lshl_add_u64 v[24:25], v[24:25], 4, s[14:15]
	global_atomic_add_f64 v[24:25], v[22:23], off scope:SCOPE_DEV
	s_wait_xcnt 0x0
	global_atomic_add_f64 v[24:25], v[20:21], off offset:8 scope:SCOPE_DEV
	s_wait_xcnt 0x0
	s_and_not1_b32 exec_lo, exec_lo, s19
	s_cbranch_execnz .LBB339_7
	s_branch .LBB339_4
.LBB339_8:
	s_or_b32 exec_lo, exec_lo, s2
	s_mov_b32 s2, 0
.LBB339_9:
	s_delay_alu instid0(SALU_CYCLE_1)
	s_and_not1_b32 vcc_lo, exec_lo, s2
	s_cbranch_vccnz .LBB339_18
; %bb.10:
	s_and_b32 exec_lo, exec_lo, s0
	s_cbranch_execz .LBB339_18
; %bb.11:
	v_subrev_nc_u32_e32 v18, s16, v7
	s_mov_b32 s0, 0
	s_branch .LBB339_13
.LBB339_12:                             ;   in Loop: Header=BB339_13 Depth=1
	s_or_b32 exec_lo, exec_lo, s2
	v_add_nc_u32_e32 v6, s1, v6
	s_delay_alu instid0(VALU_DEP_1) | instskip(SKIP_1) | instid1(SALU_CYCLE_1)
	v_cmp_le_i32_e32 vcc_lo, s3, v6
	s_or_b32 s0, vcc_lo, s0
	s_and_not1_b32 exec_lo, exec_lo, s0
	s_cbranch_execz .LBB339_18
.LBB339_13:                             ; =>This Loop Header: Depth=1
                                        ;     Child Loop BB339_16 Depth 2
	s_clause 0x1
	global_load_b32 v0, v6, s[6:7] scale_offset
	global_load_b32 v1, v6, s[4:5] scale_offset
	s_mov_b32 s2, exec_lo
	s_wait_loadcnt 0x1
	v_subrev_nc_u32_e32 v19, s16, v0
	s_wait_loadcnt 0x0
	v_add_nc_u32_e32 v0, v1, v18
	s_wait_xcnt 0x0
	s_delay_alu instid0(VALU_DEP_1)
	v_cmpx_lt_i32_e64 v0, v19
	s_cbranch_execz .LBB339_12
; %bb.14:                               ;   in Loop: Header=BB339_13 Depth=1
	v_ashrrev_i32_e32 v7, 31, v6
	s_mov_b32 s17, 0
	s_delay_alu instid0(VALU_DEP_1) | instskip(SKIP_4) | instid1(VALU_DEP_2)
	v_lshl_add_u64 v[8:9], v[6:7], 4, s[12:13]
	global_load_b128 v[12:15], v[8:9], off
	s_wait_loadcnt 0x0
	v_mul_f64_e32 v[8:9], v[2:3], v[14:15]
	v_mul_f64_e64 v[10:11], v[14:15], -v[4:5]
	v_fmac_f64_e32 v[8:9], v[4:5], v[12:13]
	s_delay_alu instid0(VALU_DEP_2) | instskip(NEXT) | instid1(VALU_DEP_2)
	v_fmac_f64_e32 v[10:11], v[2:3], v[12:13]
	v_mul_f64_e32 v[12:13], 0x80000000, v[8:9]
	s_delay_alu instid0(VALU_DEP_2)
	v_mul_f64_e32 v[14:15], 0, v[10:11]
	s_branch .LBB339_16
.LBB339_15:                             ;   in Loop: Header=BB339_16 Depth=2
	s_wait_xcnt 0x0
	s_or_b32 exec_lo, exec_lo, s18
	v_add_nc_u32_e32 v0, 32, v0
	s_delay_alu instid0(VALU_DEP_1) | instskip(SKIP_1) | instid1(SALU_CYCLE_1)
	v_cmp_ge_i32_e32 vcc_lo, v0, v19
	s_or_b32 s17, vcc_lo, s17
	s_and_not1_b32 exec_lo, exec_lo, s17
	s_cbranch_execz .LBB339_12
.LBB339_16:                             ;   Parent Loop BB339_13 Depth=1
                                        ; =>  This Inner Loop Header: Depth=2
	global_load_b32 v1, v0, s[8:9] scale_offset
	s_mov_b32 s18, exec_lo
	s_wait_loadcnt 0x0
	v_subrev_nc_u32_e32 v16, s16, v1
	v_ashrrev_i32_e32 v1, 31, v0
	s_wait_xcnt 0x0
	s_delay_alu instid0(VALU_DEP_2)
	v_cmpx_ne_u32_e64 v16, v6
	s_cbranch_execz .LBB339_15
; %bb.17:                               ;   in Loop: Header=BB339_16 Depth=2
	s_delay_alu instid0(VALU_DEP_2)
	v_lshl_add_u64 v[20:21], v[0:1], 3, s[10:11]
	v_ashrrev_i32_e32 v17, 31, v16
	global_load_b64 v[20:21], v[20:21], off
	v_lshl_add_u64 v[16:17], v[16:17], 4, s[14:15]
	s_wait_loadcnt 0x0
	v_fma_f64 v[22:23], v[10:11], v[20:21], v[12:13]
	s_wait_xcnt 0x0
	v_fma_f64 v[20:21], v[8:9], v[20:21], v[14:15]
	global_atomic_add_f64 v[16:17], v[22:23], off scope:SCOPE_DEV
	s_wait_xcnt 0x0
	global_atomic_add_f64 v[16:17], v[20:21], off offset:8 scope:SCOPE_DEV
	s_branch .LBB339_15
.LBB339_18:
	s_endpgm
	.section	.rodata,"a",@progbits
	.p2align	6, 0x0
	.amdhsa_kernel _ZN9rocsparseL21csrmvt_general_kernelILj256ELj32Eiid21rocsparse_complex_numIdES2_S2_EEvbbT2_NS_24const_host_device_scalarIT6_EEPKT1_S9_PKS3_PKT3_PKT4_PT5_21rocsparse_index_base_b
		.amdhsa_group_segment_fixed_size 0
		.amdhsa_private_segment_fixed_size 0
		.amdhsa_kernarg_size 336
		.amdhsa_user_sgpr_count 2
		.amdhsa_user_sgpr_dispatch_ptr 0
		.amdhsa_user_sgpr_queue_ptr 0
		.amdhsa_user_sgpr_kernarg_segment_ptr 1
		.amdhsa_user_sgpr_dispatch_id 0
		.amdhsa_user_sgpr_kernarg_preload_length 0
		.amdhsa_user_sgpr_kernarg_preload_offset 0
		.amdhsa_user_sgpr_private_segment_size 0
		.amdhsa_wavefront_size32 1
		.amdhsa_uses_dynamic_stack 0
		.amdhsa_enable_private_segment 0
		.amdhsa_system_sgpr_workgroup_id_x 1
		.amdhsa_system_sgpr_workgroup_id_y 0
		.amdhsa_system_sgpr_workgroup_id_z 0
		.amdhsa_system_sgpr_workgroup_info 0
		.amdhsa_system_vgpr_workitem_id 0
		.amdhsa_next_free_vgpr 26
		.amdhsa_next_free_sgpr 20
		.amdhsa_named_barrier_count 0
		.amdhsa_reserve_vcc 1
		.amdhsa_float_round_mode_32 0
		.amdhsa_float_round_mode_16_64 0
		.amdhsa_float_denorm_mode_32 3
		.amdhsa_float_denorm_mode_16_64 3
		.amdhsa_fp16_overflow 0
		.amdhsa_memory_ordered 1
		.amdhsa_forward_progress 1
		.amdhsa_inst_pref_size 8
		.amdhsa_round_robin_scheduling 0
		.amdhsa_exception_fp_ieee_invalid_op 0
		.amdhsa_exception_fp_denorm_src 0
		.amdhsa_exception_fp_ieee_div_zero 0
		.amdhsa_exception_fp_ieee_overflow 0
		.amdhsa_exception_fp_ieee_underflow 0
		.amdhsa_exception_fp_ieee_inexact 0
		.amdhsa_exception_int_div_zero 0
	.end_amdhsa_kernel
	.section	.text._ZN9rocsparseL21csrmvt_general_kernelILj256ELj32Eiid21rocsparse_complex_numIdES2_S2_EEvbbT2_NS_24const_host_device_scalarIT6_EEPKT1_S9_PKS3_PKT3_PKT4_PT5_21rocsparse_index_base_b,"axG",@progbits,_ZN9rocsparseL21csrmvt_general_kernelILj256ELj32Eiid21rocsparse_complex_numIdES2_S2_EEvbbT2_NS_24const_host_device_scalarIT6_EEPKT1_S9_PKS3_PKT3_PKT4_PT5_21rocsparse_index_base_b,comdat
.Lfunc_end339:
	.size	_ZN9rocsparseL21csrmvt_general_kernelILj256ELj32Eiid21rocsparse_complex_numIdES2_S2_EEvbbT2_NS_24const_host_device_scalarIT6_EEPKT1_S9_PKS3_PKT3_PKT4_PT5_21rocsparse_index_base_b, .Lfunc_end339-_ZN9rocsparseL21csrmvt_general_kernelILj256ELj32Eiid21rocsparse_complex_numIdES2_S2_EEvbbT2_NS_24const_host_device_scalarIT6_EEPKT1_S9_PKS3_PKT3_PKT4_PT5_21rocsparse_index_base_b
                                        ; -- End function
	.set _ZN9rocsparseL21csrmvt_general_kernelILj256ELj32Eiid21rocsparse_complex_numIdES2_S2_EEvbbT2_NS_24const_host_device_scalarIT6_EEPKT1_S9_PKS3_PKT3_PKT4_PT5_21rocsparse_index_base_b.num_vgpr, 26
	.set _ZN9rocsparseL21csrmvt_general_kernelILj256ELj32Eiid21rocsparse_complex_numIdES2_S2_EEvbbT2_NS_24const_host_device_scalarIT6_EEPKT1_S9_PKS3_PKT3_PKT4_PT5_21rocsparse_index_base_b.num_agpr, 0
	.set _ZN9rocsparseL21csrmvt_general_kernelILj256ELj32Eiid21rocsparse_complex_numIdES2_S2_EEvbbT2_NS_24const_host_device_scalarIT6_EEPKT1_S9_PKS3_PKT3_PKT4_PT5_21rocsparse_index_base_b.numbered_sgpr, 20
	.set _ZN9rocsparseL21csrmvt_general_kernelILj256ELj32Eiid21rocsparse_complex_numIdES2_S2_EEvbbT2_NS_24const_host_device_scalarIT6_EEPKT1_S9_PKS3_PKT3_PKT4_PT5_21rocsparse_index_base_b.num_named_barrier, 0
	.set _ZN9rocsparseL21csrmvt_general_kernelILj256ELj32Eiid21rocsparse_complex_numIdES2_S2_EEvbbT2_NS_24const_host_device_scalarIT6_EEPKT1_S9_PKS3_PKT3_PKT4_PT5_21rocsparse_index_base_b.private_seg_size, 0
	.set _ZN9rocsparseL21csrmvt_general_kernelILj256ELj32Eiid21rocsparse_complex_numIdES2_S2_EEvbbT2_NS_24const_host_device_scalarIT6_EEPKT1_S9_PKS3_PKT3_PKT4_PT5_21rocsparse_index_base_b.uses_vcc, 1
	.set _ZN9rocsparseL21csrmvt_general_kernelILj256ELj32Eiid21rocsparse_complex_numIdES2_S2_EEvbbT2_NS_24const_host_device_scalarIT6_EEPKT1_S9_PKS3_PKT3_PKT4_PT5_21rocsparse_index_base_b.uses_flat_scratch, 0
	.set _ZN9rocsparseL21csrmvt_general_kernelILj256ELj32Eiid21rocsparse_complex_numIdES2_S2_EEvbbT2_NS_24const_host_device_scalarIT6_EEPKT1_S9_PKS3_PKT3_PKT4_PT5_21rocsparse_index_base_b.has_dyn_sized_stack, 0
	.set _ZN9rocsparseL21csrmvt_general_kernelILj256ELj32Eiid21rocsparse_complex_numIdES2_S2_EEvbbT2_NS_24const_host_device_scalarIT6_EEPKT1_S9_PKS3_PKT3_PKT4_PT5_21rocsparse_index_base_b.has_recursion, 0
	.set _ZN9rocsparseL21csrmvt_general_kernelILj256ELj32Eiid21rocsparse_complex_numIdES2_S2_EEvbbT2_NS_24const_host_device_scalarIT6_EEPKT1_S9_PKS3_PKT3_PKT4_PT5_21rocsparse_index_base_b.has_indirect_call, 0
	.section	.AMDGPU.csdata,"",@progbits
; Kernel info:
; codeLenInByte = 944
; TotalNumSgprs: 22
; NumVgprs: 26
; ScratchSize: 0
; MemoryBound: 0
; FloatMode: 240
; IeeeMode: 1
; LDSByteSize: 0 bytes/workgroup (compile time only)
; SGPRBlocks: 0
; VGPRBlocks: 1
; NumSGPRsForWavesPerEU: 22
; NumVGPRsForWavesPerEU: 26
; NamedBarCnt: 0
; Occupancy: 16
; WaveLimiterHint : 1
; COMPUTE_PGM_RSRC2:SCRATCH_EN: 0
; COMPUTE_PGM_RSRC2:USER_SGPR: 2
; COMPUTE_PGM_RSRC2:TRAP_HANDLER: 0
; COMPUTE_PGM_RSRC2:TGID_X_EN: 1
; COMPUTE_PGM_RSRC2:TGID_Y_EN: 0
; COMPUTE_PGM_RSRC2:TGID_Z_EN: 0
; COMPUTE_PGM_RSRC2:TIDIG_COMP_CNT: 0
	.section	.text._ZN9rocsparseL21csrmvt_general_kernelILj256ELj64Eiid21rocsparse_complex_numIdES2_S2_EEvbbT2_NS_24const_host_device_scalarIT6_EEPKT1_S9_PKS3_PKT3_PKT4_PT5_21rocsparse_index_base_b,"axG",@progbits,_ZN9rocsparseL21csrmvt_general_kernelILj256ELj64Eiid21rocsparse_complex_numIdES2_S2_EEvbbT2_NS_24const_host_device_scalarIT6_EEPKT1_S9_PKS3_PKT3_PKT4_PT5_21rocsparse_index_base_b,comdat
	.globl	_ZN9rocsparseL21csrmvt_general_kernelILj256ELj64Eiid21rocsparse_complex_numIdES2_S2_EEvbbT2_NS_24const_host_device_scalarIT6_EEPKT1_S9_PKS3_PKT3_PKT4_PT5_21rocsparse_index_base_b ; -- Begin function _ZN9rocsparseL21csrmvt_general_kernelILj256ELj64Eiid21rocsparse_complex_numIdES2_S2_EEvbbT2_NS_24const_host_device_scalarIT6_EEPKT1_S9_PKS3_PKT3_PKT4_PT5_21rocsparse_index_base_b
	.p2align	8
	.type	_ZN9rocsparseL21csrmvt_general_kernelILj256ELj64Eiid21rocsparse_complex_numIdES2_S2_EEvbbT2_NS_24const_host_device_scalarIT6_EEPKT1_S9_PKS3_PKT3_PKT4_PT5_21rocsparse_index_base_b,@function
_ZN9rocsparseL21csrmvt_general_kernelILj256ELj64Eiid21rocsparse_complex_numIdES2_S2_EEvbbT2_NS_24const_host_device_scalarIT6_EEPKT1_S9_PKS3_PKT3_PKT4_PT5_21rocsparse_index_base_b: ; @_ZN9rocsparseL21csrmvt_general_kernelILj256ELj64Eiid21rocsparse_complex_numIdES2_S2_EEvbbT2_NS_24const_host_device_scalarIT6_EEPKT1_S9_PKS3_PKT3_PKT4_PT5_21rocsparse_index_base_b
; %bb.0:
	s_clause 0x1
	s_load_b64 s[16:17], s[0:1], 0x48
	s_load_b64 s[2:3], s[0:1], 0x8
	v_mov_b32_e32 v1, 0
	s_add_nc_u64 s[4:5], s[0:1], 8
	s_wait_kmcnt 0x0
	s_bitcmp1_b32 s17, 0
	s_cselect_b32 s3, s5, s3
	s_cselect_b32 s2, s4, s2
	flat_load_b128 v[2:5], v1, s[2:3]
	s_wait_loadcnt_dscnt 0x0
	v_cmp_neq_f64_e32 vcc_lo, 0, v[2:3]
	v_cmp_neq_f64_e64 s2, 0, v[4:5]
	s_or_b32 s2, vcc_lo, s2
	s_delay_alu instid0(SALU_CYCLE_1)
	s_and_saveexec_b32 s3, s2
	s_cbranch_execz .LBB340_18
; %bb.1:
	s_clause 0x3
	s_load_b64 s[2:3], s[0:1], 0x0
	s_load_b32 s17, s[0:1], 0x50
	s_load_b128 s[12:15], s[0:1], 0x38
	s_load_b256 s[4:11], s[0:1], 0x18
	s_wait_xcnt 0x0
	s_bfe_u32 s0, ttmp6, 0x4000c
	s_and_b32 s18, ttmp6, 15
	s_add_co_i32 s0, s0, 1
	s_getreg_b32 s19, hwreg(HW_REG_IB_STS2, 6, 4)
	s_mul_i32 s0, ttmp9, s0
	v_and_b32_e32 v7, 63, v0
	s_add_co_i32 s18, s18, s0
	s_wait_kmcnt 0x0
	s_and_b32 s2, s2, 1
	s_lshl_b32 s1, s17, 2
	s_cmp_eq_u32 s19, 0
	s_cselect_b32 s0, ttmp9, s18
	s_cmp_eq_u32 s2, 0
	v_lshl_or_b32 v1, s0, 8, v0
	s_mov_b32 s2, -1
	s_delay_alu instid0(VALU_DEP_1) | instskip(NEXT) | instid1(VALU_DEP_1)
	v_lshrrev_b32_e32 v6, 6, v1
	v_cmp_gt_i32_e64 s0, s3, v6
	s_cbranch_scc0 .LBB340_9
; %bb.2:
	s_and_saveexec_b32 s2, s0
	s_cbranch_execz .LBB340_8
; %bb.3:
	v_subrev_nc_u32_e32 v16, s16, v7
	v_mov_b32_e32 v0, v6
	s_mov_b32 s17, 0
	s_branch .LBB340_5
.LBB340_4:                              ;   in Loop: Header=BB340_5 Depth=1
	s_or_b32 exec_lo, exec_lo, s18
	v_add_nc_u32_e32 v0, s1, v0
	s_delay_alu instid0(VALU_DEP_1) | instskip(SKIP_1) | instid1(SALU_CYCLE_1)
	v_cmp_le_i32_e32 vcc_lo, s3, v0
	s_or_b32 s17, vcc_lo, s17
	s_and_not1_b32 exec_lo, exec_lo, s17
	s_cbranch_execz .LBB340_8
.LBB340_5:                              ; =>This Loop Header: Depth=1
                                        ;     Child Loop BB340_7 Depth 2
	s_clause 0x1
	global_load_b32 v1, v0, s[6:7] scale_offset
	global_load_b32 v8, v0, s[4:5] scale_offset
	s_mov_b32 s18, exec_lo
	s_wait_loadcnt 0x1
	v_subrev_nc_u32_e32 v17, s16, v1
	s_wait_loadcnt 0x0
	v_add_nc_u32_e32 v18, v8, v16
	s_wait_xcnt 0x0
	s_delay_alu instid0(VALU_DEP_1)
	v_cmpx_lt_i32_e64 v18, v17
	s_cbranch_execz .LBB340_4
; %bb.6:                                ;   in Loop: Header=BB340_5 Depth=1
	v_ashrrev_i32_e32 v1, 31, v0
	s_mov_b32 s19, 0
	s_delay_alu instid0(VALU_DEP_1)
	v_lshl_add_u64 v[8:9], v[0:1], 4, s[12:13]
	global_load_b128 v[12:15], v[8:9], off
	s_wait_loadcnt 0x0
	s_wait_xcnt 0x0
	v_mul_f64_e32 v[8:9], v[2:3], v[14:15]
	v_mul_f64_e64 v[10:11], v[14:15], -v[4:5]
	s_delay_alu instid0(VALU_DEP_2) | instskip(NEXT) | instid1(VALU_DEP_2)
	v_fmac_f64_e32 v[8:9], v[4:5], v[12:13]
	v_fmac_f64_e32 v[10:11], v[2:3], v[12:13]
	s_delay_alu instid0(VALU_DEP_2) | instskip(NEXT) | instid1(VALU_DEP_2)
	v_mul_f64_e32 v[12:13], 0x80000000, v[8:9]
	v_mul_f64_e32 v[14:15], 0, v[10:11]
.LBB340_7:                              ;   Parent Loop BB340_5 Depth=1
                                        ; =>  This Inner Loop Header: Depth=2
	s_clause 0x1
	global_load_b64 v[20:21], v18, s[10:11] scale_offset
	global_load_b32 v1, v18, s[8:9] scale_offset
	s_wait_xcnt 0x0
	v_add_nc_u32_e32 v18, 64, v18
	s_delay_alu instid0(VALU_DEP_1)
	v_cmp_ge_i32_e32 vcc_lo, v18, v17
	s_or_b32 s19, vcc_lo, s19
	s_wait_loadcnt 0x1
	v_fma_f64 v[22:23], v[10:11], v[20:21], v[12:13]
	v_fma_f64 v[20:21], v[8:9], v[20:21], v[14:15]
	s_wait_loadcnt 0x0
	v_subrev_nc_u32_e32 v24, s16, v1
	s_delay_alu instid0(VALU_DEP_1) | instskip(NEXT) | instid1(VALU_DEP_1)
	v_ashrrev_i32_e32 v25, 31, v24
	v_lshl_add_u64 v[24:25], v[24:25], 4, s[14:15]
	global_atomic_add_f64 v[24:25], v[22:23], off scope:SCOPE_DEV
	s_wait_xcnt 0x0
	global_atomic_add_f64 v[24:25], v[20:21], off offset:8 scope:SCOPE_DEV
	s_wait_xcnt 0x0
	s_and_not1_b32 exec_lo, exec_lo, s19
	s_cbranch_execnz .LBB340_7
	s_branch .LBB340_4
.LBB340_8:
	s_or_b32 exec_lo, exec_lo, s2
	s_mov_b32 s2, 0
.LBB340_9:
	s_delay_alu instid0(SALU_CYCLE_1)
	s_and_not1_b32 vcc_lo, exec_lo, s2
	s_cbranch_vccnz .LBB340_18
; %bb.10:
	s_and_b32 exec_lo, exec_lo, s0
	s_cbranch_execz .LBB340_18
; %bb.11:
	v_subrev_nc_u32_e32 v18, s16, v7
	s_mov_b32 s0, 0
	s_branch .LBB340_13
.LBB340_12:                             ;   in Loop: Header=BB340_13 Depth=1
	s_or_b32 exec_lo, exec_lo, s2
	v_add_nc_u32_e32 v6, s1, v6
	s_delay_alu instid0(VALU_DEP_1) | instskip(SKIP_1) | instid1(SALU_CYCLE_1)
	v_cmp_le_i32_e32 vcc_lo, s3, v6
	s_or_b32 s0, vcc_lo, s0
	s_and_not1_b32 exec_lo, exec_lo, s0
	s_cbranch_execz .LBB340_18
.LBB340_13:                             ; =>This Loop Header: Depth=1
                                        ;     Child Loop BB340_16 Depth 2
	s_clause 0x1
	global_load_b32 v0, v6, s[6:7] scale_offset
	global_load_b32 v1, v6, s[4:5] scale_offset
	s_mov_b32 s2, exec_lo
	s_wait_loadcnt 0x1
	v_subrev_nc_u32_e32 v19, s16, v0
	s_wait_loadcnt 0x0
	v_add_nc_u32_e32 v0, v1, v18
	s_wait_xcnt 0x0
	s_delay_alu instid0(VALU_DEP_1)
	v_cmpx_lt_i32_e64 v0, v19
	s_cbranch_execz .LBB340_12
; %bb.14:                               ;   in Loop: Header=BB340_13 Depth=1
	v_ashrrev_i32_e32 v7, 31, v6
	s_mov_b32 s17, 0
	s_delay_alu instid0(VALU_DEP_1) | instskip(SKIP_4) | instid1(VALU_DEP_2)
	v_lshl_add_u64 v[8:9], v[6:7], 4, s[12:13]
	global_load_b128 v[12:15], v[8:9], off
	s_wait_loadcnt 0x0
	v_mul_f64_e32 v[8:9], v[2:3], v[14:15]
	v_mul_f64_e64 v[10:11], v[14:15], -v[4:5]
	v_fmac_f64_e32 v[8:9], v[4:5], v[12:13]
	s_delay_alu instid0(VALU_DEP_2) | instskip(NEXT) | instid1(VALU_DEP_2)
	v_fmac_f64_e32 v[10:11], v[2:3], v[12:13]
	v_mul_f64_e32 v[12:13], 0x80000000, v[8:9]
	s_delay_alu instid0(VALU_DEP_2)
	v_mul_f64_e32 v[14:15], 0, v[10:11]
	s_branch .LBB340_16
.LBB340_15:                             ;   in Loop: Header=BB340_16 Depth=2
	s_wait_xcnt 0x0
	s_or_b32 exec_lo, exec_lo, s18
	v_add_nc_u32_e32 v0, 64, v0
	s_delay_alu instid0(VALU_DEP_1) | instskip(SKIP_1) | instid1(SALU_CYCLE_1)
	v_cmp_ge_i32_e32 vcc_lo, v0, v19
	s_or_b32 s17, vcc_lo, s17
	s_and_not1_b32 exec_lo, exec_lo, s17
	s_cbranch_execz .LBB340_12
.LBB340_16:                             ;   Parent Loop BB340_13 Depth=1
                                        ; =>  This Inner Loop Header: Depth=2
	global_load_b32 v1, v0, s[8:9] scale_offset
	s_mov_b32 s18, exec_lo
	s_wait_loadcnt 0x0
	v_subrev_nc_u32_e32 v16, s16, v1
	v_ashrrev_i32_e32 v1, 31, v0
	s_wait_xcnt 0x0
	s_delay_alu instid0(VALU_DEP_2)
	v_cmpx_ne_u32_e64 v16, v6
	s_cbranch_execz .LBB340_15
; %bb.17:                               ;   in Loop: Header=BB340_16 Depth=2
	s_delay_alu instid0(VALU_DEP_2)
	v_lshl_add_u64 v[20:21], v[0:1], 3, s[10:11]
	v_ashrrev_i32_e32 v17, 31, v16
	global_load_b64 v[20:21], v[20:21], off
	v_lshl_add_u64 v[16:17], v[16:17], 4, s[14:15]
	s_wait_loadcnt 0x0
	v_fma_f64 v[22:23], v[10:11], v[20:21], v[12:13]
	s_wait_xcnt 0x0
	v_fma_f64 v[20:21], v[8:9], v[20:21], v[14:15]
	global_atomic_add_f64 v[16:17], v[22:23], off scope:SCOPE_DEV
	s_wait_xcnt 0x0
	global_atomic_add_f64 v[16:17], v[20:21], off offset:8 scope:SCOPE_DEV
	s_branch .LBB340_15
.LBB340_18:
	s_endpgm
	.section	.rodata,"a",@progbits
	.p2align	6, 0x0
	.amdhsa_kernel _ZN9rocsparseL21csrmvt_general_kernelILj256ELj64Eiid21rocsparse_complex_numIdES2_S2_EEvbbT2_NS_24const_host_device_scalarIT6_EEPKT1_S9_PKS3_PKT3_PKT4_PT5_21rocsparse_index_base_b
		.amdhsa_group_segment_fixed_size 0
		.amdhsa_private_segment_fixed_size 0
		.amdhsa_kernarg_size 336
		.amdhsa_user_sgpr_count 2
		.amdhsa_user_sgpr_dispatch_ptr 0
		.amdhsa_user_sgpr_queue_ptr 0
		.amdhsa_user_sgpr_kernarg_segment_ptr 1
		.amdhsa_user_sgpr_dispatch_id 0
		.amdhsa_user_sgpr_kernarg_preload_length 0
		.amdhsa_user_sgpr_kernarg_preload_offset 0
		.amdhsa_user_sgpr_private_segment_size 0
		.amdhsa_wavefront_size32 1
		.amdhsa_uses_dynamic_stack 0
		.amdhsa_enable_private_segment 0
		.amdhsa_system_sgpr_workgroup_id_x 1
		.amdhsa_system_sgpr_workgroup_id_y 0
		.amdhsa_system_sgpr_workgroup_id_z 0
		.amdhsa_system_sgpr_workgroup_info 0
		.amdhsa_system_vgpr_workitem_id 0
		.amdhsa_next_free_vgpr 26
		.amdhsa_next_free_sgpr 20
		.amdhsa_named_barrier_count 0
		.amdhsa_reserve_vcc 1
		.amdhsa_float_round_mode_32 0
		.amdhsa_float_round_mode_16_64 0
		.amdhsa_float_denorm_mode_32 3
		.amdhsa_float_denorm_mode_16_64 3
		.amdhsa_fp16_overflow 0
		.amdhsa_memory_ordered 1
		.amdhsa_forward_progress 1
		.amdhsa_inst_pref_size 8
		.amdhsa_round_robin_scheduling 0
		.amdhsa_exception_fp_ieee_invalid_op 0
		.amdhsa_exception_fp_denorm_src 0
		.amdhsa_exception_fp_ieee_div_zero 0
		.amdhsa_exception_fp_ieee_overflow 0
		.amdhsa_exception_fp_ieee_underflow 0
		.amdhsa_exception_fp_ieee_inexact 0
		.amdhsa_exception_int_div_zero 0
	.end_amdhsa_kernel
	.section	.text._ZN9rocsparseL21csrmvt_general_kernelILj256ELj64Eiid21rocsparse_complex_numIdES2_S2_EEvbbT2_NS_24const_host_device_scalarIT6_EEPKT1_S9_PKS3_PKT3_PKT4_PT5_21rocsparse_index_base_b,"axG",@progbits,_ZN9rocsparseL21csrmvt_general_kernelILj256ELj64Eiid21rocsparse_complex_numIdES2_S2_EEvbbT2_NS_24const_host_device_scalarIT6_EEPKT1_S9_PKS3_PKT3_PKT4_PT5_21rocsparse_index_base_b,comdat
.Lfunc_end340:
	.size	_ZN9rocsparseL21csrmvt_general_kernelILj256ELj64Eiid21rocsparse_complex_numIdES2_S2_EEvbbT2_NS_24const_host_device_scalarIT6_EEPKT1_S9_PKS3_PKT3_PKT4_PT5_21rocsparse_index_base_b, .Lfunc_end340-_ZN9rocsparseL21csrmvt_general_kernelILj256ELj64Eiid21rocsparse_complex_numIdES2_S2_EEvbbT2_NS_24const_host_device_scalarIT6_EEPKT1_S9_PKS3_PKT3_PKT4_PT5_21rocsparse_index_base_b
                                        ; -- End function
	.set _ZN9rocsparseL21csrmvt_general_kernelILj256ELj64Eiid21rocsparse_complex_numIdES2_S2_EEvbbT2_NS_24const_host_device_scalarIT6_EEPKT1_S9_PKS3_PKT3_PKT4_PT5_21rocsparse_index_base_b.num_vgpr, 26
	.set _ZN9rocsparseL21csrmvt_general_kernelILj256ELj64Eiid21rocsparse_complex_numIdES2_S2_EEvbbT2_NS_24const_host_device_scalarIT6_EEPKT1_S9_PKS3_PKT3_PKT4_PT5_21rocsparse_index_base_b.num_agpr, 0
	.set _ZN9rocsparseL21csrmvt_general_kernelILj256ELj64Eiid21rocsparse_complex_numIdES2_S2_EEvbbT2_NS_24const_host_device_scalarIT6_EEPKT1_S9_PKS3_PKT3_PKT4_PT5_21rocsparse_index_base_b.numbered_sgpr, 20
	.set _ZN9rocsparseL21csrmvt_general_kernelILj256ELj64Eiid21rocsparse_complex_numIdES2_S2_EEvbbT2_NS_24const_host_device_scalarIT6_EEPKT1_S9_PKS3_PKT3_PKT4_PT5_21rocsparse_index_base_b.num_named_barrier, 0
	.set _ZN9rocsparseL21csrmvt_general_kernelILj256ELj64Eiid21rocsparse_complex_numIdES2_S2_EEvbbT2_NS_24const_host_device_scalarIT6_EEPKT1_S9_PKS3_PKT3_PKT4_PT5_21rocsparse_index_base_b.private_seg_size, 0
	.set _ZN9rocsparseL21csrmvt_general_kernelILj256ELj64Eiid21rocsparse_complex_numIdES2_S2_EEvbbT2_NS_24const_host_device_scalarIT6_EEPKT1_S9_PKS3_PKT3_PKT4_PT5_21rocsparse_index_base_b.uses_vcc, 1
	.set _ZN9rocsparseL21csrmvt_general_kernelILj256ELj64Eiid21rocsparse_complex_numIdES2_S2_EEvbbT2_NS_24const_host_device_scalarIT6_EEPKT1_S9_PKS3_PKT3_PKT4_PT5_21rocsparse_index_base_b.uses_flat_scratch, 0
	.set _ZN9rocsparseL21csrmvt_general_kernelILj256ELj64Eiid21rocsparse_complex_numIdES2_S2_EEvbbT2_NS_24const_host_device_scalarIT6_EEPKT1_S9_PKS3_PKT3_PKT4_PT5_21rocsparse_index_base_b.has_dyn_sized_stack, 0
	.set _ZN9rocsparseL21csrmvt_general_kernelILj256ELj64Eiid21rocsparse_complex_numIdES2_S2_EEvbbT2_NS_24const_host_device_scalarIT6_EEPKT1_S9_PKS3_PKT3_PKT4_PT5_21rocsparse_index_base_b.has_recursion, 0
	.set _ZN9rocsparseL21csrmvt_general_kernelILj256ELj64Eiid21rocsparse_complex_numIdES2_S2_EEvbbT2_NS_24const_host_device_scalarIT6_EEPKT1_S9_PKS3_PKT3_PKT4_PT5_21rocsparse_index_base_b.has_indirect_call, 0
	.section	.AMDGPU.csdata,"",@progbits
; Kernel info:
; codeLenInByte = 944
; TotalNumSgprs: 22
; NumVgprs: 26
; ScratchSize: 0
; MemoryBound: 0
; FloatMode: 240
; IeeeMode: 1
; LDSByteSize: 0 bytes/workgroup (compile time only)
; SGPRBlocks: 0
; VGPRBlocks: 1
; NumSGPRsForWavesPerEU: 22
; NumVGPRsForWavesPerEU: 26
; NamedBarCnt: 0
; Occupancy: 16
; WaveLimiterHint : 1
; COMPUTE_PGM_RSRC2:SCRATCH_EN: 0
; COMPUTE_PGM_RSRC2:USER_SGPR: 2
; COMPUTE_PGM_RSRC2:TRAP_HANDLER: 0
; COMPUTE_PGM_RSRC2:TGID_X_EN: 1
; COMPUTE_PGM_RSRC2:TGID_Y_EN: 0
; COMPUTE_PGM_RSRC2:TGID_Z_EN: 0
; COMPUTE_PGM_RSRC2:TIDIG_COMP_CNT: 0
	.section	.text._ZN9rocsparseL21csrmvn_general_kernelILj256ELj2Elid21rocsparse_complex_numIdES2_S2_EEvbT2_NS_24const_host_device_scalarIT6_EEPKT1_S9_PKS3_PKT3_PKT4_S6_PT5_21rocsparse_index_base_b,"axG",@progbits,_ZN9rocsparseL21csrmvn_general_kernelILj256ELj2Elid21rocsparse_complex_numIdES2_S2_EEvbT2_NS_24const_host_device_scalarIT6_EEPKT1_S9_PKS3_PKT3_PKT4_S6_PT5_21rocsparse_index_base_b,comdat
	.globl	_ZN9rocsparseL21csrmvn_general_kernelILj256ELj2Elid21rocsparse_complex_numIdES2_S2_EEvbT2_NS_24const_host_device_scalarIT6_EEPKT1_S9_PKS3_PKT3_PKT4_S6_PT5_21rocsparse_index_base_b ; -- Begin function _ZN9rocsparseL21csrmvn_general_kernelILj256ELj2Elid21rocsparse_complex_numIdES2_S2_EEvbT2_NS_24const_host_device_scalarIT6_EEPKT1_S9_PKS3_PKT3_PKT4_S6_PT5_21rocsparse_index_base_b
	.p2align	8
	.type	_ZN9rocsparseL21csrmvn_general_kernelILj256ELj2Elid21rocsparse_complex_numIdES2_S2_EEvbT2_NS_24const_host_device_scalarIT6_EEPKT1_S9_PKS3_PKT3_PKT4_S6_PT5_21rocsparse_index_base_b,@function
_ZN9rocsparseL21csrmvn_general_kernelILj256ELj2Elid21rocsparse_complex_numIdES2_S2_EEvbT2_NS_24const_host_device_scalarIT6_EEPKT1_S9_PKS3_PKT3_PKT4_S6_PT5_21rocsparse_index_base_b: ; @_ZN9rocsparseL21csrmvn_general_kernelILj256ELj2Elid21rocsparse_complex_numIdES2_S2_EEvbT2_NS_24const_host_device_scalarIT6_EEPKT1_S9_PKS3_PKT3_PKT4_S6_PT5_21rocsparse_index_base_b
; %bb.0:
	s_clause 0x1
	s_load_b64 s[12:13], s[0:1], 0x58
	s_load_b64 s[2:3], s[0:1], 0x8
	v_mov_b32_e32 v1, 0
	s_add_nc_u64 s[4:5], s[0:1], 8
	s_load_b64 s[6:7], s[0:1], 0x40
	s_wait_kmcnt 0x0
	s_bitcmp1_b32 s13, 0
	s_cselect_b32 s3, s5, s3
	s_cselect_b32 s2, s4, s2
	flat_load_b128 v[2:5], v1, s[2:3]
	s_wait_xcnt 0x0
	s_add_nc_u64 s[2:3], s[0:1], 64
	s_delay_alu instid0(SALU_CYCLE_1)
	s_cselect_b32 s3, s3, s7
	s_cselect_b32 s2, s2, s6
	flat_load_b128 v[6:9], v1, s[2:3]
	s_wait_loadcnt_dscnt 0x101
	v_cmp_eq_f64_e32 vcc_lo, 0, v[2:3]
	s_wait_xcnt 0x0
	v_cmp_eq_f64_e64 s2, 0, v[4:5]
	s_and_b32 s4, vcc_lo, s2
	s_mov_b32 s2, -1
	s_and_saveexec_b32 s3, s4
	s_cbranch_execz .LBB341_2
; %bb.1:
	s_wait_loadcnt_dscnt 0x0
	v_cmp_neq_f64_e32 vcc_lo, 1.0, v[6:7]
	v_cmp_neq_f64_e64 s2, 0, v[8:9]
	s_or_b32 s2, vcc_lo, s2
	s_delay_alu instid0(SALU_CYCLE_1)
	s_or_not1_b32 s2, s2, exec_lo
.LBB341_2:
	s_or_b32 exec_lo, exec_lo, s3
	s_and_saveexec_b32 s3, s2
	s_cbranch_execz .LBB341_14
; %bb.3:
	s_bfe_u32 s2, ttmp6, 0x4000c
	s_load_b32 s18, s[0:1], 0x4
	s_add_co_i32 s2, s2, 1
	s_and_b32 s3, ttmp6, 15
	s_mul_i32 s2, ttmp9, s2
	s_getreg_b32 s4, hwreg(HW_REG_IB_STS2, 6, 4)
	s_add_co_i32 s3, s3, s2
	s_cmp_eq_u32 s4, 0
	s_mov_b32 s13, 0
	s_cselect_b32 s2, ttmp9, s3
	s_delay_alu instid0(SALU_CYCLE_1) | instskip(NEXT) | instid1(VALU_DEP_1)
	v_lshl_or_b32 v1, s2, 8, v0
	v_lshrrev_b32_e32 v14, 1, v1
	s_wait_kmcnt 0x0
	s_delay_alu instid0(VALU_DEP_1)
	v_cmp_gt_i32_e32 vcc_lo, s18, v14
	s_and_b32 exec_lo, exec_lo, vcc_lo
	s_cbranch_execz .LBB341_14
; %bb.4:
	s_wait_loadcnt_dscnt 0x0
	v_cmp_neq_f64_e64 s2, 0, v[6:7]
	v_cmp_neq_f64_e64 s3, 0, v[8:9]
	v_mul_f64_e32 v[16:17], 0x80000000, v[4:5]
	v_mbcnt_lo_u32_b32 v1, -1, 0
	v_mul_f64_e32 v[18:19], 0, v[2:3]
	s_clause 0x3
	s_load_b32 s19, s[0:1], 0x60
	s_load_b64 s[16:17], s[0:1], 0x38
	s_load_b64 s[14:15], s[0:1], 0x50
	s_load_b256 s[4:11], s[0:1], 0x18
	v_dual_mov_b32 v11, 0 :: v_dual_bitop2_b32 v10, 1, v0 bitop3:0x40
	v_xor_b32_e32 v12, 1, v1
	s_wait_xcnt 0x0
	s_ashr_i32 s1, s12, 31
	s_mov_b32 s0, s12
	s_delay_alu instid0(SALU_CYCLE_1) | instskip(SKIP_4) | instid1(VALU_DEP_3)
	s_lshl_b64 s[20:21], s[0:1], 4
	v_cmp_gt_i32_e32 vcc_lo, 32, v12
	v_cndmask_b32_e32 v12, v1, v12, vcc_lo
	v_sub_nc_u64_e64 v[0:1], v[10:11], s[12:13]
	v_cmp_eq_u32_e32 vcc_lo, 1, v10
	v_lshlrev_b32_e32 v28, 2, v12
	s_wait_kmcnt 0x0
	s_lshl_b32 s1, s19, 7
	s_sub_nc_u64 s[16:17], s[16:17], s[20:21]
	s_or_b32 s2, s2, s3
	s_mov_b32 s3, s13
	s_branch .LBB341_7
.LBB341_5:                              ;   in Loop: Header=BB341_7 Depth=1
	s_wait_xcnt 0x0
	s_or_b32 exec_lo, exec_lo, s19
	global_store_b128 v[20:21], v[10:13], off
.LBB341_6:                              ;   in Loop: Header=BB341_7 Depth=1
	s_wait_xcnt 0x0
	s_or_b32 exec_lo, exec_lo, s0
	v_add_nc_u32_e32 v14, s1, v14
	s_delay_alu instid0(VALU_DEP_1) | instskip(SKIP_1) | instid1(SALU_CYCLE_1)
	v_cmp_le_i32_e64 s0, s18, v14
	s_or_b32 s3, s0, s3
	s_and_not1_b32 exec_lo, exec_lo, s3
	s_cbranch_execz .LBB341_14
.LBB341_7:                              ; =>This Loop Header: Depth=1
                                        ;     Child Loop BB341_9 Depth 2
	s_clause 0x1
	global_load_b64 v[10:11], v14, s[6:7] scale_offset
	global_load_b64 v[12:13], v14, s[4:5] scale_offset
	s_mov_b32 s19, exec_lo
	s_wait_loadcnt_dscnt 0x100
	v_sub_nc_u64_e64 v[20:21], v[10:11], s[12:13]
	s_wait_loadcnt 0x0
	v_add_nc_u64_e32 v[22:23], v[12:13], v[0:1]
	v_mov_b64_e32 v[12:13], 0
	v_mov_b64_e32 v[10:11], 0
	s_wait_xcnt 0x0
	s_delay_alu instid0(VALU_DEP_3)
	v_cmpx_lt_i64_e64 v[22:23], v[20:21]
	s_cbranch_execz .LBB341_11
; %bb.8:                                ;   in Loop: Header=BB341_7 Depth=1
	v_mov_b64_e32 v[12:13], 0
	v_mov_b64_e32 v[10:11], 0
	v_lshl_add_u64 v[24:25], v[22:23], 3, s[10:11]
	v_lshl_add_u64 v[26:27], v[22:23], 2, s[8:9]
	s_mov_b32 s20, 0
.LBB341_9:                              ;   Parent Loop BB341_7 Depth=1
                                        ; =>  This Inner Loop Header: Depth=2
	global_load_b32 v15, v[26:27], off
	global_load_b64 v[34:35], v[24:25], off
	v_add_nc_u64_e32 v[22:23], 2, v[22:23]
	s_wait_xcnt 0x0
	v_add_nc_u64_e32 v[24:25], 16, v[24:25]
	v_add_nc_u64_e32 v[26:27], 8, v[26:27]
	s_delay_alu instid0(VALU_DEP_3)
	v_cmp_ge_i64_e64 s0, v[22:23], v[20:21]
	s_or_b32 s20, s0, s20
	s_wait_loadcnt 0x1
	global_load_b128 v[30:33], v15, s[16:17] scale_offset
	s_wait_loadcnt 0x1
	v_fma_f64 v[36:37], v[2:3], v[34:35], v[16:17]
	v_fma_f64 v[34:35], v[4:5], v[34:35], v[18:19]
	s_wait_loadcnt 0x0
	s_delay_alu instid0(VALU_DEP_2) | instskip(NEXT) | instid1(VALU_DEP_2)
	v_fmac_f64_e32 v[10:11], v[36:37], v[30:31]
	v_fmac_f64_e32 v[12:13], v[34:35], v[30:31]
	s_delay_alu instid0(VALU_DEP_2) | instskip(NEXT) | instid1(VALU_DEP_2)
	v_fma_f64 v[10:11], -v[34:35], v[32:33], v[10:11]
	v_fmac_f64_e32 v[12:13], v[36:37], v[32:33]
	s_wait_xcnt 0x0
	s_and_not1_b32 exec_lo, exec_lo, s20
	s_cbranch_execnz .LBB341_9
; %bb.10:                               ;   in Loop: Header=BB341_7 Depth=1
	s_or_b32 exec_lo, exec_lo, s20
.LBB341_11:                             ;   in Loop: Header=BB341_7 Depth=1
	s_delay_alu instid0(SALU_CYCLE_1)
	s_or_b32 exec_lo, exec_lo, s19
	ds_bpermute_b32 v22, v28, v10
	ds_bpermute_b32 v23, v28, v11
	;; [unrolled: 1-line block ×4, first 2 shown]
	v_ashrrev_i32_e32 v15, 31, v14
	s_and_saveexec_b32 s0, vcc_lo
	s_cbranch_execz .LBB341_6
; %bb.12:                               ;   in Loop: Header=BB341_7 Depth=1
	s_wait_dscnt 0x2
	v_add_f64_e32 v[10:11], v[10:11], v[22:23]
	s_wait_dscnt 0x0
	v_add_f64_e32 v[12:13], v[12:13], v[20:21]
	v_lshl_add_u64 v[20:21], v[14:15], 4, s[14:15]
	s_and_saveexec_b32 s19, s2
	s_cbranch_execz .LBB341_5
; %bb.13:                               ;   in Loop: Header=BB341_7 Depth=1
	global_load_b128 v[22:25], v[20:21], off
	s_wait_loadcnt 0x0
	v_fmac_f64_e32 v[10:11], v[6:7], v[22:23]
	v_fmac_f64_e32 v[12:13], v[8:9], v[22:23]
	s_delay_alu instid0(VALU_DEP_2) | instskip(NEXT) | instid1(VALU_DEP_2)
	v_fma_f64 v[10:11], -v[8:9], v[24:25], v[10:11]
	v_fmac_f64_e32 v[12:13], v[6:7], v[24:25]
	s_branch .LBB341_5
.LBB341_14:
	s_endpgm
	.section	.rodata,"a",@progbits
	.p2align	6, 0x0
	.amdhsa_kernel _ZN9rocsparseL21csrmvn_general_kernelILj256ELj2Elid21rocsparse_complex_numIdES2_S2_EEvbT2_NS_24const_host_device_scalarIT6_EEPKT1_S9_PKS3_PKT3_PKT4_S6_PT5_21rocsparse_index_base_b
		.amdhsa_group_segment_fixed_size 0
		.amdhsa_private_segment_fixed_size 0
		.amdhsa_kernarg_size 352
		.amdhsa_user_sgpr_count 2
		.amdhsa_user_sgpr_dispatch_ptr 0
		.amdhsa_user_sgpr_queue_ptr 0
		.amdhsa_user_sgpr_kernarg_segment_ptr 1
		.amdhsa_user_sgpr_dispatch_id 0
		.amdhsa_user_sgpr_kernarg_preload_length 0
		.amdhsa_user_sgpr_kernarg_preload_offset 0
		.amdhsa_user_sgpr_private_segment_size 0
		.amdhsa_wavefront_size32 1
		.amdhsa_uses_dynamic_stack 0
		.amdhsa_enable_private_segment 0
		.amdhsa_system_sgpr_workgroup_id_x 1
		.amdhsa_system_sgpr_workgroup_id_y 0
		.amdhsa_system_sgpr_workgroup_id_z 0
		.amdhsa_system_sgpr_workgroup_info 0
		.amdhsa_system_vgpr_workitem_id 0
		.amdhsa_next_free_vgpr 38
		.amdhsa_next_free_sgpr 22
		.amdhsa_named_barrier_count 0
		.amdhsa_reserve_vcc 1
		.amdhsa_float_round_mode_32 0
		.amdhsa_float_round_mode_16_64 0
		.amdhsa_float_denorm_mode_32 3
		.amdhsa_float_denorm_mode_16_64 3
		.amdhsa_fp16_overflow 0
		.amdhsa_memory_ordered 1
		.amdhsa_forward_progress 1
		.amdhsa_inst_pref_size 7
		.amdhsa_round_robin_scheduling 0
		.amdhsa_exception_fp_ieee_invalid_op 0
		.amdhsa_exception_fp_denorm_src 0
		.amdhsa_exception_fp_ieee_div_zero 0
		.amdhsa_exception_fp_ieee_overflow 0
		.amdhsa_exception_fp_ieee_underflow 0
		.amdhsa_exception_fp_ieee_inexact 0
		.amdhsa_exception_int_div_zero 0
	.end_amdhsa_kernel
	.section	.text._ZN9rocsparseL21csrmvn_general_kernelILj256ELj2Elid21rocsparse_complex_numIdES2_S2_EEvbT2_NS_24const_host_device_scalarIT6_EEPKT1_S9_PKS3_PKT3_PKT4_S6_PT5_21rocsparse_index_base_b,"axG",@progbits,_ZN9rocsparseL21csrmvn_general_kernelILj256ELj2Elid21rocsparse_complex_numIdES2_S2_EEvbT2_NS_24const_host_device_scalarIT6_EEPKT1_S9_PKS3_PKT3_PKT4_S6_PT5_21rocsparse_index_base_b,comdat
.Lfunc_end341:
	.size	_ZN9rocsparseL21csrmvn_general_kernelILj256ELj2Elid21rocsparse_complex_numIdES2_S2_EEvbT2_NS_24const_host_device_scalarIT6_EEPKT1_S9_PKS3_PKT3_PKT4_S6_PT5_21rocsparse_index_base_b, .Lfunc_end341-_ZN9rocsparseL21csrmvn_general_kernelILj256ELj2Elid21rocsparse_complex_numIdES2_S2_EEvbT2_NS_24const_host_device_scalarIT6_EEPKT1_S9_PKS3_PKT3_PKT4_S6_PT5_21rocsparse_index_base_b
                                        ; -- End function
	.set _ZN9rocsparseL21csrmvn_general_kernelILj256ELj2Elid21rocsparse_complex_numIdES2_S2_EEvbT2_NS_24const_host_device_scalarIT6_EEPKT1_S9_PKS3_PKT3_PKT4_S6_PT5_21rocsparse_index_base_b.num_vgpr, 38
	.set _ZN9rocsparseL21csrmvn_general_kernelILj256ELj2Elid21rocsparse_complex_numIdES2_S2_EEvbT2_NS_24const_host_device_scalarIT6_EEPKT1_S9_PKS3_PKT3_PKT4_S6_PT5_21rocsparse_index_base_b.num_agpr, 0
	.set _ZN9rocsparseL21csrmvn_general_kernelILj256ELj2Elid21rocsparse_complex_numIdES2_S2_EEvbT2_NS_24const_host_device_scalarIT6_EEPKT1_S9_PKS3_PKT3_PKT4_S6_PT5_21rocsparse_index_base_b.numbered_sgpr, 22
	.set _ZN9rocsparseL21csrmvn_general_kernelILj256ELj2Elid21rocsparse_complex_numIdES2_S2_EEvbT2_NS_24const_host_device_scalarIT6_EEPKT1_S9_PKS3_PKT3_PKT4_S6_PT5_21rocsparse_index_base_b.num_named_barrier, 0
	.set _ZN9rocsparseL21csrmvn_general_kernelILj256ELj2Elid21rocsparse_complex_numIdES2_S2_EEvbT2_NS_24const_host_device_scalarIT6_EEPKT1_S9_PKS3_PKT3_PKT4_S6_PT5_21rocsparse_index_base_b.private_seg_size, 0
	.set _ZN9rocsparseL21csrmvn_general_kernelILj256ELj2Elid21rocsparse_complex_numIdES2_S2_EEvbT2_NS_24const_host_device_scalarIT6_EEPKT1_S9_PKS3_PKT3_PKT4_S6_PT5_21rocsparse_index_base_b.uses_vcc, 1
	.set _ZN9rocsparseL21csrmvn_general_kernelILj256ELj2Elid21rocsparse_complex_numIdES2_S2_EEvbT2_NS_24const_host_device_scalarIT6_EEPKT1_S9_PKS3_PKT3_PKT4_S6_PT5_21rocsparse_index_base_b.uses_flat_scratch, 0
	.set _ZN9rocsparseL21csrmvn_general_kernelILj256ELj2Elid21rocsparse_complex_numIdES2_S2_EEvbT2_NS_24const_host_device_scalarIT6_EEPKT1_S9_PKS3_PKT3_PKT4_S6_PT5_21rocsparse_index_base_b.has_dyn_sized_stack, 0
	.set _ZN9rocsparseL21csrmvn_general_kernelILj256ELj2Elid21rocsparse_complex_numIdES2_S2_EEvbT2_NS_24const_host_device_scalarIT6_EEPKT1_S9_PKS3_PKT3_PKT4_S6_PT5_21rocsparse_index_base_b.has_recursion, 0
	.set _ZN9rocsparseL21csrmvn_general_kernelILj256ELj2Elid21rocsparse_complex_numIdES2_S2_EEvbT2_NS_24const_host_device_scalarIT6_EEPKT1_S9_PKS3_PKT3_PKT4_S6_PT5_21rocsparse_index_base_b.has_indirect_call, 0
	.section	.AMDGPU.csdata,"",@progbits
; Kernel info:
; codeLenInByte = 852
; TotalNumSgprs: 24
; NumVgprs: 38
; ScratchSize: 0
; MemoryBound: 0
; FloatMode: 240
; IeeeMode: 1
; LDSByteSize: 0 bytes/workgroup (compile time only)
; SGPRBlocks: 0
; VGPRBlocks: 2
; NumSGPRsForWavesPerEU: 24
; NumVGPRsForWavesPerEU: 38
; NamedBarCnt: 0
; Occupancy: 16
; WaveLimiterHint : 1
; COMPUTE_PGM_RSRC2:SCRATCH_EN: 0
; COMPUTE_PGM_RSRC2:USER_SGPR: 2
; COMPUTE_PGM_RSRC2:TRAP_HANDLER: 0
; COMPUTE_PGM_RSRC2:TGID_X_EN: 1
; COMPUTE_PGM_RSRC2:TGID_Y_EN: 0
; COMPUTE_PGM_RSRC2:TGID_Z_EN: 0
; COMPUTE_PGM_RSRC2:TIDIG_COMP_CNT: 0
	.section	.text._ZN9rocsparseL21csrmvn_general_kernelILj256ELj4Elid21rocsparse_complex_numIdES2_S2_EEvbT2_NS_24const_host_device_scalarIT6_EEPKT1_S9_PKS3_PKT3_PKT4_S6_PT5_21rocsparse_index_base_b,"axG",@progbits,_ZN9rocsparseL21csrmvn_general_kernelILj256ELj4Elid21rocsparse_complex_numIdES2_S2_EEvbT2_NS_24const_host_device_scalarIT6_EEPKT1_S9_PKS3_PKT3_PKT4_S6_PT5_21rocsparse_index_base_b,comdat
	.globl	_ZN9rocsparseL21csrmvn_general_kernelILj256ELj4Elid21rocsparse_complex_numIdES2_S2_EEvbT2_NS_24const_host_device_scalarIT6_EEPKT1_S9_PKS3_PKT3_PKT4_S6_PT5_21rocsparse_index_base_b ; -- Begin function _ZN9rocsparseL21csrmvn_general_kernelILj256ELj4Elid21rocsparse_complex_numIdES2_S2_EEvbT2_NS_24const_host_device_scalarIT6_EEPKT1_S9_PKS3_PKT3_PKT4_S6_PT5_21rocsparse_index_base_b
	.p2align	8
	.type	_ZN9rocsparseL21csrmvn_general_kernelILj256ELj4Elid21rocsparse_complex_numIdES2_S2_EEvbT2_NS_24const_host_device_scalarIT6_EEPKT1_S9_PKS3_PKT3_PKT4_S6_PT5_21rocsparse_index_base_b,@function
_ZN9rocsparseL21csrmvn_general_kernelILj256ELj4Elid21rocsparse_complex_numIdES2_S2_EEvbT2_NS_24const_host_device_scalarIT6_EEPKT1_S9_PKS3_PKT3_PKT4_S6_PT5_21rocsparse_index_base_b: ; @_ZN9rocsparseL21csrmvn_general_kernelILj256ELj4Elid21rocsparse_complex_numIdES2_S2_EEvbT2_NS_24const_host_device_scalarIT6_EEPKT1_S9_PKS3_PKT3_PKT4_S6_PT5_21rocsparse_index_base_b
; %bb.0:
	s_clause 0x1
	s_load_b64 s[12:13], s[0:1], 0x58
	s_load_b64 s[2:3], s[0:1], 0x8
	v_mov_b32_e32 v1, 0
	s_add_nc_u64 s[4:5], s[0:1], 8
	s_load_b64 s[6:7], s[0:1], 0x40
	s_wait_kmcnt 0x0
	s_bitcmp1_b32 s13, 0
	s_cselect_b32 s3, s5, s3
	s_cselect_b32 s2, s4, s2
	flat_load_b128 v[2:5], v1, s[2:3]
	s_wait_xcnt 0x0
	s_add_nc_u64 s[2:3], s[0:1], 64
	s_delay_alu instid0(SALU_CYCLE_1)
	s_cselect_b32 s3, s3, s7
	s_cselect_b32 s2, s2, s6
	flat_load_b128 v[6:9], v1, s[2:3]
	s_wait_loadcnt_dscnt 0x101
	v_cmp_eq_f64_e32 vcc_lo, 0, v[2:3]
	s_wait_xcnt 0x0
	v_cmp_eq_f64_e64 s2, 0, v[4:5]
	s_and_b32 s4, vcc_lo, s2
	s_mov_b32 s2, -1
	s_and_saveexec_b32 s3, s4
	s_cbranch_execz .LBB342_2
; %bb.1:
	s_wait_loadcnt_dscnt 0x0
	v_cmp_neq_f64_e32 vcc_lo, 1.0, v[6:7]
	v_cmp_neq_f64_e64 s2, 0, v[8:9]
	s_or_b32 s2, vcc_lo, s2
	s_delay_alu instid0(SALU_CYCLE_1)
	s_or_not1_b32 s2, s2, exec_lo
.LBB342_2:
	s_or_b32 exec_lo, exec_lo, s3
	s_and_saveexec_b32 s3, s2
	s_cbranch_execz .LBB342_14
; %bb.3:
	s_bfe_u32 s2, ttmp6, 0x4000c
	s_load_b32 s18, s[0:1], 0x4
	s_add_co_i32 s2, s2, 1
	s_and_b32 s3, ttmp6, 15
	s_mul_i32 s2, ttmp9, s2
	s_getreg_b32 s4, hwreg(HW_REG_IB_STS2, 6, 4)
	s_add_co_i32 s3, s3, s2
	s_cmp_eq_u32 s4, 0
	s_mov_b32 s13, 0
	s_cselect_b32 s2, ttmp9, s3
	s_delay_alu instid0(SALU_CYCLE_1) | instskip(NEXT) | instid1(VALU_DEP_1)
	v_lshl_or_b32 v1, s2, 8, v0
	v_lshrrev_b32_e32 v14, 2, v1
	s_wait_kmcnt 0x0
	s_delay_alu instid0(VALU_DEP_1)
	v_cmp_gt_i32_e32 vcc_lo, s18, v14
	s_and_b32 exec_lo, exec_lo, vcc_lo
	s_cbranch_execz .LBB342_14
; %bb.4:
	s_wait_loadcnt_dscnt 0x0
	v_cmp_neq_f64_e64 s2, 0, v[6:7]
	v_cmp_neq_f64_e64 s3, 0, v[8:9]
	v_mul_f64_e32 v[16:17], 0x80000000, v[4:5]
	v_dual_mul_f64 v[18:19], 0, v[2:3] :: v_dual_bitop2_b32 v10, 3, v0 bitop3:0x40
	v_mbcnt_lo_u32_b32 v1, -1, 0
	s_clause 0x3
	s_load_b32 s19, s[0:1], 0x60
	s_load_b64 s[16:17], s[0:1], 0x38
	s_load_b64 s[14:15], s[0:1], 0x50
	s_load_b256 s[4:11], s[0:1], 0x18
	v_mov_b32_e32 v11, 0
	s_wait_xcnt 0x0
	s_ashr_i32 s1, s12, 31
	s_mov_b32 s0, s12
	v_xor_b32_e32 v0, 2, v1
	s_lshl_b64 s[20:21], s[0:1], 4
	s_delay_alu instid0(VALU_DEP_1) | instskip(SKIP_1) | instid1(VALU_DEP_1)
	v_cmp_gt_i32_e32 vcc_lo, 32, v0
	v_dual_cndmask_b32 v13, v1, v0, vcc_lo :: v_dual_bitop2_b32 v12, 1, v1 bitop3:0x14
	v_cmp_gt_i32_e32 vcc_lo, 32, v12
	s_wait_kmcnt 0x0
	s_lshl_b32 s1, s19, 6
	s_sub_nc_u64 s[16:17], s[16:17], s[20:21]
	v_dual_lshlrev_b32 v28, 2, v13 :: v_dual_cndmask_b32 v12, v1, v12, vcc_lo
	v_sub_nc_u64_e64 v[0:1], v[10:11], s[12:13]
	v_cmp_eq_u32_e32 vcc_lo, 3, v10
	s_delay_alu instid0(VALU_DEP_3)
	v_lshlrev_b32_e32 v29, 2, v12
	s_or_b32 s2, s2, s3
	s_mov_b32 s3, s13
	s_branch .LBB342_7
.LBB342_5:                              ;   in Loop: Header=BB342_7 Depth=1
	s_wait_xcnt 0x0
	s_or_b32 exec_lo, exec_lo, s19
	global_store_b128 v[20:21], v[10:13], off
.LBB342_6:                              ;   in Loop: Header=BB342_7 Depth=1
	s_wait_xcnt 0x0
	s_or_b32 exec_lo, exec_lo, s0
	v_add_nc_u32_e32 v14, s1, v14
	s_delay_alu instid0(VALU_DEP_1) | instskip(SKIP_1) | instid1(SALU_CYCLE_1)
	v_cmp_le_i32_e64 s0, s18, v14
	s_or_b32 s3, s0, s3
	s_and_not1_b32 exec_lo, exec_lo, s3
	s_cbranch_execz .LBB342_14
.LBB342_7:                              ; =>This Loop Header: Depth=1
                                        ;     Child Loop BB342_9 Depth 2
	s_wait_dscnt 0x2
	s_clause 0x1
	global_load_b64 v[10:11], v14, s[6:7] scale_offset
	global_load_b64 v[12:13], v14, s[4:5] scale_offset
	s_mov_b32 s19, exec_lo
	s_wait_loadcnt 0x1
	v_sub_nc_u64_e64 v[20:21], v[10:11], s[12:13]
	s_wait_loadcnt_dscnt 0x0
	v_add_nc_u64_e32 v[22:23], v[12:13], v[0:1]
	v_mov_b64_e32 v[10:11], 0
	v_mov_b64_e32 v[12:13], 0
	s_wait_xcnt 0x0
	s_delay_alu instid0(VALU_DEP_3)
	v_cmpx_lt_i64_e64 v[22:23], v[20:21]
	s_cbranch_execz .LBB342_11
; %bb.8:                                ;   in Loop: Header=BB342_7 Depth=1
	v_mov_b64_e32 v[10:11], 0
	v_mov_b64_e32 v[12:13], 0
	v_lshl_add_u64 v[24:25], v[22:23], 3, s[10:11]
	v_lshl_add_u64 v[26:27], v[22:23], 2, s[8:9]
	s_mov_b32 s20, 0
.LBB342_9:                              ;   Parent Loop BB342_7 Depth=1
                                        ; =>  This Inner Loop Header: Depth=2
	global_load_b32 v15, v[26:27], off
	global_load_b64 v[34:35], v[24:25], off
	v_add_nc_u64_e32 v[22:23], 4, v[22:23]
	s_wait_xcnt 0x0
	v_add_nc_u64_e32 v[24:25], 32, v[24:25]
	v_add_nc_u64_e32 v[26:27], 16, v[26:27]
	s_delay_alu instid0(VALU_DEP_3)
	v_cmp_ge_i64_e64 s0, v[22:23], v[20:21]
	s_or_b32 s20, s0, s20
	s_wait_loadcnt 0x1
	global_load_b128 v[30:33], v15, s[16:17] scale_offset
	s_wait_loadcnt 0x1
	v_fma_f64 v[36:37], v[2:3], v[34:35], v[16:17]
	v_fma_f64 v[34:35], v[4:5], v[34:35], v[18:19]
	s_wait_loadcnt 0x0
	s_delay_alu instid0(VALU_DEP_2) | instskip(NEXT) | instid1(VALU_DEP_2)
	v_fmac_f64_e32 v[12:13], v[36:37], v[30:31]
	v_fmac_f64_e32 v[10:11], v[34:35], v[30:31]
	s_delay_alu instid0(VALU_DEP_2) | instskip(NEXT) | instid1(VALU_DEP_2)
	v_fma_f64 v[12:13], -v[34:35], v[32:33], v[12:13]
	v_fmac_f64_e32 v[10:11], v[36:37], v[32:33]
	s_wait_xcnt 0x0
	s_and_not1_b32 exec_lo, exec_lo, s20
	s_cbranch_execnz .LBB342_9
; %bb.10:                               ;   in Loop: Header=BB342_7 Depth=1
	s_or_b32 exec_lo, exec_lo, s20
.LBB342_11:                             ;   in Loop: Header=BB342_7 Depth=1
	s_delay_alu instid0(SALU_CYCLE_1)
	s_or_b32 exec_lo, exec_lo, s19
	ds_bpermute_b32 v20, v28, v12
	ds_bpermute_b32 v21, v28, v13
	;; [unrolled: 1-line block ×4, first 2 shown]
	s_wait_dscnt 0x2
	v_dual_add_f64 v[12:13], v[12:13], v[20:21] :: v_dual_ashrrev_i32 v15, 31, v14
	s_wait_dscnt 0x0
	v_add_f64_e32 v[20:21], v[10:11], v[22:23]
	ds_bpermute_b32 v10, v29, v12
	ds_bpermute_b32 v11, v29, v13
	;; [unrolled: 1-line block ×4, first 2 shown]
	s_and_saveexec_b32 s0, vcc_lo
	s_cbranch_execz .LBB342_6
; %bb.12:                               ;   in Loop: Header=BB342_7 Depth=1
	s_wait_dscnt 0x2
	v_add_f64_e32 v[10:11], v[12:13], v[10:11]
	s_wait_dscnt 0x0
	v_add_f64_e32 v[12:13], v[20:21], v[22:23]
	v_lshl_add_u64 v[20:21], v[14:15], 4, s[14:15]
	s_and_saveexec_b32 s19, s2
	s_cbranch_execz .LBB342_5
; %bb.13:                               ;   in Loop: Header=BB342_7 Depth=1
	global_load_b128 v[22:25], v[20:21], off
	s_wait_loadcnt 0x0
	v_fmac_f64_e32 v[10:11], v[6:7], v[22:23]
	v_fmac_f64_e32 v[12:13], v[8:9], v[22:23]
	s_delay_alu instid0(VALU_DEP_2) | instskip(NEXT) | instid1(VALU_DEP_2)
	v_fma_f64 v[10:11], -v[8:9], v[24:25], v[10:11]
	v_fmac_f64_e32 v[12:13], v[6:7], v[24:25]
	s_branch .LBB342_5
.LBB342_14:
	s_endpgm
	.section	.rodata,"a",@progbits
	.p2align	6, 0x0
	.amdhsa_kernel _ZN9rocsparseL21csrmvn_general_kernelILj256ELj4Elid21rocsparse_complex_numIdES2_S2_EEvbT2_NS_24const_host_device_scalarIT6_EEPKT1_S9_PKS3_PKT3_PKT4_S6_PT5_21rocsparse_index_base_b
		.amdhsa_group_segment_fixed_size 0
		.amdhsa_private_segment_fixed_size 0
		.amdhsa_kernarg_size 352
		.amdhsa_user_sgpr_count 2
		.amdhsa_user_sgpr_dispatch_ptr 0
		.amdhsa_user_sgpr_queue_ptr 0
		.amdhsa_user_sgpr_kernarg_segment_ptr 1
		.amdhsa_user_sgpr_dispatch_id 0
		.amdhsa_user_sgpr_kernarg_preload_length 0
		.amdhsa_user_sgpr_kernarg_preload_offset 0
		.amdhsa_user_sgpr_private_segment_size 0
		.amdhsa_wavefront_size32 1
		.amdhsa_uses_dynamic_stack 0
		.amdhsa_enable_private_segment 0
		.amdhsa_system_sgpr_workgroup_id_x 1
		.amdhsa_system_sgpr_workgroup_id_y 0
		.amdhsa_system_sgpr_workgroup_id_z 0
		.amdhsa_system_sgpr_workgroup_info 0
		.amdhsa_system_vgpr_workitem_id 0
		.amdhsa_next_free_vgpr 38
		.amdhsa_next_free_sgpr 22
		.amdhsa_named_barrier_count 0
		.amdhsa_reserve_vcc 1
		.amdhsa_float_round_mode_32 0
		.amdhsa_float_round_mode_16_64 0
		.amdhsa_float_denorm_mode_32 3
		.amdhsa_float_denorm_mode_16_64 3
		.amdhsa_fp16_overflow 0
		.amdhsa_memory_ordered 1
		.amdhsa_forward_progress 1
		.amdhsa_inst_pref_size 8
		.amdhsa_round_robin_scheduling 0
		.amdhsa_exception_fp_ieee_invalid_op 0
		.amdhsa_exception_fp_denorm_src 0
		.amdhsa_exception_fp_ieee_div_zero 0
		.amdhsa_exception_fp_ieee_overflow 0
		.amdhsa_exception_fp_ieee_underflow 0
		.amdhsa_exception_fp_ieee_inexact 0
		.amdhsa_exception_int_div_zero 0
	.end_amdhsa_kernel
	.section	.text._ZN9rocsparseL21csrmvn_general_kernelILj256ELj4Elid21rocsparse_complex_numIdES2_S2_EEvbT2_NS_24const_host_device_scalarIT6_EEPKT1_S9_PKS3_PKT3_PKT4_S6_PT5_21rocsparse_index_base_b,"axG",@progbits,_ZN9rocsparseL21csrmvn_general_kernelILj256ELj4Elid21rocsparse_complex_numIdES2_S2_EEvbT2_NS_24const_host_device_scalarIT6_EEPKT1_S9_PKS3_PKT3_PKT4_S6_PT5_21rocsparse_index_base_b,comdat
.Lfunc_end342:
	.size	_ZN9rocsparseL21csrmvn_general_kernelILj256ELj4Elid21rocsparse_complex_numIdES2_S2_EEvbT2_NS_24const_host_device_scalarIT6_EEPKT1_S9_PKS3_PKT3_PKT4_S6_PT5_21rocsparse_index_base_b, .Lfunc_end342-_ZN9rocsparseL21csrmvn_general_kernelILj256ELj4Elid21rocsparse_complex_numIdES2_S2_EEvbT2_NS_24const_host_device_scalarIT6_EEPKT1_S9_PKS3_PKT3_PKT4_S6_PT5_21rocsparse_index_base_b
                                        ; -- End function
	.set _ZN9rocsparseL21csrmvn_general_kernelILj256ELj4Elid21rocsparse_complex_numIdES2_S2_EEvbT2_NS_24const_host_device_scalarIT6_EEPKT1_S9_PKS3_PKT3_PKT4_S6_PT5_21rocsparse_index_base_b.num_vgpr, 38
	.set _ZN9rocsparseL21csrmvn_general_kernelILj256ELj4Elid21rocsparse_complex_numIdES2_S2_EEvbT2_NS_24const_host_device_scalarIT6_EEPKT1_S9_PKS3_PKT3_PKT4_S6_PT5_21rocsparse_index_base_b.num_agpr, 0
	.set _ZN9rocsparseL21csrmvn_general_kernelILj256ELj4Elid21rocsparse_complex_numIdES2_S2_EEvbT2_NS_24const_host_device_scalarIT6_EEPKT1_S9_PKS3_PKT3_PKT4_S6_PT5_21rocsparse_index_base_b.numbered_sgpr, 22
	.set _ZN9rocsparseL21csrmvn_general_kernelILj256ELj4Elid21rocsparse_complex_numIdES2_S2_EEvbT2_NS_24const_host_device_scalarIT6_EEPKT1_S9_PKS3_PKT3_PKT4_S6_PT5_21rocsparse_index_base_b.num_named_barrier, 0
	.set _ZN9rocsparseL21csrmvn_general_kernelILj256ELj4Elid21rocsparse_complex_numIdES2_S2_EEvbT2_NS_24const_host_device_scalarIT6_EEPKT1_S9_PKS3_PKT3_PKT4_S6_PT5_21rocsparse_index_base_b.private_seg_size, 0
	.set _ZN9rocsparseL21csrmvn_general_kernelILj256ELj4Elid21rocsparse_complex_numIdES2_S2_EEvbT2_NS_24const_host_device_scalarIT6_EEPKT1_S9_PKS3_PKT3_PKT4_S6_PT5_21rocsparse_index_base_b.uses_vcc, 1
	.set _ZN9rocsparseL21csrmvn_general_kernelILj256ELj4Elid21rocsparse_complex_numIdES2_S2_EEvbT2_NS_24const_host_device_scalarIT6_EEPKT1_S9_PKS3_PKT3_PKT4_S6_PT5_21rocsparse_index_base_b.uses_flat_scratch, 0
	.set _ZN9rocsparseL21csrmvn_general_kernelILj256ELj4Elid21rocsparse_complex_numIdES2_S2_EEvbT2_NS_24const_host_device_scalarIT6_EEPKT1_S9_PKS3_PKT3_PKT4_S6_PT5_21rocsparse_index_base_b.has_dyn_sized_stack, 0
	.set _ZN9rocsparseL21csrmvn_general_kernelILj256ELj4Elid21rocsparse_complex_numIdES2_S2_EEvbT2_NS_24const_host_device_scalarIT6_EEPKT1_S9_PKS3_PKT3_PKT4_S6_PT5_21rocsparse_index_base_b.has_recursion, 0
	.set _ZN9rocsparseL21csrmvn_general_kernelILj256ELj4Elid21rocsparse_complex_numIdES2_S2_EEvbT2_NS_24const_host_device_scalarIT6_EEPKT1_S9_PKS3_PKT3_PKT4_S6_PT5_21rocsparse_index_base_b.has_indirect_call, 0
	.section	.AMDGPU.csdata,"",@progbits
; Kernel info:
; codeLenInByte = 936
; TotalNumSgprs: 24
; NumVgprs: 38
; ScratchSize: 0
; MemoryBound: 0
; FloatMode: 240
; IeeeMode: 1
; LDSByteSize: 0 bytes/workgroup (compile time only)
; SGPRBlocks: 0
; VGPRBlocks: 2
; NumSGPRsForWavesPerEU: 24
; NumVGPRsForWavesPerEU: 38
; NamedBarCnt: 0
; Occupancy: 16
; WaveLimiterHint : 1
; COMPUTE_PGM_RSRC2:SCRATCH_EN: 0
; COMPUTE_PGM_RSRC2:USER_SGPR: 2
; COMPUTE_PGM_RSRC2:TRAP_HANDLER: 0
; COMPUTE_PGM_RSRC2:TGID_X_EN: 1
; COMPUTE_PGM_RSRC2:TGID_Y_EN: 0
; COMPUTE_PGM_RSRC2:TGID_Z_EN: 0
; COMPUTE_PGM_RSRC2:TIDIG_COMP_CNT: 0
	.section	.text._ZN9rocsparseL21csrmvn_general_kernelILj256ELj8Elid21rocsparse_complex_numIdES2_S2_EEvbT2_NS_24const_host_device_scalarIT6_EEPKT1_S9_PKS3_PKT3_PKT4_S6_PT5_21rocsparse_index_base_b,"axG",@progbits,_ZN9rocsparseL21csrmvn_general_kernelILj256ELj8Elid21rocsparse_complex_numIdES2_S2_EEvbT2_NS_24const_host_device_scalarIT6_EEPKT1_S9_PKS3_PKT3_PKT4_S6_PT5_21rocsparse_index_base_b,comdat
	.globl	_ZN9rocsparseL21csrmvn_general_kernelILj256ELj8Elid21rocsparse_complex_numIdES2_S2_EEvbT2_NS_24const_host_device_scalarIT6_EEPKT1_S9_PKS3_PKT3_PKT4_S6_PT5_21rocsparse_index_base_b ; -- Begin function _ZN9rocsparseL21csrmvn_general_kernelILj256ELj8Elid21rocsparse_complex_numIdES2_S2_EEvbT2_NS_24const_host_device_scalarIT6_EEPKT1_S9_PKS3_PKT3_PKT4_S6_PT5_21rocsparse_index_base_b
	.p2align	8
	.type	_ZN9rocsparseL21csrmvn_general_kernelILj256ELj8Elid21rocsparse_complex_numIdES2_S2_EEvbT2_NS_24const_host_device_scalarIT6_EEPKT1_S9_PKS3_PKT3_PKT4_S6_PT5_21rocsparse_index_base_b,@function
_ZN9rocsparseL21csrmvn_general_kernelILj256ELj8Elid21rocsparse_complex_numIdES2_S2_EEvbT2_NS_24const_host_device_scalarIT6_EEPKT1_S9_PKS3_PKT3_PKT4_S6_PT5_21rocsparse_index_base_b: ; @_ZN9rocsparseL21csrmvn_general_kernelILj256ELj8Elid21rocsparse_complex_numIdES2_S2_EEvbT2_NS_24const_host_device_scalarIT6_EEPKT1_S9_PKS3_PKT3_PKT4_S6_PT5_21rocsparse_index_base_b
; %bb.0:
	s_clause 0x1
	s_load_b64 s[12:13], s[0:1], 0x58
	s_load_b64 s[2:3], s[0:1], 0x8
	v_mov_b32_e32 v1, 0
	s_add_nc_u64 s[4:5], s[0:1], 8
	s_load_b64 s[6:7], s[0:1], 0x40
	s_wait_kmcnt 0x0
	s_bitcmp1_b32 s13, 0
	s_cselect_b32 s3, s5, s3
	s_cselect_b32 s2, s4, s2
	flat_load_b128 v[2:5], v1, s[2:3]
	s_wait_xcnt 0x0
	s_add_nc_u64 s[2:3], s[0:1], 64
	s_delay_alu instid0(SALU_CYCLE_1)
	s_cselect_b32 s3, s3, s7
	s_cselect_b32 s2, s2, s6
	flat_load_b128 v[6:9], v1, s[2:3]
	s_wait_loadcnt_dscnt 0x101
	v_cmp_eq_f64_e32 vcc_lo, 0, v[2:3]
	s_wait_xcnt 0x0
	v_cmp_eq_f64_e64 s2, 0, v[4:5]
	s_and_b32 s4, vcc_lo, s2
	s_mov_b32 s2, -1
	s_and_saveexec_b32 s3, s4
	s_cbranch_execz .LBB343_2
; %bb.1:
	s_wait_loadcnt_dscnt 0x0
	v_cmp_neq_f64_e32 vcc_lo, 1.0, v[6:7]
	v_cmp_neq_f64_e64 s2, 0, v[8:9]
	s_or_b32 s2, vcc_lo, s2
	s_delay_alu instid0(SALU_CYCLE_1)
	s_or_not1_b32 s2, s2, exec_lo
.LBB343_2:
	s_or_b32 exec_lo, exec_lo, s3
	s_and_saveexec_b32 s3, s2
	s_cbranch_execz .LBB343_14
; %bb.3:
	s_bfe_u32 s2, ttmp6, 0x4000c
	s_load_b32 s18, s[0:1], 0x4
	s_add_co_i32 s2, s2, 1
	s_and_b32 s3, ttmp6, 15
	s_mul_i32 s2, ttmp9, s2
	s_getreg_b32 s4, hwreg(HW_REG_IB_STS2, 6, 4)
	s_add_co_i32 s3, s3, s2
	s_cmp_eq_u32 s4, 0
	s_mov_b32 s13, 0
	s_cselect_b32 s2, ttmp9, s3
	s_delay_alu instid0(SALU_CYCLE_1) | instskip(NEXT) | instid1(VALU_DEP_1)
	v_lshl_or_b32 v1, s2, 8, v0
	v_lshrrev_b32_e32 v14, 3, v1
	s_wait_kmcnt 0x0
	s_delay_alu instid0(VALU_DEP_1)
	v_cmp_gt_i32_e32 vcc_lo, s18, v14
	s_and_b32 exec_lo, exec_lo, vcc_lo
	s_cbranch_execz .LBB343_14
; %bb.4:
	v_mbcnt_lo_u32_b32 v1, -1, 0
	s_wait_loadcnt_dscnt 0x0
	v_cmp_neq_f64_e64 s2, 0, v[6:7]
	v_cmp_neq_f64_e64 s3, 0, v[8:9]
	v_mul_f64_e32 v[16:17], 0x80000000, v[4:5]
	v_dual_mul_f64 v[18:19], 0, v[2:3] :: v_dual_bitop2_b32 v10, 7, v0 bitop3:0x40
	v_dual_mov_b32 v11, 0 :: v_dual_bitop2_b32 v0, 4, v1 bitop3:0x14
	s_clause 0x3
	s_load_b64 s[14:15], s[0:1], 0x50
	s_load_b32 s19, s[0:1], 0x60
	s_load_b64 s[16:17], s[0:1], 0x38
	s_load_b256 s[4:11], s[0:1], 0x18
	s_wait_xcnt 0x0
	s_ashr_i32 s1, s12, 31
	s_mov_b32 s0, s12
	v_cmp_gt_i32_e32 vcc_lo, 32, v0
	v_xor_b32_e32 v12, 2, v1
	s_lshl_b64 s[20:21], s[0:1], 4
	v_cndmask_b32_e32 v15, v1, v0, vcc_lo
	s_delay_alu instid0(VALU_DEP_2) | instskip(NEXT) | instid1(VALU_DEP_2)
	v_cmp_gt_i32_e32 vcc_lo, 32, v12
	v_dual_lshlrev_b32 v28, 2, v15 :: v_dual_bitop2_b32 v13, 1, v1 bitop3:0x14
	v_cndmask_b32_e32 v12, v1, v12, vcc_lo
	s_delay_alu instid0(VALU_DEP_2)
	v_cmp_gt_i32_e32 vcc_lo, 32, v13
	s_wait_kmcnt 0x0
	s_lshl_b32 s1, s19, 5
	s_sub_nc_u64 s[16:17], s[16:17], s[20:21]
	v_cndmask_b32_e32 v13, v1, v13, vcc_lo
	v_sub_nc_u64_e64 v[0:1], v[10:11], s[12:13]
	v_lshlrev_b32_e32 v29, 2, v12
	v_cmp_eq_u32_e32 vcc_lo, 7, v10
	s_delay_alu instid0(VALU_DEP_4)
	v_lshlrev_b32_e32 v30, 2, v13
	s_or_b32 s2, s2, s3
	s_mov_b32 s3, s13
	s_branch .LBB343_7
.LBB343_5:                              ;   in Loop: Header=BB343_7 Depth=1
	s_wait_xcnt 0x0
	s_or_b32 exec_lo, exec_lo, s19
	global_store_b128 v[20:21], v[10:13], off
.LBB343_6:                              ;   in Loop: Header=BB343_7 Depth=1
	s_wait_xcnt 0x0
	s_or_b32 exec_lo, exec_lo, s0
	v_add_nc_u32_e32 v14, s1, v14
	s_delay_alu instid0(VALU_DEP_1) | instskip(SKIP_1) | instid1(SALU_CYCLE_1)
	v_cmp_le_i32_e64 s0, s18, v14
	s_or_b32 s3, s0, s3
	s_and_not1_b32 exec_lo, exec_lo, s3
	s_cbranch_execz .LBB343_14
.LBB343_7:                              ; =>This Loop Header: Depth=1
                                        ;     Child Loop BB343_9 Depth 2
	s_clause 0x1
	global_load_b64 v[10:11], v14, s[6:7] scale_offset
	global_load_b64 v[12:13], v14, s[4:5] scale_offset
	s_mov_b32 s19, exec_lo
	s_wait_loadcnt_dscnt 0x100
	v_sub_nc_u64_e64 v[20:21], v[10:11], s[12:13]
	s_wait_loadcnt 0x0
	v_add_nc_u64_e32 v[22:23], v[12:13], v[0:1]
	v_mov_b64_e32 v[10:11], 0
	v_mov_b64_e32 v[12:13], 0
	s_wait_xcnt 0x0
	s_delay_alu instid0(VALU_DEP_3)
	v_cmpx_lt_i64_e64 v[22:23], v[20:21]
	s_cbranch_execz .LBB343_11
; %bb.8:                                ;   in Loop: Header=BB343_7 Depth=1
	v_mov_b64_e32 v[10:11], 0
	v_mov_b64_e32 v[12:13], 0
	v_lshl_add_u64 v[24:25], v[22:23], 3, s[10:11]
	v_lshl_add_u64 v[26:27], v[22:23], 2, s[8:9]
	s_mov_b32 s20, 0
.LBB343_9:                              ;   Parent Loop BB343_7 Depth=1
                                        ; =>  This Inner Loop Header: Depth=2
	global_load_b32 v15, v[26:27], off
	global_load_b64 v[36:37], v[24:25], off
	v_add_nc_u64_e32 v[22:23], 8, v[22:23]
	s_wait_xcnt 0x0
	v_add_nc_u64_e32 v[24:25], 64, v[24:25]
	v_add_nc_u64_e32 v[26:27], 32, v[26:27]
	s_delay_alu instid0(VALU_DEP_3)
	v_cmp_ge_i64_e64 s0, v[22:23], v[20:21]
	s_or_b32 s20, s0, s20
	s_wait_loadcnt 0x1
	global_load_b128 v[32:35], v15, s[16:17] scale_offset
	s_wait_loadcnt 0x1
	v_fma_f64 v[38:39], v[2:3], v[36:37], v[16:17]
	v_fma_f64 v[36:37], v[4:5], v[36:37], v[18:19]
	s_wait_loadcnt 0x0
	s_delay_alu instid0(VALU_DEP_2) | instskip(NEXT) | instid1(VALU_DEP_2)
	v_fmac_f64_e32 v[12:13], v[38:39], v[32:33]
	v_fmac_f64_e32 v[10:11], v[36:37], v[32:33]
	s_delay_alu instid0(VALU_DEP_2) | instskip(NEXT) | instid1(VALU_DEP_2)
	v_fma_f64 v[12:13], -v[36:37], v[34:35], v[12:13]
	v_fmac_f64_e32 v[10:11], v[38:39], v[34:35]
	s_wait_xcnt 0x0
	s_and_not1_b32 exec_lo, exec_lo, s20
	s_cbranch_execnz .LBB343_9
; %bb.10:                               ;   in Loop: Header=BB343_7 Depth=1
	s_or_b32 exec_lo, exec_lo, s20
.LBB343_11:                             ;   in Loop: Header=BB343_7 Depth=1
	s_delay_alu instid0(SALU_CYCLE_1)
	s_or_b32 exec_lo, exec_lo, s19
	ds_bpermute_b32 v20, v28, v12
	ds_bpermute_b32 v21, v28, v13
	;; [unrolled: 1-line block ×4, first 2 shown]
	s_wait_dscnt 0x2
	v_dual_add_f64 v[12:13], v[12:13], v[20:21] :: v_dual_ashrrev_i32 v15, 31, v14
	s_wait_dscnt 0x0
	v_add_f64_e32 v[20:21], v[10:11], v[22:23]
	ds_bpermute_b32 v10, v29, v12
	ds_bpermute_b32 v11, v29, v13
	;; [unrolled: 1-line block ×4, first 2 shown]
	s_wait_dscnt 0x2
	v_add_f64_e32 v[10:11], v[12:13], v[10:11]
	s_wait_dscnt 0x0
	v_add_f64_e32 v[12:13], v[20:21], v[22:23]
	ds_bpermute_b32 v22, v30, v10
	ds_bpermute_b32 v23, v30, v11
	;; [unrolled: 1-line block ×4, first 2 shown]
	s_and_saveexec_b32 s0, vcc_lo
	s_cbranch_execz .LBB343_6
; %bb.12:                               ;   in Loop: Header=BB343_7 Depth=1
	s_wait_dscnt 0x2
	v_add_f64_e32 v[10:11], v[10:11], v[22:23]
	s_wait_dscnt 0x0
	v_add_f64_e32 v[12:13], v[12:13], v[20:21]
	v_lshl_add_u64 v[20:21], v[14:15], 4, s[14:15]
	s_and_saveexec_b32 s19, s2
	s_cbranch_execz .LBB343_5
; %bb.13:                               ;   in Loop: Header=BB343_7 Depth=1
	global_load_b128 v[22:25], v[20:21], off
	s_wait_loadcnt 0x0
	v_fmac_f64_e32 v[10:11], v[6:7], v[22:23]
	v_fmac_f64_e32 v[12:13], v[8:9], v[22:23]
	s_delay_alu instid0(VALU_DEP_2) | instskip(NEXT) | instid1(VALU_DEP_2)
	v_fma_f64 v[10:11], -v[8:9], v[24:25], v[10:11]
	v_fmac_f64_e32 v[12:13], v[6:7], v[24:25]
	s_branch .LBB343_5
.LBB343_14:
	s_endpgm
	.section	.rodata,"a",@progbits
	.p2align	6, 0x0
	.amdhsa_kernel _ZN9rocsparseL21csrmvn_general_kernelILj256ELj8Elid21rocsparse_complex_numIdES2_S2_EEvbT2_NS_24const_host_device_scalarIT6_EEPKT1_S9_PKS3_PKT3_PKT4_S6_PT5_21rocsparse_index_base_b
		.amdhsa_group_segment_fixed_size 0
		.amdhsa_private_segment_fixed_size 0
		.amdhsa_kernarg_size 352
		.amdhsa_user_sgpr_count 2
		.amdhsa_user_sgpr_dispatch_ptr 0
		.amdhsa_user_sgpr_queue_ptr 0
		.amdhsa_user_sgpr_kernarg_segment_ptr 1
		.amdhsa_user_sgpr_dispatch_id 0
		.amdhsa_user_sgpr_kernarg_preload_length 0
		.amdhsa_user_sgpr_kernarg_preload_offset 0
		.amdhsa_user_sgpr_private_segment_size 0
		.amdhsa_wavefront_size32 1
		.amdhsa_uses_dynamic_stack 0
		.amdhsa_enable_private_segment 0
		.amdhsa_system_sgpr_workgroup_id_x 1
		.amdhsa_system_sgpr_workgroup_id_y 0
		.amdhsa_system_sgpr_workgroup_id_z 0
		.amdhsa_system_sgpr_workgroup_info 0
		.amdhsa_system_vgpr_workitem_id 0
		.amdhsa_next_free_vgpr 40
		.amdhsa_next_free_sgpr 22
		.amdhsa_named_barrier_count 0
		.amdhsa_reserve_vcc 1
		.amdhsa_float_round_mode_32 0
		.amdhsa_float_round_mode_16_64 0
		.amdhsa_float_denorm_mode_32 3
		.amdhsa_float_denorm_mode_16_64 3
		.amdhsa_fp16_overflow 0
		.amdhsa_memory_ordered 1
		.amdhsa_forward_progress 1
		.amdhsa_inst_pref_size 8
		.amdhsa_round_robin_scheduling 0
		.amdhsa_exception_fp_ieee_invalid_op 0
		.amdhsa_exception_fp_denorm_src 0
		.amdhsa_exception_fp_ieee_div_zero 0
		.amdhsa_exception_fp_ieee_overflow 0
		.amdhsa_exception_fp_ieee_underflow 0
		.amdhsa_exception_fp_ieee_inexact 0
		.amdhsa_exception_int_div_zero 0
	.end_amdhsa_kernel
	.section	.text._ZN9rocsparseL21csrmvn_general_kernelILj256ELj8Elid21rocsparse_complex_numIdES2_S2_EEvbT2_NS_24const_host_device_scalarIT6_EEPKT1_S9_PKS3_PKT3_PKT4_S6_PT5_21rocsparse_index_base_b,"axG",@progbits,_ZN9rocsparseL21csrmvn_general_kernelILj256ELj8Elid21rocsparse_complex_numIdES2_S2_EEvbT2_NS_24const_host_device_scalarIT6_EEPKT1_S9_PKS3_PKT3_PKT4_S6_PT5_21rocsparse_index_base_b,comdat
.Lfunc_end343:
	.size	_ZN9rocsparseL21csrmvn_general_kernelILj256ELj8Elid21rocsparse_complex_numIdES2_S2_EEvbT2_NS_24const_host_device_scalarIT6_EEPKT1_S9_PKS3_PKT3_PKT4_S6_PT5_21rocsparse_index_base_b, .Lfunc_end343-_ZN9rocsparseL21csrmvn_general_kernelILj256ELj8Elid21rocsparse_complex_numIdES2_S2_EEvbT2_NS_24const_host_device_scalarIT6_EEPKT1_S9_PKS3_PKT3_PKT4_S6_PT5_21rocsparse_index_base_b
                                        ; -- End function
	.set _ZN9rocsparseL21csrmvn_general_kernelILj256ELj8Elid21rocsparse_complex_numIdES2_S2_EEvbT2_NS_24const_host_device_scalarIT6_EEPKT1_S9_PKS3_PKT3_PKT4_S6_PT5_21rocsparse_index_base_b.num_vgpr, 40
	.set _ZN9rocsparseL21csrmvn_general_kernelILj256ELj8Elid21rocsparse_complex_numIdES2_S2_EEvbT2_NS_24const_host_device_scalarIT6_EEPKT1_S9_PKS3_PKT3_PKT4_S6_PT5_21rocsparse_index_base_b.num_agpr, 0
	.set _ZN9rocsparseL21csrmvn_general_kernelILj256ELj8Elid21rocsparse_complex_numIdES2_S2_EEvbT2_NS_24const_host_device_scalarIT6_EEPKT1_S9_PKS3_PKT3_PKT4_S6_PT5_21rocsparse_index_base_b.numbered_sgpr, 22
	.set _ZN9rocsparseL21csrmvn_general_kernelILj256ELj8Elid21rocsparse_complex_numIdES2_S2_EEvbT2_NS_24const_host_device_scalarIT6_EEPKT1_S9_PKS3_PKT3_PKT4_S6_PT5_21rocsparse_index_base_b.num_named_barrier, 0
	.set _ZN9rocsparseL21csrmvn_general_kernelILj256ELj8Elid21rocsparse_complex_numIdES2_S2_EEvbT2_NS_24const_host_device_scalarIT6_EEPKT1_S9_PKS3_PKT3_PKT4_S6_PT5_21rocsparse_index_base_b.private_seg_size, 0
	.set _ZN9rocsparseL21csrmvn_general_kernelILj256ELj8Elid21rocsparse_complex_numIdES2_S2_EEvbT2_NS_24const_host_device_scalarIT6_EEPKT1_S9_PKS3_PKT3_PKT4_S6_PT5_21rocsparse_index_base_b.uses_vcc, 1
	.set _ZN9rocsparseL21csrmvn_general_kernelILj256ELj8Elid21rocsparse_complex_numIdES2_S2_EEvbT2_NS_24const_host_device_scalarIT6_EEPKT1_S9_PKS3_PKT3_PKT4_S6_PT5_21rocsparse_index_base_b.uses_flat_scratch, 0
	.set _ZN9rocsparseL21csrmvn_general_kernelILj256ELj8Elid21rocsparse_complex_numIdES2_S2_EEvbT2_NS_24const_host_device_scalarIT6_EEPKT1_S9_PKS3_PKT3_PKT4_S6_PT5_21rocsparse_index_base_b.has_dyn_sized_stack, 0
	.set _ZN9rocsparseL21csrmvn_general_kernelILj256ELj8Elid21rocsparse_complex_numIdES2_S2_EEvbT2_NS_24const_host_device_scalarIT6_EEPKT1_S9_PKS3_PKT3_PKT4_S6_PT5_21rocsparse_index_base_b.has_recursion, 0
	.set _ZN9rocsparseL21csrmvn_general_kernelILj256ELj8Elid21rocsparse_complex_numIdES2_S2_EEvbT2_NS_24const_host_device_scalarIT6_EEPKT1_S9_PKS3_PKT3_PKT4_S6_PT5_21rocsparse_index_base_b.has_indirect_call, 0
	.section	.AMDGPU.csdata,"",@progbits
; Kernel info:
; codeLenInByte = 1000
; TotalNumSgprs: 24
; NumVgprs: 40
; ScratchSize: 0
; MemoryBound: 0
; FloatMode: 240
; IeeeMode: 1
; LDSByteSize: 0 bytes/workgroup (compile time only)
; SGPRBlocks: 0
; VGPRBlocks: 2
; NumSGPRsForWavesPerEU: 24
; NumVGPRsForWavesPerEU: 40
; NamedBarCnt: 0
; Occupancy: 16
; WaveLimiterHint : 1
; COMPUTE_PGM_RSRC2:SCRATCH_EN: 0
; COMPUTE_PGM_RSRC2:USER_SGPR: 2
; COMPUTE_PGM_RSRC2:TRAP_HANDLER: 0
; COMPUTE_PGM_RSRC2:TGID_X_EN: 1
; COMPUTE_PGM_RSRC2:TGID_Y_EN: 0
; COMPUTE_PGM_RSRC2:TGID_Z_EN: 0
; COMPUTE_PGM_RSRC2:TIDIG_COMP_CNT: 0
	.section	.text._ZN9rocsparseL21csrmvn_general_kernelILj256ELj16Elid21rocsparse_complex_numIdES2_S2_EEvbT2_NS_24const_host_device_scalarIT6_EEPKT1_S9_PKS3_PKT3_PKT4_S6_PT5_21rocsparse_index_base_b,"axG",@progbits,_ZN9rocsparseL21csrmvn_general_kernelILj256ELj16Elid21rocsparse_complex_numIdES2_S2_EEvbT2_NS_24const_host_device_scalarIT6_EEPKT1_S9_PKS3_PKT3_PKT4_S6_PT5_21rocsparse_index_base_b,comdat
	.globl	_ZN9rocsparseL21csrmvn_general_kernelILj256ELj16Elid21rocsparse_complex_numIdES2_S2_EEvbT2_NS_24const_host_device_scalarIT6_EEPKT1_S9_PKS3_PKT3_PKT4_S6_PT5_21rocsparse_index_base_b ; -- Begin function _ZN9rocsparseL21csrmvn_general_kernelILj256ELj16Elid21rocsparse_complex_numIdES2_S2_EEvbT2_NS_24const_host_device_scalarIT6_EEPKT1_S9_PKS3_PKT3_PKT4_S6_PT5_21rocsparse_index_base_b
	.p2align	8
	.type	_ZN9rocsparseL21csrmvn_general_kernelILj256ELj16Elid21rocsparse_complex_numIdES2_S2_EEvbT2_NS_24const_host_device_scalarIT6_EEPKT1_S9_PKS3_PKT3_PKT4_S6_PT5_21rocsparse_index_base_b,@function
_ZN9rocsparseL21csrmvn_general_kernelILj256ELj16Elid21rocsparse_complex_numIdES2_S2_EEvbT2_NS_24const_host_device_scalarIT6_EEPKT1_S9_PKS3_PKT3_PKT4_S6_PT5_21rocsparse_index_base_b: ; @_ZN9rocsparseL21csrmvn_general_kernelILj256ELj16Elid21rocsparse_complex_numIdES2_S2_EEvbT2_NS_24const_host_device_scalarIT6_EEPKT1_S9_PKS3_PKT3_PKT4_S6_PT5_21rocsparse_index_base_b
; %bb.0:
	s_clause 0x1
	s_load_b64 s[12:13], s[0:1], 0x58
	s_load_b64 s[2:3], s[0:1], 0x8
	v_mov_b32_e32 v1, 0
	s_add_nc_u64 s[4:5], s[0:1], 8
	s_load_b64 s[6:7], s[0:1], 0x40
	s_wait_kmcnt 0x0
	s_bitcmp1_b32 s13, 0
	s_cselect_b32 s3, s5, s3
	s_cselect_b32 s2, s4, s2
	flat_load_b128 v[2:5], v1, s[2:3]
	s_wait_xcnt 0x0
	s_add_nc_u64 s[2:3], s[0:1], 64
	s_delay_alu instid0(SALU_CYCLE_1)
	s_cselect_b32 s3, s3, s7
	s_cselect_b32 s2, s2, s6
	flat_load_b128 v[6:9], v1, s[2:3]
	s_wait_loadcnt_dscnt 0x101
	v_cmp_eq_f64_e32 vcc_lo, 0, v[2:3]
	s_wait_xcnt 0x0
	v_cmp_eq_f64_e64 s2, 0, v[4:5]
	s_and_b32 s4, vcc_lo, s2
	s_mov_b32 s2, -1
	s_and_saveexec_b32 s3, s4
	s_cbranch_execz .LBB344_2
; %bb.1:
	s_wait_loadcnt_dscnt 0x0
	v_cmp_neq_f64_e32 vcc_lo, 1.0, v[6:7]
	v_cmp_neq_f64_e64 s2, 0, v[8:9]
	s_or_b32 s2, vcc_lo, s2
	s_delay_alu instid0(SALU_CYCLE_1)
	s_or_not1_b32 s2, s2, exec_lo
.LBB344_2:
	s_or_b32 exec_lo, exec_lo, s3
	s_and_saveexec_b32 s3, s2
	s_cbranch_execz .LBB344_14
; %bb.3:
	s_bfe_u32 s2, ttmp6, 0x4000c
	s_load_b32 s18, s[0:1], 0x4
	s_add_co_i32 s2, s2, 1
	s_and_b32 s3, ttmp6, 15
	s_mul_i32 s2, ttmp9, s2
	s_getreg_b32 s4, hwreg(HW_REG_IB_STS2, 6, 4)
	s_add_co_i32 s3, s3, s2
	s_cmp_eq_u32 s4, 0
	s_mov_b32 s13, 0
	s_cselect_b32 s2, ttmp9, s3
	s_delay_alu instid0(SALU_CYCLE_1) | instskip(NEXT) | instid1(VALU_DEP_1)
	v_lshl_or_b32 v1, s2, 8, v0
	v_lshrrev_b32_e32 v14, 4, v1
	s_wait_kmcnt 0x0
	s_delay_alu instid0(VALU_DEP_1)
	v_cmp_gt_i32_e32 vcc_lo, s18, v14
	s_and_b32 exec_lo, exec_lo, vcc_lo
	s_cbranch_execz .LBB344_14
; %bb.4:
	v_mbcnt_lo_u32_b32 v12, -1, 0
	v_dual_mul_f64 v[18:19], 0, v[2:3] :: v_dual_bitop2_b32 v10, 15, v0 bitop3:0x40
	v_mov_b32_e32 v11, 0
	s_wait_loadcnt_dscnt 0x0
	v_cmp_neq_f64_e64 s2, 0, v[6:7]
	v_xor_b32_e32 v13, 8, v12
	v_cmp_neq_f64_e64 s3, 0, v[8:9]
	v_mul_f64_e32 v[16:17], 0x80000000, v[4:5]
	v_sub_nc_u64_e64 v[0:1], v[10:11], s[12:13]
	s_load_b32 s19, s[0:1], 0x60
	v_cmp_gt_i32_e32 vcc_lo, 32, v13
	v_xor_b32_e32 v11, 4, v12
	s_clause 0x2
	s_load_b64 s[14:15], s[0:1], 0x50
	s_load_b64 s[16:17], s[0:1], 0x38
	s_load_b256 s[4:11], s[0:1], 0x18
	s_ashr_i32 s21, s12, 31
	v_cndmask_b32_e32 v13, v12, v13, vcc_lo
	v_cmp_gt_i32_e32 vcc_lo, 32, v11
	v_xor_b32_e32 v15, 2, v12
	s_mov_b32 s20, s12
	s_delay_alu instid0(SALU_CYCLE_1) | instskip(SKIP_1) | instid1(VALU_DEP_2)
	s_lshl_b64 s[20:21], s[20:21], 4
	v_cndmask_b32_e32 v11, v12, v11, vcc_lo
	v_cmp_gt_i32_e32 vcc_lo, 32, v15
	v_dual_lshlrev_b32 v28, 2, v13 :: v_dual_bitop2_b32 v20, 1, v12 bitop3:0x14
	v_cndmask_b32_e32 v15, v12, v15, vcc_lo
	s_delay_alu instid0(VALU_DEP_2) | instskip(SKIP_2) | instid1(VALU_DEP_2)
	v_cmp_gt_i32_e32 vcc_lo, 32, v20
	s_wait_kmcnt 0x0
	s_lshl_b32 s1, s19, 4
	v_dual_lshlrev_b32 v30, 2, v15 :: v_dual_cndmask_b32 v12, v12, v20, vcc_lo
	v_lshlrev_b32_e32 v29, 2, v11
	s_sub_nc_u64 s[16:17], s[16:17], s[20:21]
	v_cmp_eq_u32_e32 vcc_lo, 15, v10
	s_delay_alu instid0(VALU_DEP_3)
	v_lshlrev_b32_e32 v31, 2, v12
	s_or_b32 s2, s2, s3
	s_mov_b32 s3, s13
	s_branch .LBB344_7
.LBB344_5:                              ;   in Loop: Header=BB344_7 Depth=1
	s_wait_xcnt 0x0
	s_or_b32 exec_lo, exec_lo, s19
	global_store_b128 v[20:21], v[10:13], off
.LBB344_6:                              ;   in Loop: Header=BB344_7 Depth=1
	s_wait_xcnt 0x0
	s_or_b32 exec_lo, exec_lo, s0
	v_add_nc_u32_e32 v14, s1, v14
	s_delay_alu instid0(VALU_DEP_1) | instskip(SKIP_1) | instid1(SALU_CYCLE_1)
	v_cmp_le_i32_e64 s0, s18, v14
	s_or_b32 s3, s0, s3
	s_and_not1_b32 exec_lo, exec_lo, s3
	s_cbranch_execz .LBB344_14
.LBB344_7:                              ; =>This Loop Header: Depth=1
                                        ;     Child Loop BB344_9 Depth 2
	s_clause 0x1
	global_load_b64 v[10:11], v14, s[6:7] scale_offset
	global_load_b64 v[12:13], v14, s[4:5] scale_offset
	s_mov_b32 s19, exec_lo
	s_wait_loadcnt_dscnt 0x100
	v_sub_nc_u64_e64 v[20:21], v[10:11], s[12:13]
	s_wait_loadcnt 0x0
	v_add_nc_u64_e32 v[22:23], v[12:13], v[0:1]
	v_mov_b64_e32 v[10:11], 0
	v_mov_b64_e32 v[12:13], 0
	s_wait_xcnt 0x0
	s_delay_alu instid0(VALU_DEP_3)
	v_cmpx_lt_i64_e64 v[22:23], v[20:21]
	s_cbranch_execz .LBB344_11
; %bb.8:                                ;   in Loop: Header=BB344_7 Depth=1
	v_mov_b64_e32 v[10:11], 0
	v_mov_b64_e32 v[12:13], 0
	v_lshl_add_u64 v[24:25], v[22:23], 3, s[10:11]
	v_lshl_add_u64 v[26:27], v[22:23], 2, s[8:9]
	s_mov_b32 s20, 0
.LBB344_9:                              ;   Parent Loop BB344_7 Depth=1
                                        ; =>  This Inner Loop Header: Depth=2
	global_load_b32 v15, v[26:27], off
	global_load_b64 v[36:37], v[24:25], off
	v_add_nc_u64_e32 v[22:23], 16, v[22:23]
	s_wait_xcnt 0x0
	v_add_nc_u64_e32 v[24:25], 0x80, v[24:25]
	v_add_nc_u64_e32 v[26:27], 64, v[26:27]
	s_delay_alu instid0(VALU_DEP_3)
	v_cmp_ge_i64_e64 s0, v[22:23], v[20:21]
	s_or_b32 s20, s0, s20
	s_wait_loadcnt 0x1
	global_load_b128 v[32:35], v15, s[16:17] scale_offset
	s_wait_loadcnt 0x1
	v_fma_f64 v[38:39], v[2:3], v[36:37], v[16:17]
	v_fma_f64 v[36:37], v[4:5], v[36:37], v[18:19]
	s_wait_loadcnt 0x0
	s_delay_alu instid0(VALU_DEP_2) | instskip(NEXT) | instid1(VALU_DEP_2)
	v_fmac_f64_e32 v[12:13], v[38:39], v[32:33]
	v_fmac_f64_e32 v[10:11], v[36:37], v[32:33]
	s_delay_alu instid0(VALU_DEP_2) | instskip(NEXT) | instid1(VALU_DEP_2)
	v_fma_f64 v[12:13], -v[36:37], v[34:35], v[12:13]
	v_fmac_f64_e32 v[10:11], v[38:39], v[34:35]
	s_wait_xcnt 0x0
	s_and_not1_b32 exec_lo, exec_lo, s20
	s_cbranch_execnz .LBB344_9
; %bb.10:                               ;   in Loop: Header=BB344_7 Depth=1
	s_or_b32 exec_lo, exec_lo, s20
.LBB344_11:                             ;   in Loop: Header=BB344_7 Depth=1
	s_delay_alu instid0(SALU_CYCLE_1)
	s_or_b32 exec_lo, exec_lo, s19
	ds_bpermute_b32 v20, v28, v12
	ds_bpermute_b32 v21, v28, v13
	;; [unrolled: 1-line block ×4, first 2 shown]
	s_wait_dscnt 0x2
	v_dual_add_f64 v[12:13], v[12:13], v[20:21] :: v_dual_ashrrev_i32 v15, 31, v14
	s_wait_dscnt 0x0
	v_add_f64_e32 v[10:11], v[10:11], v[22:23]
	ds_bpermute_b32 v20, v29, v12
	ds_bpermute_b32 v21, v29, v13
	;; [unrolled: 1-line block ×4, first 2 shown]
	s_wait_dscnt 0x2
	v_add_f64_e32 v[12:13], v[12:13], v[20:21]
	s_wait_dscnt 0x0
	v_add_f64_e32 v[20:21], v[10:11], v[22:23]
	ds_bpermute_b32 v10, v30, v12
	ds_bpermute_b32 v11, v30, v13
	;; [unrolled: 1-line block ×4, first 2 shown]
	s_wait_dscnt 0x2
	v_add_f64_e32 v[10:11], v[12:13], v[10:11]
	s_wait_dscnt 0x0
	v_add_f64_e32 v[12:13], v[20:21], v[22:23]
	ds_bpermute_b32 v22, v31, v10
	ds_bpermute_b32 v23, v31, v11
	ds_bpermute_b32 v20, v31, v12
	ds_bpermute_b32 v21, v31, v13
	s_and_saveexec_b32 s0, vcc_lo
	s_cbranch_execz .LBB344_6
; %bb.12:                               ;   in Loop: Header=BB344_7 Depth=1
	s_wait_dscnt 0x2
	v_add_f64_e32 v[10:11], v[10:11], v[22:23]
	s_wait_dscnt 0x0
	v_add_f64_e32 v[12:13], v[12:13], v[20:21]
	v_lshl_add_u64 v[20:21], v[14:15], 4, s[14:15]
	s_and_saveexec_b32 s19, s2
	s_cbranch_execz .LBB344_5
; %bb.13:                               ;   in Loop: Header=BB344_7 Depth=1
	global_load_b128 v[22:25], v[20:21], off
	s_wait_loadcnt 0x0
	v_fmac_f64_e32 v[10:11], v[6:7], v[22:23]
	v_fmac_f64_e32 v[12:13], v[8:9], v[22:23]
	s_delay_alu instid0(VALU_DEP_2) | instskip(NEXT) | instid1(VALU_DEP_2)
	v_fma_f64 v[10:11], -v[8:9], v[24:25], v[10:11]
	v_fmac_f64_e32 v[12:13], v[6:7], v[24:25]
	s_branch .LBB344_5
.LBB344_14:
	s_endpgm
	.section	.rodata,"a",@progbits
	.p2align	6, 0x0
	.amdhsa_kernel _ZN9rocsparseL21csrmvn_general_kernelILj256ELj16Elid21rocsparse_complex_numIdES2_S2_EEvbT2_NS_24const_host_device_scalarIT6_EEPKT1_S9_PKS3_PKT3_PKT4_S6_PT5_21rocsparse_index_base_b
		.amdhsa_group_segment_fixed_size 0
		.amdhsa_private_segment_fixed_size 0
		.amdhsa_kernarg_size 352
		.amdhsa_user_sgpr_count 2
		.amdhsa_user_sgpr_dispatch_ptr 0
		.amdhsa_user_sgpr_queue_ptr 0
		.amdhsa_user_sgpr_kernarg_segment_ptr 1
		.amdhsa_user_sgpr_dispatch_id 0
		.amdhsa_user_sgpr_kernarg_preload_length 0
		.amdhsa_user_sgpr_kernarg_preload_offset 0
		.amdhsa_user_sgpr_private_segment_size 0
		.amdhsa_wavefront_size32 1
		.amdhsa_uses_dynamic_stack 0
		.amdhsa_enable_private_segment 0
		.amdhsa_system_sgpr_workgroup_id_x 1
		.amdhsa_system_sgpr_workgroup_id_y 0
		.amdhsa_system_sgpr_workgroup_id_z 0
		.amdhsa_system_sgpr_workgroup_info 0
		.amdhsa_system_vgpr_workitem_id 0
		.amdhsa_next_free_vgpr 40
		.amdhsa_next_free_sgpr 22
		.amdhsa_named_barrier_count 0
		.amdhsa_reserve_vcc 1
		.amdhsa_float_round_mode_32 0
		.amdhsa_float_round_mode_16_64 0
		.amdhsa_float_denorm_mode_32 3
		.amdhsa_float_denorm_mode_16_64 3
		.amdhsa_fp16_overflow 0
		.amdhsa_memory_ordered 1
		.amdhsa_forward_progress 1
		.amdhsa_inst_pref_size 9
		.amdhsa_round_robin_scheduling 0
		.amdhsa_exception_fp_ieee_invalid_op 0
		.amdhsa_exception_fp_denorm_src 0
		.amdhsa_exception_fp_ieee_div_zero 0
		.amdhsa_exception_fp_ieee_overflow 0
		.amdhsa_exception_fp_ieee_underflow 0
		.amdhsa_exception_fp_ieee_inexact 0
		.amdhsa_exception_int_div_zero 0
	.end_amdhsa_kernel
	.section	.text._ZN9rocsparseL21csrmvn_general_kernelILj256ELj16Elid21rocsparse_complex_numIdES2_S2_EEvbT2_NS_24const_host_device_scalarIT6_EEPKT1_S9_PKS3_PKT3_PKT4_S6_PT5_21rocsparse_index_base_b,"axG",@progbits,_ZN9rocsparseL21csrmvn_general_kernelILj256ELj16Elid21rocsparse_complex_numIdES2_S2_EEvbT2_NS_24const_host_device_scalarIT6_EEPKT1_S9_PKS3_PKT3_PKT4_S6_PT5_21rocsparse_index_base_b,comdat
.Lfunc_end344:
	.size	_ZN9rocsparseL21csrmvn_general_kernelILj256ELj16Elid21rocsparse_complex_numIdES2_S2_EEvbT2_NS_24const_host_device_scalarIT6_EEPKT1_S9_PKS3_PKT3_PKT4_S6_PT5_21rocsparse_index_base_b, .Lfunc_end344-_ZN9rocsparseL21csrmvn_general_kernelILj256ELj16Elid21rocsparse_complex_numIdES2_S2_EEvbT2_NS_24const_host_device_scalarIT6_EEPKT1_S9_PKS3_PKT3_PKT4_S6_PT5_21rocsparse_index_base_b
                                        ; -- End function
	.set _ZN9rocsparseL21csrmvn_general_kernelILj256ELj16Elid21rocsparse_complex_numIdES2_S2_EEvbT2_NS_24const_host_device_scalarIT6_EEPKT1_S9_PKS3_PKT3_PKT4_S6_PT5_21rocsparse_index_base_b.num_vgpr, 40
	.set _ZN9rocsparseL21csrmvn_general_kernelILj256ELj16Elid21rocsparse_complex_numIdES2_S2_EEvbT2_NS_24const_host_device_scalarIT6_EEPKT1_S9_PKS3_PKT3_PKT4_S6_PT5_21rocsparse_index_base_b.num_agpr, 0
	.set _ZN9rocsparseL21csrmvn_general_kernelILj256ELj16Elid21rocsparse_complex_numIdES2_S2_EEvbT2_NS_24const_host_device_scalarIT6_EEPKT1_S9_PKS3_PKT3_PKT4_S6_PT5_21rocsparse_index_base_b.numbered_sgpr, 22
	.set _ZN9rocsparseL21csrmvn_general_kernelILj256ELj16Elid21rocsparse_complex_numIdES2_S2_EEvbT2_NS_24const_host_device_scalarIT6_EEPKT1_S9_PKS3_PKT3_PKT4_S6_PT5_21rocsparse_index_base_b.num_named_barrier, 0
	.set _ZN9rocsparseL21csrmvn_general_kernelILj256ELj16Elid21rocsparse_complex_numIdES2_S2_EEvbT2_NS_24const_host_device_scalarIT6_EEPKT1_S9_PKS3_PKT3_PKT4_S6_PT5_21rocsparse_index_base_b.private_seg_size, 0
	.set _ZN9rocsparseL21csrmvn_general_kernelILj256ELj16Elid21rocsparse_complex_numIdES2_S2_EEvbT2_NS_24const_host_device_scalarIT6_EEPKT1_S9_PKS3_PKT3_PKT4_S6_PT5_21rocsparse_index_base_b.uses_vcc, 1
	.set _ZN9rocsparseL21csrmvn_general_kernelILj256ELj16Elid21rocsparse_complex_numIdES2_S2_EEvbT2_NS_24const_host_device_scalarIT6_EEPKT1_S9_PKS3_PKT3_PKT4_S6_PT5_21rocsparse_index_base_b.uses_flat_scratch, 0
	.set _ZN9rocsparseL21csrmvn_general_kernelILj256ELj16Elid21rocsparse_complex_numIdES2_S2_EEvbT2_NS_24const_host_device_scalarIT6_EEPKT1_S9_PKS3_PKT3_PKT4_S6_PT5_21rocsparse_index_base_b.has_dyn_sized_stack, 0
	.set _ZN9rocsparseL21csrmvn_general_kernelILj256ELj16Elid21rocsparse_complex_numIdES2_S2_EEvbT2_NS_24const_host_device_scalarIT6_EEPKT1_S9_PKS3_PKT3_PKT4_S6_PT5_21rocsparse_index_base_b.has_recursion, 0
	.set _ZN9rocsparseL21csrmvn_general_kernelILj256ELj16Elid21rocsparse_complex_numIdES2_S2_EEvbT2_NS_24const_host_device_scalarIT6_EEPKT1_S9_PKS3_PKT3_PKT4_S6_PT5_21rocsparse_index_base_b.has_indirect_call, 0
	.section	.AMDGPU.csdata,"",@progbits
; Kernel info:
; codeLenInByte = 1064
; TotalNumSgprs: 24
; NumVgprs: 40
; ScratchSize: 0
; MemoryBound: 0
; FloatMode: 240
; IeeeMode: 1
; LDSByteSize: 0 bytes/workgroup (compile time only)
; SGPRBlocks: 0
; VGPRBlocks: 2
; NumSGPRsForWavesPerEU: 24
; NumVGPRsForWavesPerEU: 40
; NamedBarCnt: 0
; Occupancy: 16
; WaveLimiterHint : 1
; COMPUTE_PGM_RSRC2:SCRATCH_EN: 0
; COMPUTE_PGM_RSRC2:USER_SGPR: 2
; COMPUTE_PGM_RSRC2:TRAP_HANDLER: 0
; COMPUTE_PGM_RSRC2:TGID_X_EN: 1
; COMPUTE_PGM_RSRC2:TGID_Y_EN: 0
; COMPUTE_PGM_RSRC2:TGID_Z_EN: 0
; COMPUTE_PGM_RSRC2:TIDIG_COMP_CNT: 0
	.section	.text._ZN9rocsparseL21csrmvn_general_kernelILj256ELj32Elid21rocsparse_complex_numIdES2_S2_EEvbT2_NS_24const_host_device_scalarIT6_EEPKT1_S9_PKS3_PKT3_PKT4_S6_PT5_21rocsparse_index_base_b,"axG",@progbits,_ZN9rocsparseL21csrmvn_general_kernelILj256ELj32Elid21rocsparse_complex_numIdES2_S2_EEvbT2_NS_24const_host_device_scalarIT6_EEPKT1_S9_PKS3_PKT3_PKT4_S6_PT5_21rocsparse_index_base_b,comdat
	.globl	_ZN9rocsparseL21csrmvn_general_kernelILj256ELj32Elid21rocsparse_complex_numIdES2_S2_EEvbT2_NS_24const_host_device_scalarIT6_EEPKT1_S9_PKS3_PKT3_PKT4_S6_PT5_21rocsparse_index_base_b ; -- Begin function _ZN9rocsparseL21csrmvn_general_kernelILj256ELj32Elid21rocsparse_complex_numIdES2_S2_EEvbT2_NS_24const_host_device_scalarIT6_EEPKT1_S9_PKS3_PKT3_PKT4_S6_PT5_21rocsparse_index_base_b
	.p2align	8
	.type	_ZN9rocsparseL21csrmvn_general_kernelILj256ELj32Elid21rocsparse_complex_numIdES2_S2_EEvbT2_NS_24const_host_device_scalarIT6_EEPKT1_S9_PKS3_PKT3_PKT4_S6_PT5_21rocsparse_index_base_b,@function
_ZN9rocsparseL21csrmvn_general_kernelILj256ELj32Elid21rocsparse_complex_numIdES2_S2_EEvbT2_NS_24const_host_device_scalarIT6_EEPKT1_S9_PKS3_PKT3_PKT4_S6_PT5_21rocsparse_index_base_b: ; @_ZN9rocsparseL21csrmvn_general_kernelILj256ELj32Elid21rocsparse_complex_numIdES2_S2_EEvbT2_NS_24const_host_device_scalarIT6_EEPKT1_S9_PKS3_PKT3_PKT4_S6_PT5_21rocsparse_index_base_b
; %bb.0:
	s_clause 0x1
	s_load_b64 s[12:13], s[0:1], 0x58
	s_load_b64 s[2:3], s[0:1], 0x8
	v_mov_b32_e32 v1, 0
	s_add_nc_u64 s[4:5], s[0:1], 8
	s_load_b64 s[6:7], s[0:1], 0x40
	s_wait_kmcnt 0x0
	s_bitcmp1_b32 s13, 0
	s_cselect_b32 s3, s5, s3
	s_cselect_b32 s2, s4, s2
	flat_load_b128 v[2:5], v1, s[2:3]
	s_wait_xcnt 0x0
	s_add_nc_u64 s[2:3], s[0:1], 64
	s_delay_alu instid0(SALU_CYCLE_1)
	s_cselect_b32 s3, s3, s7
	s_cselect_b32 s2, s2, s6
	flat_load_b128 v[6:9], v1, s[2:3]
	s_wait_loadcnt_dscnt 0x101
	v_cmp_eq_f64_e32 vcc_lo, 0, v[2:3]
	s_wait_xcnt 0x0
	v_cmp_eq_f64_e64 s2, 0, v[4:5]
	s_and_b32 s4, vcc_lo, s2
	s_mov_b32 s2, -1
	s_and_saveexec_b32 s3, s4
	s_cbranch_execz .LBB345_2
; %bb.1:
	s_wait_loadcnt_dscnt 0x0
	v_cmp_neq_f64_e32 vcc_lo, 1.0, v[6:7]
	v_cmp_neq_f64_e64 s2, 0, v[8:9]
	s_or_b32 s2, vcc_lo, s2
	s_delay_alu instid0(SALU_CYCLE_1)
	s_or_not1_b32 s2, s2, exec_lo
.LBB345_2:
	s_or_b32 exec_lo, exec_lo, s3
	s_and_saveexec_b32 s3, s2
	s_cbranch_execz .LBB345_14
; %bb.3:
	s_bfe_u32 s2, ttmp6, 0x4000c
	s_load_b32 s16, s[0:1], 0x4
	s_add_co_i32 s2, s2, 1
	s_and_b32 s3, ttmp6, 15
	s_mul_i32 s2, ttmp9, s2
	s_getreg_b32 s4, hwreg(HW_REG_IB_STS2, 6, 4)
	s_add_co_i32 s3, s3, s2
	s_cmp_eq_u32 s4, 0
	s_mov_b32 s13, 0
	s_cselect_b32 s2, ttmp9, s3
	s_delay_alu instid0(SALU_CYCLE_1) | instskip(NEXT) | instid1(VALU_DEP_1)
	v_lshl_or_b32 v1, s2, 8, v0
	v_lshrrev_b32_e32 v14, 5, v1
	s_wait_kmcnt 0x0
	s_delay_alu instid0(VALU_DEP_1)
	v_cmp_gt_i32_e32 vcc_lo, s16, v14
	s_and_b32 exec_lo, exec_lo, vcc_lo
	s_cbranch_execz .LBB345_14
; %bb.4:
	v_mbcnt_lo_u32_b32 v12, -1, 0
	v_dual_mul_f64 v[16:17], 0, v[2:3] :: v_dual_bitop2_b32 v10, 31, v0 bitop3:0x40
	v_mov_b32_e32 v11, 0
	s_clause 0x3
	s_load_b32 s17, s[0:1], 0x60
	s_load_b256 s[4:11], s[0:1], 0x18
	s_load_b64 s[2:3], s[0:1], 0x50
	s_load_b64 s[14:15], s[0:1], 0x38
	v_xor_b32_e32 v13, 16, v12
	s_wait_loadcnt_dscnt 0x0
	v_cmp_neq_f64_e64 s0, 0, v[6:7]
	v_cmp_neq_f64_e64 s1, 0, v[8:9]
	v_sub_nc_u64_e64 v[18:19], v[10:11], s[12:13]
	v_mul_f64_e32 v[0:1], 0x80000000, v[4:5]
	v_cmp_gt_i32_e32 vcc_lo, 32, v13
	v_xor_b32_e32 v11, 8, v12
	s_ashr_i32 s19, s12, 31
	s_mov_b32 s18, s12
	s_delay_alu instid0(SALU_CYCLE_1) | instskip(SKIP_3) | instid1(VALU_DEP_3)
	s_lshl_b64 s[18:19], s[18:19], 4
	v_cndmask_b32_e32 v13, v12, v13, vcc_lo
	v_cmp_gt_i32_e32 vcc_lo, 32, v11
	v_xor_b32_e32 v15, 4, v12
	v_dual_lshlrev_b32 v28, 2, v13 :: v_dual_bitop2_b32 v21, 1, v12 bitop3:0x14
	v_cndmask_b32_e32 v11, v12, v11, vcc_lo
	s_delay_alu instid0(VALU_DEP_3)
	v_cmp_gt_i32_e32 vcc_lo, 32, v15
	v_xor_b32_e32 v20, 2, v12
	s_wait_kmcnt 0x0
	s_lshl_b32 s17, s17, 3
	s_sub_nc_u64 s[14:15], s[14:15], s[18:19]
	s_mov_b32 s18, s13
	v_cndmask_b32_e32 v15, v12, v15, vcc_lo
	v_cmp_gt_i32_e32 vcc_lo, 32, v20
	v_cndmask_b32_e32 v20, v12, v20, vcc_lo
	v_cmp_gt_i32_e32 vcc_lo, 32, v21
	s_or_b32 s1, s0, s1
	v_dual_cndmask_b32 v12, v12, v21 :: v_dual_lshlrev_b32 v29, 2, v11
	s_delay_alu instid0(VALU_DEP_3) | instskip(SKIP_1) | instid1(VALU_DEP_3)
	v_dual_lshlrev_b32 v31, 2, v20 :: v_dual_lshlrev_b32 v30, 2, v15
	v_cmp_eq_u32_e32 vcc_lo, 31, v10
	v_lshlrev_b32_e32 v32, 2, v12
	s_branch .LBB345_7
.LBB345_5:                              ;   in Loop: Header=BB345_7 Depth=1
	s_wait_xcnt 0x0
	s_or_b32 exec_lo, exec_lo, s19
	global_store_b128 v[20:21], v[10:13], off
.LBB345_6:                              ;   in Loop: Header=BB345_7 Depth=1
	s_wait_xcnt 0x0
	s_or_b32 exec_lo, exec_lo, s0
	v_add_nc_u32_e32 v14, s17, v14
	s_delay_alu instid0(VALU_DEP_1) | instskip(SKIP_1) | instid1(SALU_CYCLE_1)
	v_cmp_le_i32_e64 s0, s16, v14
	s_or_b32 s18, s0, s18
	s_and_not1_b32 exec_lo, exec_lo, s18
	s_cbranch_execz .LBB345_14
.LBB345_7:                              ; =>This Loop Header: Depth=1
                                        ;     Child Loop BB345_9 Depth 2
	s_clause 0x1
	global_load_b64 v[10:11], v14, s[6:7] scale_offset
	global_load_b64 v[12:13], v14, s[4:5] scale_offset
	s_mov_b32 s19, exec_lo
	s_wait_loadcnt_dscnt 0x100
	v_sub_nc_u64_e64 v[20:21], v[10:11], s[12:13]
	s_wait_loadcnt 0x0
	v_add_nc_u64_e32 v[22:23], v[12:13], v[18:19]
	v_mov_b64_e32 v[10:11], 0
	v_mov_b64_e32 v[12:13], 0
	s_wait_xcnt 0x0
	s_delay_alu instid0(VALU_DEP_3)
	v_cmpx_lt_i64_e64 v[22:23], v[20:21]
	s_cbranch_execz .LBB345_11
; %bb.8:                                ;   in Loop: Header=BB345_7 Depth=1
	v_mov_b64_e32 v[10:11], 0
	v_mov_b64_e32 v[12:13], 0
	v_lshl_add_u64 v[24:25], v[22:23], 3, s[10:11]
	v_lshl_add_u64 v[26:27], v[22:23], 2, s[8:9]
	s_mov_b32 s20, 0
.LBB345_9:                              ;   Parent Loop BB345_7 Depth=1
                                        ; =>  This Inner Loop Header: Depth=2
	global_load_b32 v15, v[26:27], off
	global_load_b64 v[38:39], v[24:25], off
	v_add_nc_u64_e32 v[22:23], 32, v[22:23]
	s_wait_xcnt 0x0
	v_add_nc_u64_e32 v[24:25], 0x100, v[24:25]
	v_add_nc_u64_e32 v[26:27], 0x80, v[26:27]
	s_delay_alu instid0(VALU_DEP_3)
	v_cmp_ge_i64_e64 s0, v[22:23], v[20:21]
	s_or_b32 s20, s0, s20
	s_wait_loadcnt 0x1
	global_load_b128 v[34:37], v15, s[14:15] scale_offset
	s_wait_loadcnt 0x1
	v_fma_f64 v[40:41], v[2:3], v[38:39], v[0:1]
	v_fma_f64 v[38:39], v[4:5], v[38:39], v[16:17]
	s_wait_loadcnt 0x0
	s_delay_alu instid0(VALU_DEP_2) | instskip(NEXT) | instid1(VALU_DEP_2)
	v_fmac_f64_e32 v[12:13], v[40:41], v[34:35]
	v_fmac_f64_e32 v[10:11], v[38:39], v[34:35]
	s_delay_alu instid0(VALU_DEP_2) | instskip(NEXT) | instid1(VALU_DEP_2)
	v_fma_f64 v[12:13], -v[38:39], v[36:37], v[12:13]
	v_fmac_f64_e32 v[10:11], v[40:41], v[36:37]
	s_wait_xcnt 0x0
	s_and_not1_b32 exec_lo, exec_lo, s20
	s_cbranch_execnz .LBB345_9
; %bb.10:                               ;   in Loop: Header=BB345_7 Depth=1
	s_or_b32 exec_lo, exec_lo, s20
.LBB345_11:                             ;   in Loop: Header=BB345_7 Depth=1
	s_delay_alu instid0(SALU_CYCLE_1)
	s_or_b32 exec_lo, exec_lo, s19
	ds_bpermute_b32 v20, v28, v12
	ds_bpermute_b32 v21, v28, v13
	;; [unrolled: 1-line block ×4, first 2 shown]
	s_wait_dscnt 0x2
	v_dual_add_f64 v[12:13], v[12:13], v[20:21] :: v_dual_ashrrev_i32 v15, 31, v14
	s_wait_dscnt 0x0
	v_add_f64_e32 v[10:11], v[10:11], v[22:23]
	ds_bpermute_b32 v20, v29, v12
	ds_bpermute_b32 v21, v29, v13
	ds_bpermute_b32 v22, v29, v10
	ds_bpermute_b32 v23, v29, v11
	s_wait_dscnt 0x2
	v_add_f64_e32 v[12:13], v[12:13], v[20:21]
	s_wait_dscnt 0x0
	v_add_f64_e32 v[10:11], v[10:11], v[22:23]
	ds_bpermute_b32 v20, v30, v12
	ds_bpermute_b32 v21, v30, v13
	ds_bpermute_b32 v22, v30, v10
	ds_bpermute_b32 v23, v30, v11
	s_wait_dscnt 0x2
	v_add_f64_e32 v[12:13], v[12:13], v[20:21]
	;; [unrolled: 8-line block ×3, first 2 shown]
	s_wait_dscnt 0x0
	v_add_f64_e32 v[12:13], v[20:21], v[22:23]
	ds_bpermute_b32 v22, v32, v10
	ds_bpermute_b32 v23, v32, v11
	ds_bpermute_b32 v20, v32, v12
	ds_bpermute_b32 v21, v32, v13
	s_and_saveexec_b32 s0, vcc_lo
	s_cbranch_execz .LBB345_6
; %bb.12:                               ;   in Loop: Header=BB345_7 Depth=1
	s_wait_dscnt 0x2
	v_add_f64_e32 v[10:11], v[10:11], v[22:23]
	s_wait_dscnt 0x0
	v_add_f64_e32 v[12:13], v[12:13], v[20:21]
	v_lshl_add_u64 v[20:21], v[14:15], 4, s[2:3]
	s_and_saveexec_b32 s19, s1
	s_cbranch_execz .LBB345_5
; %bb.13:                               ;   in Loop: Header=BB345_7 Depth=1
	global_load_b128 v[22:25], v[20:21], off
	s_wait_loadcnt 0x0
	v_fmac_f64_e32 v[10:11], v[6:7], v[22:23]
	v_fmac_f64_e32 v[12:13], v[8:9], v[22:23]
	s_delay_alu instid0(VALU_DEP_2) | instskip(NEXT) | instid1(VALU_DEP_2)
	v_fma_f64 v[10:11], -v[8:9], v[24:25], v[10:11]
	v_fmac_f64_e32 v[12:13], v[6:7], v[24:25]
	s_branch .LBB345_5
.LBB345_14:
	s_endpgm
	.section	.rodata,"a",@progbits
	.p2align	6, 0x0
	.amdhsa_kernel _ZN9rocsparseL21csrmvn_general_kernelILj256ELj32Elid21rocsparse_complex_numIdES2_S2_EEvbT2_NS_24const_host_device_scalarIT6_EEPKT1_S9_PKS3_PKT3_PKT4_S6_PT5_21rocsparse_index_base_b
		.amdhsa_group_segment_fixed_size 0
		.amdhsa_private_segment_fixed_size 0
		.amdhsa_kernarg_size 352
		.amdhsa_user_sgpr_count 2
		.amdhsa_user_sgpr_dispatch_ptr 0
		.amdhsa_user_sgpr_queue_ptr 0
		.amdhsa_user_sgpr_kernarg_segment_ptr 1
		.amdhsa_user_sgpr_dispatch_id 0
		.amdhsa_user_sgpr_kernarg_preload_length 0
		.amdhsa_user_sgpr_kernarg_preload_offset 0
		.amdhsa_user_sgpr_private_segment_size 0
		.amdhsa_wavefront_size32 1
		.amdhsa_uses_dynamic_stack 0
		.amdhsa_enable_private_segment 0
		.amdhsa_system_sgpr_workgroup_id_x 1
		.amdhsa_system_sgpr_workgroup_id_y 0
		.amdhsa_system_sgpr_workgroup_id_z 0
		.amdhsa_system_sgpr_workgroup_info 0
		.amdhsa_system_vgpr_workitem_id 0
		.amdhsa_next_free_vgpr 42
		.amdhsa_next_free_sgpr 21
		.amdhsa_named_barrier_count 0
		.amdhsa_reserve_vcc 1
		.amdhsa_float_round_mode_32 0
		.amdhsa_float_round_mode_16_64 0
		.amdhsa_float_denorm_mode_32 3
		.amdhsa_float_denorm_mode_16_64 3
		.amdhsa_fp16_overflow 0
		.amdhsa_memory_ordered 1
		.amdhsa_forward_progress 1
		.amdhsa_inst_pref_size 9
		.amdhsa_round_robin_scheduling 0
		.amdhsa_exception_fp_ieee_invalid_op 0
		.amdhsa_exception_fp_denorm_src 0
		.amdhsa_exception_fp_ieee_div_zero 0
		.amdhsa_exception_fp_ieee_overflow 0
		.amdhsa_exception_fp_ieee_underflow 0
		.amdhsa_exception_fp_ieee_inexact 0
		.amdhsa_exception_int_div_zero 0
	.end_amdhsa_kernel
	.section	.text._ZN9rocsparseL21csrmvn_general_kernelILj256ELj32Elid21rocsparse_complex_numIdES2_S2_EEvbT2_NS_24const_host_device_scalarIT6_EEPKT1_S9_PKS3_PKT3_PKT4_S6_PT5_21rocsparse_index_base_b,"axG",@progbits,_ZN9rocsparseL21csrmvn_general_kernelILj256ELj32Elid21rocsparse_complex_numIdES2_S2_EEvbT2_NS_24const_host_device_scalarIT6_EEPKT1_S9_PKS3_PKT3_PKT4_S6_PT5_21rocsparse_index_base_b,comdat
.Lfunc_end345:
	.size	_ZN9rocsparseL21csrmvn_general_kernelILj256ELj32Elid21rocsparse_complex_numIdES2_S2_EEvbT2_NS_24const_host_device_scalarIT6_EEPKT1_S9_PKS3_PKT3_PKT4_S6_PT5_21rocsparse_index_base_b, .Lfunc_end345-_ZN9rocsparseL21csrmvn_general_kernelILj256ELj32Elid21rocsparse_complex_numIdES2_S2_EEvbT2_NS_24const_host_device_scalarIT6_EEPKT1_S9_PKS3_PKT3_PKT4_S6_PT5_21rocsparse_index_base_b
                                        ; -- End function
	.set _ZN9rocsparseL21csrmvn_general_kernelILj256ELj32Elid21rocsparse_complex_numIdES2_S2_EEvbT2_NS_24const_host_device_scalarIT6_EEPKT1_S9_PKS3_PKT3_PKT4_S6_PT5_21rocsparse_index_base_b.num_vgpr, 42
	.set _ZN9rocsparseL21csrmvn_general_kernelILj256ELj32Elid21rocsparse_complex_numIdES2_S2_EEvbT2_NS_24const_host_device_scalarIT6_EEPKT1_S9_PKS3_PKT3_PKT4_S6_PT5_21rocsparse_index_base_b.num_agpr, 0
	.set _ZN9rocsparseL21csrmvn_general_kernelILj256ELj32Elid21rocsparse_complex_numIdES2_S2_EEvbT2_NS_24const_host_device_scalarIT6_EEPKT1_S9_PKS3_PKT3_PKT4_S6_PT5_21rocsparse_index_base_b.numbered_sgpr, 21
	.set _ZN9rocsparseL21csrmvn_general_kernelILj256ELj32Elid21rocsparse_complex_numIdES2_S2_EEvbT2_NS_24const_host_device_scalarIT6_EEPKT1_S9_PKS3_PKT3_PKT4_S6_PT5_21rocsparse_index_base_b.num_named_barrier, 0
	.set _ZN9rocsparseL21csrmvn_general_kernelILj256ELj32Elid21rocsparse_complex_numIdES2_S2_EEvbT2_NS_24const_host_device_scalarIT6_EEPKT1_S9_PKS3_PKT3_PKT4_S6_PT5_21rocsparse_index_base_b.private_seg_size, 0
	.set _ZN9rocsparseL21csrmvn_general_kernelILj256ELj32Elid21rocsparse_complex_numIdES2_S2_EEvbT2_NS_24const_host_device_scalarIT6_EEPKT1_S9_PKS3_PKT3_PKT4_S6_PT5_21rocsparse_index_base_b.uses_vcc, 1
	.set _ZN9rocsparseL21csrmvn_general_kernelILj256ELj32Elid21rocsparse_complex_numIdES2_S2_EEvbT2_NS_24const_host_device_scalarIT6_EEPKT1_S9_PKS3_PKT3_PKT4_S6_PT5_21rocsparse_index_base_b.uses_flat_scratch, 0
	.set _ZN9rocsparseL21csrmvn_general_kernelILj256ELj32Elid21rocsparse_complex_numIdES2_S2_EEvbT2_NS_24const_host_device_scalarIT6_EEPKT1_S9_PKS3_PKT3_PKT4_S6_PT5_21rocsparse_index_base_b.has_dyn_sized_stack, 0
	.set _ZN9rocsparseL21csrmvn_general_kernelILj256ELj32Elid21rocsparse_complex_numIdES2_S2_EEvbT2_NS_24const_host_device_scalarIT6_EEPKT1_S9_PKS3_PKT3_PKT4_S6_PT5_21rocsparse_index_base_b.has_recursion, 0
	.set _ZN9rocsparseL21csrmvn_general_kernelILj256ELj32Elid21rocsparse_complex_numIdES2_S2_EEvbT2_NS_24const_host_device_scalarIT6_EEPKT1_S9_PKS3_PKT3_PKT4_S6_PT5_21rocsparse_index_base_b.has_indirect_call, 0
	.section	.AMDGPU.csdata,"",@progbits
; Kernel info:
; codeLenInByte = 1132
; TotalNumSgprs: 23
; NumVgprs: 42
; ScratchSize: 0
; MemoryBound: 0
; FloatMode: 240
; IeeeMode: 1
; LDSByteSize: 0 bytes/workgroup (compile time only)
; SGPRBlocks: 0
; VGPRBlocks: 2
; NumSGPRsForWavesPerEU: 23
; NumVGPRsForWavesPerEU: 42
; NamedBarCnt: 0
; Occupancy: 16
; WaveLimiterHint : 1
; COMPUTE_PGM_RSRC2:SCRATCH_EN: 0
; COMPUTE_PGM_RSRC2:USER_SGPR: 2
; COMPUTE_PGM_RSRC2:TRAP_HANDLER: 0
; COMPUTE_PGM_RSRC2:TGID_X_EN: 1
; COMPUTE_PGM_RSRC2:TGID_Y_EN: 0
; COMPUTE_PGM_RSRC2:TGID_Z_EN: 0
; COMPUTE_PGM_RSRC2:TIDIG_COMP_CNT: 0
	.section	.text._ZN9rocsparseL21csrmvn_general_kernelILj256ELj64Elid21rocsparse_complex_numIdES2_S2_EEvbT2_NS_24const_host_device_scalarIT6_EEPKT1_S9_PKS3_PKT3_PKT4_S6_PT5_21rocsparse_index_base_b,"axG",@progbits,_ZN9rocsparseL21csrmvn_general_kernelILj256ELj64Elid21rocsparse_complex_numIdES2_S2_EEvbT2_NS_24const_host_device_scalarIT6_EEPKT1_S9_PKS3_PKT3_PKT4_S6_PT5_21rocsparse_index_base_b,comdat
	.globl	_ZN9rocsparseL21csrmvn_general_kernelILj256ELj64Elid21rocsparse_complex_numIdES2_S2_EEvbT2_NS_24const_host_device_scalarIT6_EEPKT1_S9_PKS3_PKT3_PKT4_S6_PT5_21rocsparse_index_base_b ; -- Begin function _ZN9rocsparseL21csrmvn_general_kernelILj256ELj64Elid21rocsparse_complex_numIdES2_S2_EEvbT2_NS_24const_host_device_scalarIT6_EEPKT1_S9_PKS3_PKT3_PKT4_S6_PT5_21rocsparse_index_base_b
	.p2align	8
	.type	_ZN9rocsparseL21csrmvn_general_kernelILj256ELj64Elid21rocsparse_complex_numIdES2_S2_EEvbT2_NS_24const_host_device_scalarIT6_EEPKT1_S9_PKS3_PKT3_PKT4_S6_PT5_21rocsparse_index_base_b,@function
_ZN9rocsparseL21csrmvn_general_kernelILj256ELj64Elid21rocsparse_complex_numIdES2_S2_EEvbT2_NS_24const_host_device_scalarIT6_EEPKT1_S9_PKS3_PKT3_PKT4_S6_PT5_21rocsparse_index_base_b: ; @_ZN9rocsparseL21csrmvn_general_kernelILj256ELj64Elid21rocsparse_complex_numIdES2_S2_EEvbT2_NS_24const_host_device_scalarIT6_EEPKT1_S9_PKS3_PKT3_PKT4_S6_PT5_21rocsparse_index_base_b
; %bb.0:
	s_clause 0x1
	s_load_b64 s[12:13], s[0:1], 0x58
	s_load_b64 s[2:3], s[0:1], 0x8
	v_mov_b32_e32 v1, 0
	s_add_nc_u64 s[4:5], s[0:1], 8
	s_load_b64 s[6:7], s[0:1], 0x40
	s_wait_kmcnt 0x0
	s_bitcmp1_b32 s13, 0
	s_cselect_b32 s3, s5, s3
	s_cselect_b32 s2, s4, s2
	flat_load_b128 v[2:5], v1, s[2:3]
	s_wait_xcnt 0x0
	s_add_nc_u64 s[2:3], s[0:1], 64
	s_delay_alu instid0(SALU_CYCLE_1)
	s_cselect_b32 s3, s3, s7
	s_cselect_b32 s2, s2, s6
	flat_load_b128 v[6:9], v1, s[2:3]
	s_wait_loadcnt_dscnt 0x101
	v_cmp_eq_f64_e32 vcc_lo, 0, v[2:3]
	s_wait_xcnt 0x0
	v_cmp_eq_f64_e64 s2, 0, v[4:5]
	s_and_b32 s4, vcc_lo, s2
	s_mov_b32 s2, -1
	s_and_saveexec_b32 s3, s4
	s_cbranch_execz .LBB346_2
; %bb.1:
	s_wait_loadcnt_dscnt 0x0
	v_cmp_neq_f64_e32 vcc_lo, 1.0, v[6:7]
	v_cmp_neq_f64_e64 s2, 0, v[8:9]
	s_or_b32 s2, vcc_lo, s2
	s_delay_alu instid0(SALU_CYCLE_1)
	s_or_not1_b32 s2, s2, exec_lo
.LBB346_2:
	s_or_b32 exec_lo, exec_lo, s3
	s_and_saveexec_b32 s3, s2
	s_cbranch_execz .LBB346_14
; %bb.3:
	s_bfe_u32 s2, ttmp6, 0x4000c
	s_load_b32 s18, s[0:1], 0x4
	s_add_co_i32 s2, s2, 1
	s_and_b32 s3, ttmp6, 15
	s_mul_i32 s2, ttmp9, s2
	s_getreg_b32 s4, hwreg(HW_REG_IB_STS2, 6, 4)
	s_add_co_i32 s3, s3, s2
	s_cmp_eq_u32 s4, 0
	s_mov_b32 s13, 0
	s_cselect_b32 s2, ttmp9, s3
	s_delay_alu instid0(SALU_CYCLE_1) | instskip(NEXT) | instid1(VALU_DEP_1)
	v_lshl_or_b32 v1, s2, 8, v0
	v_lshrrev_b32_e32 v14, 6, v1
	s_wait_kmcnt 0x0
	s_delay_alu instid0(VALU_DEP_1)
	v_cmp_gt_i32_e32 vcc_lo, s18, v14
	s_and_b32 exec_lo, exec_lo, vcc_lo
	s_cbranch_execz .LBB346_14
; %bb.4:
	v_mbcnt_lo_u32_b32 v12, -1, 0
	v_dual_mul_f64 v[16:17], 0, v[2:3] :: v_dual_bitop2_b32 v10, 63, v0 bitop3:0x40
	v_mov_b32_e32 v11, 0
	s_wait_loadcnt_dscnt 0x0
	v_cmp_neq_f64_e64 s2, 0, v[6:7]
	v_or_b32_e32 v13, 32, v12
	v_cmp_neq_f64_e64 s3, 0, v[8:9]
	v_mul_f64_e32 v[0:1], 0x80000000, v[4:5]
	v_sub_nc_u64_e64 v[18:19], v[10:11], s[12:13]
	s_clause 0x1
	s_load_b32 s19, s[0:1], 0x60
	s_load_b256 s[4:11], s[0:1], 0x18
	v_cmp_gt_i32_e32 vcc_lo, 32, v13
	s_clause 0x1
	s_load_b64 s[14:15], s[0:1], 0x50
	s_load_b64 s[20:21], s[0:1], 0x38
	s_ashr_i32 s17, s12, 31
	s_mov_b32 s16, s12
	v_dual_cndmask_b32 v13, v12, v13, vcc_lo :: v_dual_bitop2_b32 v15, 16, v12 bitop3:0x14
	s_lshl_b64 s[16:17], s[16:17], 4
	v_xor_b32_e32 v11, 8, v12
	s_delay_alu instid0(VALU_DEP_2) | instskip(NEXT) | instid1(VALU_DEP_3)
	v_cmp_gt_i32_e32 vcc_lo, 32, v15
	v_dual_cndmask_b32 v13, v12, v15 :: v_dual_lshlrev_b32 v28, 2, v13
	v_xor_b32_e32 v15, 4, v12
	s_delay_alu instid0(VALU_DEP_4)
	v_cmp_gt_i32_e32 vcc_lo, 32, v11
	v_xor_b32_e32 v20, 2, v12
	s_wait_kmcnt 0x0
	s_lshl_b32 s1, s19, 2
	s_sub_nc_u64 s[16:17], s[20:21], s[16:17]
	v_cndmask_b32_e32 v11, v12, v11, vcc_lo
	v_cmp_gt_i32_e32 vcc_lo, 32, v15
	v_dual_lshlrev_b32 v29, 2, v13 :: v_dual_bitop2_b32 v21, 1, v12 bitop3:0x14
	s_delay_alu instid0(VALU_DEP_3)
	v_lshlrev_b32_e32 v30, 2, v11
	v_cndmask_b32_e32 v15, v12, v15, vcc_lo
	v_cmp_gt_i32_e32 vcc_lo, 32, v20
	s_or_b32 s2, s2, s3
	s_mov_b32 s3, s13
	v_cndmask_b32_e32 v20, v12, v20, vcc_lo
	v_cmp_gt_i32_e32 vcc_lo, 32, v21
	v_dual_cndmask_b32 v12, v12, v21 :: v_dual_lshlrev_b32 v31, 2, v15
	s_delay_alu instid0(VALU_DEP_3) | instskip(SKIP_1) | instid1(VALU_DEP_3)
	v_lshlrev_b32_e32 v32, 2, v20
	v_cmp_eq_u32_e32 vcc_lo, 63, v10
	v_lshlrev_b32_e32 v33, 2, v12
	s_branch .LBB346_7
.LBB346_5:                              ;   in Loop: Header=BB346_7 Depth=1
	s_wait_xcnt 0x0
	s_or_b32 exec_lo, exec_lo, s19
	global_store_b128 v[20:21], v[10:13], off
.LBB346_6:                              ;   in Loop: Header=BB346_7 Depth=1
	s_wait_xcnt 0x0
	s_or_b32 exec_lo, exec_lo, s0
	v_add_nc_u32_e32 v14, s1, v14
	s_delay_alu instid0(VALU_DEP_1) | instskip(SKIP_1) | instid1(SALU_CYCLE_1)
	v_cmp_le_i32_e64 s0, s18, v14
	s_or_b32 s3, s0, s3
	s_and_not1_b32 exec_lo, exec_lo, s3
	s_cbranch_execz .LBB346_14
.LBB346_7:                              ; =>This Loop Header: Depth=1
                                        ;     Child Loop BB346_9 Depth 2
	s_clause 0x1
	global_load_b64 v[10:11], v14, s[6:7] scale_offset
	global_load_b64 v[12:13], v14, s[4:5] scale_offset
	s_mov_b32 s19, exec_lo
	s_wait_loadcnt_dscnt 0x100
	v_sub_nc_u64_e64 v[20:21], v[10:11], s[12:13]
	s_wait_loadcnt 0x0
	v_add_nc_u64_e32 v[22:23], v[12:13], v[18:19]
	v_mov_b64_e32 v[10:11], 0
	v_mov_b64_e32 v[12:13], 0
	s_wait_xcnt 0x0
	s_delay_alu instid0(VALU_DEP_3)
	v_cmpx_lt_i64_e64 v[22:23], v[20:21]
	s_cbranch_execz .LBB346_11
; %bb.8:                                ;   in Loop: Header=BB346_7 Depth=1
	v_mov_b64_e32 v[10:11], 0
	v_mov_b64_e32 v[12:13], 0
	v_lshl_add_u64 v[24:25], v[22:23], 3, s[10:11]
	v_lshl_add_u64 v[26:27], v[22:23], 2, s[8:9]
	s_mov_b32 s20, 0
.LBB346_9:                              ;   Parent Loop BB346_7 Depth=1
                                        ; =>  This Inner Loop Header: Depth=2
	global_load_b32 v15, v[26:27], off
	global_load_b64 v[38:39], v[24:25], off
	v_add_nc_u64_e32 v[22:23], 64, v[22:23]
	s_wait_xcnt 0x0
	v_add_nc_u64_e32 v[24:25], 0x200, v[24:25]
	v_add_nc_u64_e32 v[26:27], 0x100, v[26:27]
	s_delay_alu instid0(VALU_DEP_3)
	v_cmp_ge_i64_e64 s0, v[22:23], v[20:21]
	s_or_b32 s20, s0, s20
	s_wait_loadcnt 0x1
	global_load_b128 v[34:37], v15, s[16:17] scale_offset
	s_wait_loadcnt 0x1
	v_fma_f64 v[40:41], v[2:3], v[38:39], v[0:1]
	v_fma_f64 v[38:39], v[4:5], v[38:39], v[16:17]
	s_wait_loadcnt 0x0
	s_delay_alu instid0(VALU_DEP_2) | instskip(NEXT) | instid1(VALU_DEP_2)
	v_fmac_f64_e32 v[12:13], v[40:41], v[34:35]
	v_fmac_f64_e32 v[10:11], v[38:39], v[34:35]
	s_delay_alu instid0(VALU_DEP_2) | instskip(NEXT) | instid1(VALU_DEP_2)
	v_fma_f64 v[12:13], -v[38:39], v[36:37], v[12:13]
	v_fmac_f64_e32 v[10:11], v[40:41], v[36:37]
	s_wait_xcnt 0x0
	s_and_not1_b32 exec_lo, exec_lo, s20
	s_cbranch_execnz .LBB346_9
; %bb.10:                               ;   in Loop: Header=BB346_7 Depth=1
	s_or_b32 exec_lo, exec_lo, s20
.LBB346_11:                             ;   in Loop: Header=BB346_7 Depth=1
	s_delay_alu instid0(SALU_CYCLE_1)
	s_or_b32 exec_lo, exec_lo, s19
	ds_bpermute_b32 v20, v28, v12
	ds_bpermute_b32 v21, v28, v13
	ds_bpermute_b32 v22, v28, v10
	ds_bpermute_b32 v23, v28, v11
	s_wait_dscnt 0x2
	v_dual_add_f64 v[12:13], v[12:13], v[20:21] :: v_dual_ashrrev_i32 v15, 31, v14
	s_wait_dscnt 0x0
	v_add_f64_e32 v[10:11], v[10:11], v[22:23]
	ds_bpermute_b32 v20, v29, v12
	ds_bpermute_b32 v21, v29, v13
	ds_bpermute_b32 v22, v29, v10
	ds_bpermute_b32 v23, v29, v11
	s_wait_dscnt 0x2
	v_add_f64_e32 v[12:13], v[12:13], v[20:21]
	s_wait_dscnt 0x0
	v_add_f64_e32 v[10:11], v[10:11], v[22:23]
	ds_bpermute_b32 v20, v30, v12
	ds_bpermute_b32 v21, v30, v13
	ds_bpermute_b32 v22, v30, v10
	ds_bpermute_b32 v23, v30, v11
	s_wait_dscnt 0x2
	v_add_f64_e32 v[12:13], v[12:13], v[20:21]
	;; [unrolled: 8-line block ×4, first 2 shown]
	s_wait_dscnt 0x0
	v_add_f64_e32 v[12:13], v[20:21], v[22:23]
	ds_bpermute_b32 v22, v33, v10
	ds_bpermute_b32 v23, v33, v11
	;; [unrolled: 1-line block ×4, first 2 shown]
	s_and_saveexec_b32 s0, vcc_lo
	s_cbranch_execz .LBB346_6
; %bb.12:                               ;   in Loop: Header=BB346_7 Depth=1
	s_wait_dscnt 0x2
	v_add_f64_e32 v[10:11], v[10:11], v[22:23]
	s_wait_dscnt 0x0
	v_add_f64_e32 v[12:13], v[12:13], v[20:21]
	v_lshl_add_u64 v[20:21], v[14:15], 4, s[14:15]
	s_and_saveexec_b32 s19, s2
	s_cbranch_execz .LBB346_5
; %bb.13:                               ;   in Loop: Header=BB346_7 Depth=1
	global_load_b128 v[22:25], v[20:21], off
	s_wait_loadcnt 0x0
	v_fmac_f64_e32 v[10:11], v[6:7], v[22:23]
	v_fmac_f64_e32 v[12:13], v[8:9], v[22:23]
	s_delay_alu instid0(VALU_DEP_2) | instskip(NEXT) | instid1(VALU_DEP_2)
	v_fma_f64 v[10:11], -v[8:9], v[24:25], v[10:11]
	v_fmac_f64_e32 v[12:13], v[6:7], v[24:25]
	s_branch .LBB346_5
.LBB346_14:
	s_endpgm
	.section	.rodata,"a",@progbits
	.p2align	6, 0x0
	.amdhsa_kernel _ZN9rocsparseL21csrmvn_general_kernelILj256ELj64Elid21rocsparse_complex_numIdES2_S2_EEvbT2_NS_24const_host_device_scalarIT6_EEPKT1_S9_PKS3_PKT3_PKT4_S6_PT5_21rocsparse_index_base_b
		.amdhsa_group_segment_fixed_size 0
		.amdhsa_private_segment_fixed_size 0
		.amdhsa_kernarg_size 352
		.amdhsa_user_sgpr_count 2
		.amdhsa_user_sgpr_dispatch_ptr 0
		.amdhsa_user_sgpr_queue_ptr 0
		.amdhsa_user_sgpr_kernarg_segment_ptr 1
		.amdhsa_user_sgpr_dispatch_id 0
		.amdhsa_user_sgpr_kernarg_preload_length 0
		.amdhsa_user_sgpr_kernarg_preload_offset 0
		.amdhsa_user_sgpr_private_segment_size 0
		.amdhsa_wavefront_size32 1
		.amdhsa_uses_dynamic_stack 0
		.amdhsa_enable_private_segment 0
		.amdhsa_system_sgpr_workgroup_id_x 1
		.amdhsa_system_sgpr_workgroup_id_y 0
		.amdhsa_system_sgpr_workgroup_id_z 0
		.amdhsa_system_sgpr_workgroup_info 0
		.amdhsa_system_vgpr_workitem_id 0
		.amdhsa_next_free_vgpr 42
		.amdhsa_next_free_sgpr 22
		.amdhsa_named_barrier_count 0
		.amdhsa_reserve_vcc 1
		.amdhsa_float_round_mode_32 0
		.amdhsa_float_round_mode_16_64 0
		.amdhsa_float_denorm_mode_32 3
		.amdhsa_float_denorm_mode_16_64 3
		.amdhsa_fp16_overflow 0
		.amdhsa_memory_ordered 1
		.amdhsa_forward_progress 1
		.amdhsa_inst_pref_size 10
		.amdhsa_round_robin_scheduling 0
		.amdhsa_exception_fp_ieee_invalid_op 0
		.amdhsa_exception_fp_denorm_src 0
		.amdhsa_exception_fp_ieee_div_zero 0
		.amdhsa_exception_fp_ieee_overflow 0
		.amdhsa_exception_fp_ieee_underflow 0
		.amdhsa_exception_fp_ieee_inexact 0
		.amdhsa_exception_int_div_zero 0
	.end_amdhsa_kernel
	.section	.text._ZN9rocsparseL21csrmvn_general_kernelILj256ELj64Elid21rocsparse_complex_numIdES2_S2_EEvbT2_NS_24const_host_device_scalarIT6_EEPKT1_S9_PKS3_PKT3_PKT4_S6_PT5_21rocsparse_index_base_b,"axG",@progbits,_ZN9rocsparseL21csrmvn_general_kernelILj256ELj64Elid21rocsparse_complex_numIdES2_S2_EEvbT2_NS_24const_host_device_scalarIT6_EEPKT1_S9_PKS3_PKT3_PKT4_S6_PT5_21rocsparse_index_base_b,comdat
.Lfunc_end346:
	.size	_ZN9rocsparseL21csrmvn_general_kernelILj256ELj64Elid21rocsparse_complex_numIdES2_S2_EEvbT2_NS_24const_host_device_scalarIT6_EEPKT1_S9_PKS3_PKT3_PKT4_S6_PT5_21rocsparse_index_base_b, .Lfunc_end346-_ZN9rocsparseL21csrmvn_general_kernelILj256ELj64Elid21rocsparse_complex_numIdES2_S2_EEvbT2_NS_24const_host_device_scalarIT6_EEPKT1_S9_PKS3_PKT3_PKT4_S6_PT5_21rocsparse_index_base_b
                                        ; -- End function
	.set _ZN9rocsparseL21csrmvn_general_kernelILj256ELj64Elid21rocsparse_complex_numIdES2_S2_EEvbT2_NS_24const_host_device_scalarIT6_EEPKT1_S9_PKS3_PKT3_PKT4_S6_PT5_21rocsparse_index_base_b.num_vgpr, 42
	.set _ZN9rocsparseL21csrmvn_general_kernelILj256ELj64Elid21rocsparse_complex_numIdES2_S2_EEvbT2_NS_24const_host_device_scalarIT6_EEPKT1_S9_PKS3_PKT3_PKT4_S6_PT5_21rocsparse_index_base_b.num_agpr, 0
	.set _ZN9rocsparseL21csrmvn_general_kernelILj256ELj64Elid21rocsparse_complex_numIdES2_S2_EEvbT2_NS_24const_host_device_scalarIT6_EEPKT1_S9_PKS3_PKT3_PKT4_S6_PT5_21rocsparse_index_base_b.numbered_sgpr, 22
	.set _ZN9rocsparseL21csrmvn_general_kernelILj256ELj64Elid21rocsparse_complex_numIdES2_S2_EEvbT2_NS_24const_host_device_scalarIT6_EEPKT1_S9_PKS3_PKT3_PKT4_S6_PT5_21rocsparse_index_base_b.num_named_barrier, 0
	.set _ZN9rocsparseL21csrmvn_general_kernelILj256ELj64Elid21rocsparse_complex_numIdES2_S2_EEvbT2_NS_24const_host_device_scalarIT6_EEPKT1_S9_PKS3_PKT3_PKT4_S6_PT5_21rocsparse_index_base_b.private_seg_size, 0
	.set _ZN9rocsparseL21csrmvn_general_kernelILj256ELj64Elid21rocsparse_complex_numIdES2_S2_EEvbT2_NS_24const_host_device_scalarIT6_EEPKT1_S9_PKS3_PKT3_PKT4_S6_PT5_21rocsparse_index_base_b.uses_vcc, 1
	.set _ZN9rocsparseL21csrmvn_general_kernelILj256ELj64Elid21rocsparse_complex_numIdES2_S2_EEvbT2_NS_24const_host_device_scalarIT6_EEPKT1_S9_PKS3_PKT3_PKT4_S6_PT5_21rocsparse_index_base_b.uses_flat_scratch, 0
	.set _ZN9rocsparseL21csrmvn_general_kernelILj256ELj64Elid21rocsparse_complex_numIdES2_S2_EEvbT2_NS_24const_host_device_scalarIT6_EEPKT1_S9_PKS3_PKT3_PKT4_S6_PT5_21rocsparse_index_base_b.has_dyn_sized_stack, 0
	.set _ZN9rocsparseL21csrmvn_general_kernelILj256ELj64Elid21rocsparse_complex_numIdES2_S2_EEvbT2_NS_24const_host_device_scalarIT6_EEPKT1_S9_PKS3_PKT3_PKT4_S6_PT5_21rocsparse_index_base_b.has_recursion, 0
	.set _ZN9rocsparseL21csrmvn_general_kernelILj256ELj64Elid21rocsparse_complex_numIdES2_S2_EEvbT2_NS_24const_host_device_scalarIT6_EEPKT1_S9_PKS3_PKT3_PKT4_S6_PT5_21rocsparse_index_base_b.has_indirect_call, 0
	.section	.AMDGPU.csdata,"",@progbits
; Kernel info:
; codeLenInByte = 1204
; TotalNumSgprs: 24
; NumVgprs: 42
; ScratchSize: 0
; MemoryBound: 0
; FloatMode: 240
; IeeeMode: 1
; LDSByteSize: 0 bytes/workgroup (compile time only)
; SGPRBlocks: 0
; VGPRBlocks: 2
; NumSGPRsForWavesPerEU: 24
; NumVGPRsForWavesPerEU: 42
; NamedBarCnt: 0
; Occupancy: 16
; WaveLimiterHint : 1
; COMPUTE_PGM_RSRC2:SCRATCH_EN: 0
; COMPUTE_PGM_RSRC2:USER_SGPR: 2
; COMPUTE_PGM_RSRC2:TRAP_HANDLER: 0
; COMPUTE_PGM_RSRC2:TGID_X_EN: 1
; COMPUTE_PGM_RSRC2:TGID_Y_EN: 0
; COMPUTE_PGM_RSRC2:TGID_Z_EN: 0
; COMPUTE_PGM_RSRC2:TIDIG_COMP_CNT: 0
	.section	.text._ZN9rocsparseL21csrmvt_general_kernelILj256ELj4Elid21rocsparse_complex_numIdES2_S2_EEvbbT2_NS_24const_host_device_scalarIT6_EEPKT1_S9_PKS3_PKT3_PKT4_PT5_21rocsparse_index_base_b,"axG",@progbits,_ZN9rocsparseL21csrmvt_general_kernelILj256ELj4Elid21rocsparse_complex_numIdES2_S2_EEvbbT2_NS_24const_host_device_scalarIT6_EEPKT1_S9_PKS3_PKT3_PKT4_PT5_21rocsparse_index_base_b,comdat
	.globl	_ZN9rocsparseL21csrmvt_general_kernelILj256ELj4Elid21rocsparse_complex_numIdES2_S2_EEvbbT2_NS_24const_host_device_scalarIT6_EEPKT1_S9_PKS3_PKT3_PKT4_PT5_21rocsparse_index_base_b ; -- Begin function _ZN9rocsparseL21csrmvt_general_kernelILj256ELj4Elid21rocsparse_complex_numIdES2_S2_EEvbbT2_NS_24const_host_device_scalarIT6_EEPKT1_S9_PKS3_PKT3_PKT4_PT5_21rocsparse_index_base_b
	.p2align	8
	.type	_ZN9rocsparseL21csrmvt_general_kernelILj256ELj4Elid21rocsparse_complex_numIdES2_S2_EEvbbT2_NS_24const_host_device_scalarIT6_EEPKT1_S9_PKS3_PKT3_PKT4_PT5_21rocsparse_index_base_b,@function
_ZN9rocsparseL21csrmvt_general_kernelILj256ELj4Elid21rocsparse_complex_numIdES2_S2_EEvbbT2_NS_24const_host_device_scalarIT6_EEPKT1_S9_PKS3_PKT3_PKT4_PT5_21rocsparse_index_base_b: ; @_ZN9rocsparseL21csrmvt_general_kernelILj256ELj4Elid21rocsparse_complex_numIdES2_S2_EEvbbT2_NS_24const_host_device_scalarIT6_EEPKT1_S9_PKS3_PKT3_PKT4_PT5_21rocsparse_index_base_b
; %bb.0:
	s_clause 0x1
	s_load_b64 s[16:17], s[0:1], 0x48
	s_load_b64 s[2:3], s[0:1], 0x8
	v_mov_b32_e32 v1, 0
	s_add_nc_u64 s[4:5], s[0:1], 8
	s_wait_kmcnt 0x0
	s_bitcmp1_b32 s17, 0
	s_cselect_b32 s3, s5, s3
	s_cselect_b32 s2, s4, s2
	flat_load_b128 v[2:5], v1, s[2:3]
	s_wait_loadcnt_dscnt 0x0
	v_cmp_neq_f64_e32 vcc_lo, 0, v[2:3]
	v_cmp_neq_f64_e64 s2, 0, v[4:5]
	s_or_b32 s2, vcc_lo, s2
	s_delay_alu instid0(SALU_CYCLE_1)
	s_and_saveexec_b32 s3, s2
	s_cbranch_execz .LBB347_18
; %bb.1:
	s_clause 0x3
	s_load_b64 s[2:3], s[0:1], 0x0
	s_load_b32 s17, s[0:1], 0x50
	s_load_b128 s[12:15], s[0:1], 0x38
	s_load_b256 s[4:11], s[0:1], 0x18
	s_wait_xcnt 0x0
	s_bfe_u32 s0, ttmp6, 0x4000c
	s_and_b32 s18, ttmp6, 15
	s_add_co_i32 s0, s0, 1
	s_getreg_b32 s19, hwreg(HW_REG_IB_STS2, 6, 4)
	s_mul_i32 s0, ttmp9, s0
	s_delay_alu instid0(SALU_CYCLE_1)
	s_add_co_i32 s18, s18, s0
	s_wait_kmcnt 0x0
	s_and_b32 s2, s2, 1
	s_lshl_b32 s1, s17, 6
	s_cmp_eq_u32 s19, 0
	s_cselect_b32 s0, ttmp9, s18
	s_cmp_eq_u32 s2, 0
	v_lshl_or_b32 v1, s0, 8, v0
	s_mov_b32 s2, -1
	s_delay_alu instid0(VALU_DEP_1) | instskip(NEXT) | instid1(VALU_DEP_1)
	v_dual_lshrrev_b32 v6, 2, v1 :: v_dual_bitop2_b32 v0, 3, v0 bitop3:0x40
	v_cmp_gt_i32_e64 s0, s3, v6
	s_cbranch_scc0 .LBB347_9
; %bb.2:
	s_and_saveexec_b32 s2, s0
	s_cbranch_execz .LBB347_8
; %bb.3:
	v_dual_mov_b32 v1, 0 :: v_dual_mov_b32 v10, v6
	s_mov_b32 s17, 0
	s_delay_alu instid0(SALU_CYCLE_1) | instskip(NEXT) | instid1(VALU_DEP_1)
	s_mov_b32 s18, s17
	v_sub_nc_u64_e64 v[8:9], v[0:1], s[16:17]
	s_branch .LBB347_5
.LBB347_4:                              ;   in Loop: Header=BB347_5 Depth=1
	s_or_b32 exec_lo, exec_lo, s19
	v_add_nc_u32_e32 v10, s1, v10
	s_delay_alu instid0(VALU_DEP_1) | instskip(SKIP_1) | instid1(SALU_CYCLE_1)
	v_cmp_le_i32_e32 vcc_lo, s3, v10
	s_or_b32 s18, vcc_lo, s18
	s_and_not1_b32 exec_lo, exec_lo, s18
	s_cbranch_execz .LBB347_8
.LBB347_5:                              ; =>This Loop Header: Depth=1
                                        ;     Child Loop BB347_7 Depth 2
	s_clause 0x1
	global_load_b64 v[12:13], v10, s[6:7] scale_offset
	global_load_b64 v[14:15], v10, s[4:5] scale_offset
	s_mov_b32 s19, exec_lo
	s_wait_loadcnt 0x1
	v_sub_nc_u64_e64 v[12:13], v[12:13], s[16:17]
	s_wait_loadcnt 0x0
	v_add_nc_u64_e32 v[14:15], v[14:15], v[8:9]
	s_wait_xcnt 0x0
	s_delay_alu instid0(VALU_DEP_1)
	v_cmpx_lt_i64_e64 v[14:15], v[12:13]
	s_cbranch_execz .LBB347_4
; %bb.6:                                ;   in Loop: Header=BB347_5 Depth=1
	v_ashrrev_i32_e32 v11, 31, v10
	v_lshl_add_u64 v[24:25], v[14:15], 2, s[8:9]
	v_lshl_add_u64 v[26:27], v[14:15], 3, s[10:11]
	s_mov_b32 s20, 0
	s_delay_alu instid0(VALU_DEP_3)
	v_lshl_add_u64 v[16:17], v[10:11], 4, s[12:13]
	global_load_b128 v[20:23], v[16:17], off
	s_wait_loadcnt 0x0
	s_wait_xcnt 0x0
	v_mul_f64_e32 v[16:17], v[2:3], v[22:23]
	v_mul_f64_e64 v[18:19], v[22:23], -v[4:5]
	s_delay_alu instid0(VALU_DEP_2) | instskip(NEXT) | instid1(VALU_DEP_2)
	v_fmac_f64_e32 v[16:17], v[4:5], v[20:21]
	v_fmac_f64_e32 v[18:19], v[2:3], v[20:21]
	s_delay_alu instid0(VALU_DEP_2) | instskip(NEXT) | instid1(VALU_DEP_2)
	v_mul_f64_e32 v[20:21], 0x80000000, v[16:17]
	v_mul_f64_e32 v[22:23], 0, v[18:19]
.LBB347_7:                              ;   Parent Loop BB347_5 Depth=1
                                        ; =>  This Inner Loop Header: Depth=2
	global_load_b64 v[28:29], v[26:27], off
	global_load_b32 v1, v[24:25], off
	v_add_nc_u64_e32 v[14:15], 4, v[14:15]
	s_wait_xcnt 0x0
	v_add_nc_u64_e32 v[24:25], 16, v[24:25]
	v_add_nc_u64_e32 v[26:27], 32, v[26:27]
	s_delay_alu instid0(VALU_DEP_3)
	v_cmp_ge_i64_e32 vcc_lo, v[14:15], v[12:13]
	s_or_b32 s20, vcc_lo, s20
	s_wait_loadcnt 0x1
	v_fma_f64 v[30:31], v[18:19], v[28:29], v[20:21]
	v_fma_f64 v[28:29], v[16:17], v[28:29], v[22:23]
	s_wait_loadcnt 0x0
	v_subrev_nc_u32_e32 v32, s16, v1
	s_delay_alu instid0(VALU_DEP_1) | instskip(NEXT) | instid1(VALU_DEP_1)
	v_ashrrev_i32_e32 v33, 31, v32
	v_lshl_add_u64 v[32:33], v[32:33], 4, s[14:15]
	global_atomic_add_f64 v[32:33], v[30:31], off scope:SCOPE_DEV
	s_wait_xcnt 0x0
	global_atomic_add_f64 v[32:33], v[28:29], off offset:8 scope:SCOPE_DEV
	s_wait_xcnt 0x0
	s_and_not1_b32 exec_lo, exec_lo, s20
	s_cbranch_execnz .LBB347_7
	s_branch .LBB347_4
.LBB347_8:
	s_or_b32 exec_lo, exec_lo, s2
	s_mov_b32 s2, 0
.LBB347_9:
	s_delay_alu instid0(SALU_CYCLE_1)
	s_and_not1_b32 vcc_lo, exec_lo, s2
	s_cbranch_vccnz .LBB347_18
; %bb.10:
	s_and_b32 exec_lo, exec_lo, s0
	s_cbranch_execz .LBB347_18
; %bb.11:
	v_mov_b32_e32 v1, 0
	s_mov_b32 s17, 0
	s_delay_alu instid0(SALU_CYCLE_1) | instskip(NEXT) | instid1(VALU_DEP_1)
	s_mov_b32 s0, s17
	v_sub_nc_u64_e64 v[0:1], v[0:1], s[16:17]
	s_branch .LBB347_13
.LBB347_12:                             ;   in Loop: Header=BB347_13 Depth=1
	s_or_b32 exec_lo, exec_lo, s2
	v_add_nc_u32_e32 v6, s1, v6
	s_delay_alu instid0(VALU_DEP_1) | instskip(SKIP_1) | instid1(SALU_CYCLE_1)
	v_cmp_le_i32_e32 vcc_lo, s3, v6
	s_or_b32 s0, vcc_lo, s0
	s_and_not1_b32 exec_lo, exec_lo, s0
	s_cbranch_execz .LBB347_18
.LBB347_13:                             ; =>This Loop Header: Depth=1
                                        ;     Child Loop BB347_16 Depth 2
	s_clause 0x1
	global_load_b64 v[8:9], v6, s[6:7] scale_offset
	global_load_b64 v[10:11], v6, s[4:5] scale_offset
	s_mov_b32 s2, exec_lo
	s_wait_loadcnt 0x1
	v_sub_nc_u64_e64 v[8:9], v[8:9], s[16:17]
	s_wait_loadcnt 0x0
	v_add_nc_u64_e32 v[10:11], v[10:11], v[0:1]
	s_wait_xcnt 0x0
	s_delay_alu instid0(VALU_DEP_1)
	v_cmpx_lt_i64_e64 v[10:11], v[8:9]
	s_cbranch_execz .LBB347_12
; %bb.14:                               ;   in Loop: Header=BB347_13 Depth=1
	v_ashrrev_i32_e32 v7, 31, v6
	v_lshl_add_u64 v[20:21], v[10:11], 2, s[8:9]
	v_lshl_add_u64 v[22:23], v[10:11], 3, s[10:11]
	s_mov_b32 s18, 0
	s_delay_alu instid0(VALU_DEP_3) | instskip(SKIP_4) | instid1(VALU_DEP_2)
	v_lshl_add_u64 v[12:13], v[6:7], 4, s[12:13]
	global_load_b128 v[16:19], v[12:13], off
	s_wait_loadcnt 0x0
	v_mul_f64_e32 v[12:13], v[2:3], v[18:19]
	v_mul_f64_e64 v[14:15], v[18:19], -v[4:5]
	v_fmac_f64_e32 v[12:13], v[4:5], v[16:17]
	s_delay_alu instid0(VALU_DEP_2) | instskip(NEXT) | instid1(VALU_DEP_2)
	v_fmac_f64_e32 v[14:15], v[2:3], v[16:17]
	v_mul_f64_e32 v[16:17], 0x80000000, v[12:13]
	s_delay_alu instid0(VALU_DEP_2)
	v_mul_f64_e32 v[18:19], 0, v[14:15]
	s_branch .LBB347_16
.LBB347_15:                             ;   in Loop: Header=BB347_16 Depth=2
	s_wait_xcnt 0x0
	s_or_b32 exec_lo, exec_lo, s19
	v_add_nc_u64_e32 v[10:11], 4, v[10:11]
	v_add_nc_u64_e32 v[20:21], 16, v[20:21]
	;; [unrolled: 1-line block ×3, first 2 shown]
	s_delay_alu instid0(VALU_DEP_3) | instskip(SKIP_1) | instid1(SALU_CYCLE_1)
	v_cmp_ge_i64_e32 vcc_lo, v[10:11], v[8:9]
	s_or_b32 s18, vcc_lo, s18
	s_and_not1_b32 exec_lo, exec_lo, s18
	s_cbranch_execz .LBB347_12
.LBB347_16:                             ;   Parent Loop BB347_13 Depth=1
                                        ; =>  This Inner Loop Header: Depth=2
	global_load_b32 v7, v[20:21], off
	s_mov_b32 s19, exec_lo
	s_wait_loadcnt 0x0
	v_subrev_nc_u32_e32 v24, s16, v7
	s_wait_xcnt 0x0
	s_delay_alu instid0(VALU_DEP_1)
	v_cmpx_ne_u32_e64 v24, v6
	s_cbranch_execz .LBB347_15
; %bb.17:                               ;   in Loop: Header=BB347_16 Depth=2
	global_load_b64 v[26:27], v[22:23], off
	v_ashrrev_i32_e32 v25, 31, v24
	s_delay_alu instid0(VALU_DEP_1)
	v_lshl_add_u64 v[24:25], v[24:25], 4, s[14:15]
	s_wait_loadcnt 0x0
	v_fma_f64 v[28:29], v[14:15], v[26:27], v[16:17]
	v_fma_f64 v[26:27], v[12:13], v[26:27], v[18:19]
	s_wait_xcnt 0x0
	global_atomic_add_f64 v[24:25], v[28:29], off scope:SCOPE_DEV
	s_wait_xcnt 0x0
	global_atomic_add_f64 v[24:25], v[26:27], off offset:8 scope:SCOPE_DEV
	s_branch .LBB347_15
.LBB347_18:
	s_endpgm
	.section	.rodata,"a",@progbits
	.p2align	6, 0x0
	.amdhsa_kernel _ZN9rocsparseL21csrmvt_general_kernelILj256ELj4Elid21rocsparse_complex_numIdES2_S2_EEvbbT2_NS_24const_host_device_scalarIT6_EEPKT1_S9_PKS3_PKT3_PKT4_PT5_21rocsparse_index_base_b
		.amdhsa_group_segment_fixed_size 0
		.amdhsa_private_segment_fixed_size 0
		.amdhsa_kernarg_size 336
		.amdhsa_user_sgpr_count 2
		.amdhsa_user_sgpr_dispatch_ptr 0
		.amdhsa_user_sgpr_queue_ptr 0
		.amdhsa_user_sgpr_kernarg_segment_ptr 1
		.amdhsa_user_sgpr_dispatch_id 0
		.amdhsa_user_sgpr_kernarg_preload_length 0
		.amdhsa_user_sgpr_kernarg_preload_offset 0
		.amdhsa_user_sgpr_private_segment_size 0
		.amdhsa_wavefront_size32 1
		.amdhsa_uses_dynamic_stack 0
		.amdhsa_enable_private_segment 0
		.amdhsa_system_sgpr_workgroup_id_x 1
		.amdhsa_system_sgpr_workgroup_id_y 0
		.amdhsa_system_sgpr_workgroup_id_z 0
		.amdhsa_system_sgpr_workgroup_info 0
		.amdhsa_system_vgpr_workitem_id 0
		.amdhsa_next_free_vgpr 34
		.amdhsa_next_free_sgpr 21
		.amdhsa_named_barrier_count 0
		.amdhsa_reserve_vcc 1
		.amdhsa_float_round_mode_32 0
		.amdhsa_float_round_mode_16_64 0
		.amdhsa_float_denorm_mode_32 3
		.amdhsa_float_denorm_mode_16_64 3
		.amdhsa_fp16_overflow 0
		.amdhsa_memory_ordered 1
		.amdhsa_forward_progress 1
		.amdhsa_inst_pref_size 8
		.amdhsa_round_robin_scheduling 0
		.amdhsa_exception_fp_ieee_invalid_op 0
		.amdhsa_exception_fp_denorm_src 0
		.amdhsa_exception_fp_ieee_div_zero 0
		.amdhsa_exception_fp_ieee_overflow 0
		.amdhsa_exception_fp_ieee_underflow 0
		.amdhsa_exception_fp_ieee_inexact 0
		.amdhsa_exception_int_div_zero 0
	.end_amdhsa_kernel
	.section	.text._ZN9rocsparseL21csrmvt_general_kernelILj256ELj4Elid21rocsparse_complex_numIdES2_S2_EEvbbT2_NS_24const_host_device_scalarIT6_EEPKT1_S9_PKS3_PKT3_PKT4_PT5_21rocsparse_index_base_b,"axG",@progbits,_ZN9rocsparseL21csrmvt_general_kernelILj256ELj4Elid21rocsparse_complex_numIdES2_S2_EEvbbT2_NS_24const_host_device_scalarIT6_EEPKT1_S9_PKS3_PKT3_PKT4_PT5_21rocsparse_index_base_b,comdat
.Lfunc_end347:
	.size	_ZN9rocsparseL21csrmvt_general_kernelILj256ELj4Elid21rocsparse_complex_numIdES2_S2_EEvbbT2_NS_24const_host_device_scalarIT6_EEPKT1_S9_PKS3_PKT3_PKT4_PT5_21rocsparse_index_base_b, .Lfunc_end347-_ZN9rocsparseL21csrmvt_general_kernelILj256ELj4Elid21rocsparse_complex_numIdES2_S2_EEvbbT2_NS_24const_host_device_scalarIT6_EEPKT1_S9_PKS3_PKT3_PKT4_PT5_21rocsparse_index_base_b
                                        ; -- End function
	.set _ZN9rocsparseL21csrmvt_general_kernelILj256ELj4Elid21rocsparse_complex_numIdES2_S2_EEvbbT2_NS_24const_host_device_scalarIT6_EEPKT1_S9_PKS3_PKT3_PKT4_PT5_21rocsparse_index_base_b.num_vgpr, 34
	.set _ZN9rocsparseL21csrmvt_general_kernelILj256ELj4Elid21rocsparse_complex_numIdES2_S2_EEvbbT2_NS_24const_host_device_scalarIT6_EEPKT1_S9_PKS3_PKT3_PKT4_PT5_21rocsparse_index_base_b.num_agpr, 0
	.set _ZN9rocsparseL21csrmvt_general_kernelILj256ELj4Elid21rocsparse_complex_numIdES2_S2_EEvbbT2_NS_24const_host_device_scalarIT6_EEPKT1_S9_PKS3_PKT3_PKT4_PT5_21rocsparse_index_base_b.numbered_sgpr, 21
	.set _ZN9rocsparseL21csrmvt_general_kernelILj256ELj4Elid21rocsparse_complex_numIdES2_S2_EEvbbT2_NS_24const_host_device_scalarIT6_EEPKT1_S9_PKS3_PKT3_PKT4_PT5_21rocsparse_index_base_b.num_named_barrier, 0
	.set _ZN9rocsparseL21csrmvt_general_kernelILj256ELj4Elid21rocsparse_complex_numIdES2_S2_EEvbbT2_NS_24const_host_device_scalarIT6_EEPKT1_S9_PKS3_PKT3_PKT4_PT5_21rocsparse_index_base_b.private_seg_size, 0
	.set _ZN9rocsparseL21csrmvt_general_kernelILj256ELj4Elid21rocsparse_complex_numIdES2_S2_EEvbbT2_NS_24const_host_device_scalarIT6_EEPKT1_S9_PKS3_PKT3_PKT4_PT5_21rocsparse_index_base_b.uses_vcc, 1
	.set _ZN9rocsparseL21csrmvt_general_kernelILj256ELj4Elid21rocsparse_complex_numIdES2_S2_EEvbbT2_NS_24const_host_device_scalarIT6_EEPKT1_S9_PKS3_PKT3_PKT4_PT5_21rocsparse_index_base_b.uses_flat_scratch, 0
	.set _ZN9rocsparseL21csrmvt_general_kernelILj256ELj4Elid21rocsparse_complex_numIdES2_S2_EEvbbT2_NS_24const_host_device_scalarIT6_EEPKT1_S9_PKS3_PKT3_PKT4_PT5_21rocsparse_index_base_b.has_dyn_sized_stack, 0
	.set _ZN9rocsparseL21csrmvt_general_kernelILj256ELj4Elid21rocsparse_complex_numIdES2_S2_EEvbbT2_NS_24const_host_device_scalarIT6_EEPKT1_S9_PKS3_PKT3_PKT4_PT5_21rocsparse_index_base_b.has_recursion, 0
	.set _ZN9rocsparseL21csrmvt_general_kernelILj256ELj4Elid21rocsparse_complex_numIdES2_S2_EEvbbT2_NS_24const_host_device_scalarIT6_EEPKT1_S9_PKS3_PKT3_PKT4_PT5_21rocsparse_index_base_b.has_indirect_call, 0
	.section	.AMDGPU.csdata,"",@progbits
; Kernel info:
; codeLenInByte = 1024
; TotalNumSgprs: 23
; NumVgprs: 34
; ScratchSize: 0
; MemoryBound: 0
; FloatMode: 240
; IeeeMode: 1
; LDSByteSize: 0 bytes/workgroup (compile time only)
; SGPRBlocks: 0
; VGPRBlocks: 2
; NumSGPRsForWavesPerEU: 23
; NumVGPRsForWavesPerEU: 34
; NamedBarCnt: 0
; Occupancy: 16
; WaveLimiterHint : 1
; COMPUTE_PGM_RSRC2:SCRATCH_EN: 0
; COMPUTE_PGM_RSRC2:USER_SGPR: 2
; COMPUTE_PGM_RSRC2:TRAP_HANDLER: 0
; COMPUTE_PGM_RSRC2:TGID_X_EN: 1
; COMPUTE_PGM_RSRC2:TGID_Y_EN: 0
; COMPUTE_PGM_RSRC2:TGID_Z_EN: 0
; COMPUTE_PGM_RSRC2:TIDIG_COMP_CNT: 0
	.section	.text._ZN9rocsparseL21csrmvt_general_kernelILj256ELj8Elid21rocsparse_complex_numIdES2_S2_EEvbbT2_NS_24const_host_device_scalarIT6_EEPKT1_S9_PKS3_PKT3_PKT4_PT5_21rocsparse_index_base_b,"axG",@progbits,_ZN9rocsparseL21csrmvt_general_kernelILj256ELj8Elid21rocsparse_complex_numIdES2_S2_EEvbbT2_NS_24const_host_device_scalarIT6_EEPKT1_S9_PKS3_PKT3_PKT4_PT5_21rocsparse_index_base_b,comdat
	.globl	_ZN9rocsparseL21csrmvt_general_kernelILj256ELj8Elid21rocsparse_complex_numIdES2_S2_EEvbbT2_NS_24const_host_device_scalarIT6_EEPKT1_S9_PKS3_PKT3_PKT4_PT5_21rocsparse_index_base_b ; -- Begin function _ZN9rocsparseL21csrmvt_general_kernelILj256ELj8Elid21rocsparse_complex_numIdES2_S2_EEvbbT2_NS_24const_host_device_scalarIT6_EEPKT1_S9_PKS3_PKT3_PKT4_PT5_21rocsparse_index_base_b
	.p2align	8
	.type	_ZN9rocsparseL21csrmvt_general_kernelILj256ELj8Elid21rocsparse_complex_numIdES2_S2_EEvbbT2_NS_24const_host_device_scalarIT6_EEPKT1_S9_PKS3_PKT3_PKT4_PT5_21rocsparse_index_base_b,@function
_ZN9rocsparseL21csrmvt_general_kernelILj256ELj8Elid21rocsparse_complex_numIdES2_S2_EEvbbT2_NS_24const_host_device_scalarIT6_EEPKT1_S9_PKS3_PKT3_PKT4_PT5_21rocsparse_index_base_b: ; @_ZN9rocsparseL21csrmvt_general_kernelILj256ELj8Elid21rocsparse_complex_numIdES2_S2_EEvbbT2_NS_24const_host_device_scalarIT6_EEPKT1_S9_PKS3_PKT3_PKT4_PT5_21rocsparse_index_base_b
; %bb.0:
	s_clause 0x1
	s_load_b64 s[16:17], s[0:1], 0x48
	s_load_b64 s[2:3], s[0:1], 0x8
	v_mov_b32_e32 v1, 0
	s_add_nc_u64 s[4:5], s[0:1], 8
	s_wait_kmcnt 0x0
	s_bitcmp1_b32 s17, 0
	s_cselect_b32 s3, s5, s3
	s_cselect_b32 s2, s4, s2
	flat_load_b128 v[2:5], v1, s[2:3]
	s_wait_loadcnt_dscnt 0x0
	v_cmp_neq_f64_e32 vcc_lo, 0, v[2:3]
	v_cmp_neq_f64_e64 s2, 0, v[4:5]
	s_or_b32 s2, vcc_lo, s2
	s_delay_alu instid0(SALU_CYCLE_1)
	s_and_saveexec_b32 s3, s2
	s_cbranch_execz .LBB348_18
; %bb.1:
	s_clause 0x3
	s_load_b64 s[2:3], s[0:1], 0x0
	s_load_b32 s17, s[0:1], 0x50
	s_load_b128 s[12:15], s[0:1], 0x38
	s_load_b256 s[4:11], s[0:1], 0x18
	s_wait_xcnt 0x0
	s_bfe_u32 s0, ttmp6, 0x4000c
	s_and_b32 s18, ttmp6, 15
	s_add_co_i32 s0, s0, 1
	s_getreg_b32 s19, hwreg(HW_REG_IB_STS2, 6, 4)
	s_mul_i32 s0, ttmp9, s0
	s_delay_alu instid0(SALU_CYCLE_1)
	s_add_co_i32 s18, s18, s0
	s_wait_kmcnt 0x0
	s_and_b32 s2, s2, 1
	s_lshl_b32 s1, s17, 5
	s_cmp_eq_u32 s19, 0
	s_cselect_b32 s0, ttmp9, s18
	s_cmp_eq_u32 s2, 0
	v_lshl_or_b32 v1, s0, 8, v0
	s_mov_b32 s2, -1
	s_delay_alu instid0(VALU_DEP_1) | instskip(NEXT) | instid1(VALU_DEP_1)
	v_dual_lshrrev_b32 v6, 3, v1 :: v_dual_bitop2_b32 v0, 7, v0 bitop3:0x40
	v_cmp_gt_i32_e64 s0, s3, v6
	s_cbranch_scc0 .LBB348_9
; %bb.2:
	s_and_saveexec_b32 s2, s0
	s_cbranch_execz .LBB348_8
; %bb.3:
	v_dual_mov_b32 v1, 0 :: v_dual_mov_b32 v10, v6
	s_mov_b32 s17, 0
	s_delay_alu instid0(SALU_CYCLE_1) | instskip(NEXT) | instid1(VALU_DEP_1)
	s_mov_b32 s18, s17
	v_sub_nc_u64_e64 v[8:9], v[0:1], s[16:17]
	s_branch .LBB348_5
.LBB348_4:                              ;   in Loop: Header=BB348_5 Depth=1
	s_or_b32 exec_lo, exec_lo, s19
	v_add_nc_u32_e32 v10, s1, v10
	s_delay_alu instid0(VALU_DEP_1) | instskip(SKIP_1) | instid1(SALU_CYCLE_1)
	v_cmp_le_i32_e32 vcc_lo, s3, v10
	s_or_b32 s18, vcc_lo, s18
	s_and_not1_b32 exec_lo, exec_lo, s18
	s_cbranch_execz .LBB348_8
.LBB348_5:                              ; =>This Loop Header: Depth=1
                                        ;     Child Loop BB348_7 Depth 2
	s_clause 0x1
	global_load_b64 v[12:13], v10, s[6:7] scale_offset
	global_load_b64 v[14:15], v10, s[4:5] scale_offset
	s_mov_b32 s19, exec_lo
	s_wait_loadcnt 0x1
	v_sub_nc_u64_e64 v[12:13], v[12:13], s[16:17]
	s_wait_loadcnt 0x0
	v_add_nc_u64_e32 v[14:15], v[14:15], v[8:9]
	s_wait_xcnt 0x0
	s_delay_alu instid0(VALU_DEP_1)
	v_cmpx_lt_i64_e64 v[14:15], v[12:13]
	s_cbranch_execz .LBB348_4
; %bb.6:                                ;   in Loop: Header=BB348_5 Depth=1
	v_ashrrev_i32_e32 v11, 31, v10
	v_lshl_add_u64 v[24:25], v[14:15], 2, s[8:9]
	v_lshl_add_u64 v[26:27], v[14:15], 3, s[10:11]
	s_mov_b32 s20, 0
	s_delay_alu instid0(VALU_DEP_3)
	v_lshl_add_u64 v[16:17], v[10:11], 4, s[12:13]
	global_load_b128 v[20:23], v[16:17], off
	s_wait_loadcnt 0x0
	s_wait_xcnt 0x0
	v_mul_f64_e32 v[16:17], v[2:3], v[22:23]
	v_mul_f64_e64 v[18:19], v[22:23], -v[4:5]
	s_delay_alu instid0(VALU_DEP_2) | instskip(NEXT) | instid1(VALU_DEP_2)
	v_fmac_f64_e32 v[16:17], v[4:5], v[20:21]
	v_fmac_f64_e32 v[18:19], v[2:3], v[20:21]
	s_delay_alu instid0(VALU_DEP_2) | instskip(NEXT) | instid1(VALU_DEP_2)
	v_mul_f64_e32 v[20:21], 0x80000000, v[16:17]
	v_mul_f64_e32 v[22:23], 0, v[18:19]
.LBB348_7:                              ;   Parent Loop BB348_5 Depth=1
                                        ; =>  This Inner Loop Header: Depth=2
	global_load_b64 v[28:29], v[26:27], off
	global_load_b32 v1, v[24:25], off
	v_add_nc_u64_e32 v[14:15], 8, v[14:15]
	s_wait_xcnt 0x0
	v_add_nc_u64_e32 v[24:25], 32, v[24:25]
	v_add_nc_u64_e32 v[26:27], 64, v[26:27]
	s_delay_alu instid0(VALU_DEP_3)
	v_cmp_ge_i64_e32 vcc_lo, v[14:15], v[12:13]
	s_or_b32 s20, vcc_lo, s20
	s_wait_loadcnt 0x1
	v_fma_f64 v[30:31], v[18:19], v[28:29], v[20:21]
	v_fma_f64 v[28:29], v[16:17], v[28:29], v[22:23]
	s_wait_loadcnt 0x0
	v_subrev_nc_u32_e32 v32, s16, v1
	s_delay_alu instid0(VALU_DEP_1) | instskip(NEXT) | instid1(VALU_DEP_1)
	v_ashrrev_i32_e32 v33, 31, v32
	v_lshl_add_u64 v[32:33], v[32:33], 4, s[14:15]
	global_atomic_add_f64 v[32:33], v[30:31], off scope:SCOPE_DEV
	s_wait_xcnt 0x0
	global_atomic_add_f64 v[32:33], v[28:29], off offset:8 scope:SCOPE_DEV
	s_wait_xcnt 0x0
	s_and_not1_b32 exec_lo, exec_lo, s20
	s_cbranch_execnz .LBB348_7
	s_branch .LBB348_4
.LBB348_8:
	s_or_b32 exec_lo, exec_lo, s2
	s_mov_b32 s2, 0
.LBB348_9:
	s_delay_alu instid0(SALU_CYCLE_1)
	s_and_not1_b32 vcc_lo, exec_lo, s2
	s_cbranch_vccnz .LBB348_18
; %bb.10:
	s_and_b32 exec_lo, exec_lo, s0
	s_cbranch_execz .LBB348_18
; %bb.11:
	v_mov_b32_e32 v1, 0
	s_mov_b32 s17, 0
	s_delay_alu instid0(SALU_CYCLE_1) | instskip(NEXT) | instid1(VALU_DEP_1)
	s_mov_b32 s0, s17
	v_sub_nc_u64_e64 v[0:1], v[0:1], s[16:17]
	s_branch .LBB348_13
.LBB348_12:                             ;   in Loop: Header=BB348_13 Depth=1
	s_or_b32 exec_lo, exec_lo, s2
	v_add_nc_u32_e32 v6, s1, v6
	s_delay_alu instid0(VALU_DEP_1) | instskip(SKIP_1) | instid1(SALU_CYCLE_1)
	v_cmp_le_i32_e32 vcc_lo, s3, v6
	s_or_b32 s0, vcc_lo, s0
	s_and_not1_b32 exec_lo, exec_lo, s0
	s_cbranch_execz .LBB348_18
.LBB348_13:                             ; =>This Loop Header: Depth=1
                                        ;     Child Loop BB348_16 Depth 2
	s_clause 0x1
	global_load_b64 v[8:9], v6, s[6:7] scale_offset
	global_load_b64 v[10:11], v6, s[4:5] scale_offset
	s_mov_b32 s2, exec_lo
	s_wait_loadcnt 0x1
	v_sub_nc_u64_e64 v[8:9], v[8:9], s[16:17]
	s_wait_loadcnt 0x0
	v_add_nc_u64_e32 v[10:11], v[10:11], v[0:1]
	s_wait_xcnt 0x0
	s_delay_alu instid0(VALU_DEP_1)
	v_cmpx_lt_i64_e64 v[10:11], v[8:9]
	s_cbranch_execz .LBB348_12
; %bb.14:                               ;   in Loop: Header=BB348_13 Depth=1
	v_ashrrev_i32_e32 v7, 31, v6
	v_lshl_add_u64 v[20:21], v[10:11], 2, s[8:9]
	v_lshl_add_u64 v[22:23], v[10:11], 3, s[10:11]
	s_mov_b32 s18, 0
	s_delay_alu instid0(VALU_DEP_3) | instskip(SKIP_4) | instid1(VALU_DEP_2)
	v_lshl_add_u64 v[12:13], v[6:7], 4, s[12:13]
	global_load_b128 v[16:19], v[12:13], off
	s_wait_loadcnt 0x0
	v_mul_f64_e32 v[12:13], v[2:3], v[18:19]
	v_mul_f64_e64 v[14:15], v[18:19], -v[4:5]
	v_fmac_f64_e32 v[12:13], v[4:5], v[16:17]
	s_delay_alu instid0(VALU_DEP_2) | instskip(NEXT) | instid1(VALU_DEP_2)
	v_fmac_f64_e32 v[14:15], v[2:3], v[16:17]
	v_mul_f64_e32 v[16:17], 0x80000000, v[12:13]
	s_delay_alu instid0(VALU_DEP_2)
	v_mul_f64_e32 v[18:19], 0, v[14:15]
	s_branch .LBB348_16
.LBB348_15:                             ;   in Loop: Header=BB348_16 Depth=2
	s_wait_xcnt 0x0
	s_or_b32 exec_lo, exec_lo, s19
	v_add_nc_u64_e32 v[10:11], 8, v[10:11]
	v_add_nc_u64_e32 v[20:21], 32, v[20:21]
	;; [unrolled: 1-line block ×3, first 2 shown]
	s_delay_alu instid0(VALU_DEP_3) | instskip(SKIP_1) | instid1(SALU_CYCLE_1)
	v_cmp_ge_i64_e32 vcc_lo, v[10:11], v[8:9]
	s_or_b32 s18, vcc_lo, s18
	s_and_not1_b32 exec_lo, exec_lo, s18
	s_cbranch_execz .LBB348_12
.LBB348_16:                             ;   Parent Loop BB348_13 Depth=1
                                        ; =>  This Inner Loop Header: Depth=2
	global_load_b32 v7, v[20:21], off
	s_mov_b32 s19, exec_lo
	s_wait_loadcnt 0x0
	v_subrev_nc_u32_e32 v24, s16, v7
	s_wait_xcnt 0x0
	s_delay_alu instid0(VALU_DEP_1)
	v_cmpx_ne_u32_e64 v24, v6
	s_cbranch_execz .LBB348_15
; %bb.17:                               ;   in Loop: Header=BB348_16 Depth=2
	global_load_b64 v[26:27], v[22:23], off
	v_ashrrev_i32_e32 v25, 31, v24
	s_delay_alu instid0(VALU_DEP_1)
	v_lshl_add_u64 v[24:25], v[24:25], 4, s[14:15]
	s_wait_loadcnt 0x0
	v_fma_f64 v[28:29], v[14:15], v[26:27], v[16:17]
	v_fma_f64 v[26:27], v[12:13], v[26:27], v[18:19]
	s_wait_xcnt 0x0
	global_atomic_add_f64 v[24:25], v[28:29], off scope:SCOPE_DEV
	s_wait_xcnt 0x0
	global_atomic_add_f64 v[24:25], v[26:27], off offset:8 scope:SCOPE_DEV
	s_branch .LBB348_15
.LBB348_18:
	s_endpgm
	.section	.rodata,"a",@progbits
	.p2align	6, 0x0
	.amdhsa_kernel _ZN9rocsparseL21csrmvt_general_kernelILj256ELj8Elid21rocsparse_complex_numIdES2_S2_EEvbbT2_NS_24const_host_device_scalarIT6_EEPKT1_S9_PKS3_PKT3_PKT4_PT5_21rocsparse_index_base_b
		.amdhsa_group_segment_fixed_size 0
		.amdhsa_private_segment_fixed_size 0
		.amdhsa_kernarg_size 336
		.amdhsa_user_sgpr_count 2
		.amdhsa_user_sgpr_dispatch_ptr 0
		.amdhsa_user_sgpr_queue_ptr 0
		.amdhsa_user_sgpr_kernarg_segment_ptr 1
		.amdhsa_user_sgpr_dispatch_id 0
		.amdhsa_user_sgpr_kernarg_preload_length 0
		.amdhsa_user_sgpr_kernarg_preload_offset 0
		.amdhsa_user_sgpr_private_segment_size 0
		.amdhsa_wavefront_size32 1
		.amdhsa_uses_dynamic_stack 0
		.amdhsa_enable_private_segment 0
		.amdhsa_system_sgpr_workgroup_id_x 1
		.amdhsa_system_sgpr_workgroup_id_y 0
		.amdhsa_system_sgpr_workgroup_id_z 0
		.amdhsa_system_sgpr_workgroup_info 0
		.amdhsa_system_vgpr_workitem_id 0
		.amdhsa_next_free_vgpr 34
		.amdhsa_next_free_sgpr 21
		.amdhsa_named_barrier_count 0
		.amdhsa_reserve_vcc 1
		.amdhsa_float_round_mode_32 0
		.amdhsa_float_round_mode_16_64 0
		.amdhsa_float_denorm_mode_32 3
		.amdhsa_float_denorm_mode_16_64 3
		.amdhsa_fp16_overflow 0
		.amdhsa_memory_ordered 1
		.amdhsa_forward_progress 1
		.amdhsa_inst_pref_size 8
		.amdhsa_round_robin_scheduling 0
		.amdhsa_exception_fp_ieee_invalid_op 0
		.amdhsa_exception_fp_denorm_src 0
		.amdhsa_exception_fp_ieee_div_zero 0
		.amdhsa_exception_fp_ieee_overflow 0
		.amdhsa_exception_fp_ieee_underflow 0
		.amdhsa_exception_fp_ieee_inexact 0
		.amdhsa_exception_int_div_zero 0
	.end_amdhsa_kernel
	.section	.text._ZN9rocsparseL21csrmvt_general_kernelILj256ELj8Elid21rocsparse_complex_numIdES2_S2_EEvbbT2_NS_24const_host_device_scalarIT6_EEPKT1_S9_PKS3_PKT3_PKT4_PT5_21rocsparse_index_base_b,"axG",@progbits,_ZN9rocsparseL21csrmvt_general_kernelILj256ELj8Elid21rocsparse_complex_numIdES2_S2_EEvbbT2_NS_24const_host_device_scalarIT6_EEPKT1_S9_PKS3_PKT3_PKT4_PT5_21rocsparse_index_base_b,comdat
.Lfunc_end348:
	.size	_ZN9rocsparseL21csrmvt_general_kernelILj256ELj8Elid21rocsparse_complex_numIdES2_S2_EEvbbT2_NS_24const_host_device_scalarIT6_EEPKT1_S9_PKS3_PKT3_PKT4_PT5_21rocsparse_index_base_b, .Lfunc_end348-_ZN9rocsparseL21csrmvt_general_kernelILj256ELj8Elid21rocsparse_complex_numIdES2_S2_EEvbbT2_NS_24const_host_device_scalarIT6_EEPKT1_S9_PKS3_PKT3_PKT4_PT5_21rocsparse_index_base_b
                                        ; -- End function
	.set _ZN9rocsparseL21csrmvt_general_kernelILj256ELj8Elid21rocsparse_complex_numIdES2_S2_EEvbbT2_NS_24const_host_device_scalarIT6_EEPKT1_S9_PKS3_PKT3_PKT4_PT5_21rocsparse_index_base_b.num_vgpr, 34
	.set _ZN9rocsparseL21csrmvt_general_kernelILj256ELj8Elid21rocsparse_complex_numIdES2_S2_EEvbbT2_NS_24const_host_device_scalarIT6_EEPKT1_S9_PKS3_PKT3_PKT4_PT5_21rocsparse_index_base_b.num_agpr, 0
	.set _ZN9rocsparseL21csrmvt_general_kernelILj256ELj8Elid21rocsparse_complex_numIdES2_S2_EEvbbT2_NS_24const_host_device_scalarIT6_EEPKT1_S9_PKS3_PKT3_PKT4_PT5_21rocsparse_index_base_b.numbered_sgpr, 21
	.set _ZN9rocsparseL21csrmvt_general_kernelILj256ELj8Elid21rocsparse_complex_numIdES2_S2_EEvbbT2_NS_24const_host_device_scalarIT6_EEPKT1_S9_PKS3_PKT3_PKT4_PT5_21rocsparse_index_base_b.num_named_barrier, 0
	.set _ZN9rocsparseL21csrmvt_general_kernelILj256ELj8Elid21rocsparse_complex_numIdES2_S2_EEvbbT2_NS_24const_host_device_scalarIT6_EEPKT1_S9_PKS3_PKT3_PKT4_PT5_21rocsparse_index_base_b.private_seg_size, 0
	.set _ZN9rocsparseL21csrmvt_general_kernelILj256ELj8Elid21rocsparse_complex_numIdES2_S2_EEvbbT2_NS_24const_host_device_scalarIT6_EEPKT1_S9_PKS3_PKT3_PKT4_PT5_21rocsparse_index_base_b.uses_vcc, 1
	.set _ZN9rocsparseL21csrmvt_general_kernelILj256ELj8Elid21rocsparse_complex_numIdES2_S2_EEvbbT2_NS_24const_host_device_scalarIT6_EEPKT1_S9_PKS3_PKT3_PKT4_PT5_21rocsparse_index_base_b.uses_flat_scratch, 0
	.set _ZN9rocsparseL21csrmvt_general_kernelILj256ELj8Elid21rocsparse_complex_numIdES2_S2_EEvbbT2_NS_24const_host_device_scalarIT6_EEPKT1_S9_PKS3_PKT3_PKT4_PT5_21rocsparse_index_base_b.has_dyn_sized_stack, 0
	.set _ZN9rocsparseL21csrmvt_general_kernelILj256ELj8Elid21rocsparse_complex_numIdES2_S2_EEvbbT2_NS_24const_host_device_scalarIT6_EEPKT1_S9_PKS3_PKT3_PKT4_PT5_21rocsparse_index_base_b.has_recursion, 0
	.set _ZN9rocsparseL21csrmvt_general_kernelILj256ELj8Elid21rocsparse_complex_numIdES2_S2_EEvbbT2_NS_24const_host_device_scalarIT6_EEPKT1_S9_PKS3_PKT3_PKT4_PT5_21rocsparse_index_base_b.has_indirect_call, 0
	.section	.AMDGPU.csdata,"",@progbits
; Kernel info:
; codeLenInByte = 1024
; TotalNumSgprs: 23
; NumVgprs: 34
; ScratchSize: 0
; MemoryBound: 0
; FloatMode: 240
; IeeeMode: 1
; LDSByteSize: 0 bytes/workgroup (compile time only)
; SGPRBlocks: 0
; VGPRBlocks: 2
; NumSGPRsForWavesPerEU: 23
; NumVGPRsForWavesPerEU: 34
; NamedBarCnt: 0
; Occupancy: 16
; WaveLimiterHint : 1
; COMPUTE_PGM_RSRC2:SCRATCH_EN: 0
; COMPUTE_PGM_RSRC2:USER_SGPR: 2
; COMPUTE_PGM_RSRC2:TRAP_HANDLER: 0
; COMPUTE_PGM_RSRC2:TGID_X_EN: 1
; COMPUTE_PGM_RSRC2:TGID_Y_EN: 0
; COMPUTE_PGM_RSRC2:TGID_Z_EN: 0
; COMPUTE_PGM_RSRC2:TIDIG_COMP_CNT: 0
	.section	.text._ZN9rocsparseL21csrmvt_general_kernelILj256ELj16Elid21rocsparse_complex_numIdES2_S2_EEvbbT2_NS_24const_host_device_scalarIT6_EEPKT1_S9_PKS3_PKT3_PKT4_PT5_21rocsparse_index_base_b,"axG",@progbits,_ZN9rocsparseL21csrmvt_general_kernelILj256ELj16Elid21rocsparse_complex_numIdES2_S2_EEvbbT2_NS_24const_host_device_scalarIT6_EEPKT1_S9_PKS3_PKT3_PKT4_PT5_21rocsparse_index_base_b,comdat
	.globl	_ZN9rocsparseL21csrmvt_general_kernelILj256ELj16Elid21rocsparse_complex_numIdES2_S2_EEvbbT2_NS_24const_host_device_scalarIT6_EEPKT1_S9_PKS3_PKT3_PKT4_PT5_21rocsparse_index_base_b ; -- Begin function _ZN9rocsparseL21csrmvt_general_kernelILj256ELj16Elid21rocsparse_complex_numIdES2_S2_EEvbbT2_NS_24const_host_device_scalarIT6_EEPKT1_S9_PKS3_PKT3_PKT4_PT5_21rocsparse_index_base_b
	.p2align	8
	.type	_ZN9rocsparseL21csrmvt_general_kernelILj256ELj16Elid21rocsparse_complex_numIdES2_S2_EEvbbT2_NS_24const_host_device_scalarIT6_EEPKT1_S9_PKS3_PKT3_PKT4_PT5_21rocsparse_index_base_b,@function
_ZN9rocsparseL21csrmvt_general_kernelILj256ELj16Elid21rocsparse_complex_numIdES2_S2_EEvbbT2_NS_24const_host_device_scalarIT6_EEPKT1_S9_PKS3_PKT3_PKT4_PT5_21rocsparse_index_base_b: ; @_ZN9rocsparseL21csrmvt_general_kernelILj256ELj16Elid21rocsparse_complex_numIdES2_S2_EEvbbT2_NS_24const_host_device_scalarIT6_EEPKT1_S9_PKS3_PKT3_PKT4_PT5_21rocsparse_index_base_b
; %bb.0:
	s_clause 0x1
	s_load_b64 s[16:17], s[0:1], 0x48
	s_load_b64 s[2:3], s[0:1], 0x8
	v_mov_b32_e32 v1, 0
	s_add_nc_u64 s[4:5], s[0:1], 8
	s_wait_kmcnt 0x0
	s_bitcmp1_b32 s17, 0
	s_cselect_b32 s3, s5, s3
	s_cselect_b32 s2, s4, s2
	flat_load_b128 v[2:5], v1, s[2:3]
	s_wait_loadcnt_dscnt 0x0
	v_cmp_neq_f64_e32 vcc_lo, 0, v[2:3]
	v_cmp_neq_f64_e64 s2, 0, v[4:5]
	s_or_b32 s2, vcc_lo, s2
	s_delay_alu instid0(SALU_CYCLE_1)
	s_and_saveexec_b32 s3, s2
	s_cbranch_execz .LBB349_18
; %bb.1:
	s_clause 0x3
	s_load_b64 s[2:3], s[0:1], 0x0
	s_load_b32 s17, s[0:1], 0x50
	s_load_b128 s[12:15], s[0:1], 0x38
	s_load_b256 s[4:11], s[0:1], 0x18
	s_wait_xcnt 0x0
	s_bfe_u32 s0, ttmp6, 0x4000c
	s_and_b32 s18, ttmp6, 15
	s_add_co_i32 s0, s0, 1
	s_getreg_b32 s19, hwreg(HW_REG_IB_STS2, 6, 4)
	s_mul_i32 s0, ttmp9, s0
	s_delay_alu instid0(SALU_CYCLE_1)
	s_add_co_i32 s18, s18, s0
	s_wait_kmcnt 0x0
	s_and_b32 s2, s2, 1
	s_lshl_b32 s1, s17, 4
	s_cmp_eq_u32 s19, 0
	s_cselect_b32 s0, ttmp9, s18
	s_cmp_eq_u32 s2, 0
	v_lshl_or_b32 v1, s0, 8, v0
	s_mov_b32 s2, -1
	s_delay_alu instid0(VALU_DEP_1) | instskip(NEXT) | instid1(VALU_DEP_1)
	v_dual_lshrrev_b32 v6, 4, v1 :: v_dual_bitop2_b32 v0, 15, v0 bitop3:0x40
	v_cmp_gt_i32_e64 s0, s3, v6
	s_cbranch_scc0 .LBB349_9
; %bb.2:
	s_and_saveexec_b32 s2, s0
	s_cbranch_execz .LBB349_8
; %bb.3:
	v_dual_mov_b32 v1, 0 :: v_dual_mov_b32 v10, v6
	s_mov_b32 s17, 0
	s_delay_alu instid0(SALU_CYCLE_1) | instskip(NEXT) | instid1(VALU_DEP_1)
	s_mov_b32 s18, s17
	v_sub_nc_u64_e64 v[8:9], v[0:1], s[16:17]
	s_branch .LBB349_5
.LBB349_4:                              ;   in Loop: Header=BB349_5 Depth=1
	s_or_b32 exec_lo, exec_lo, s19
	v_add_nc_u32_e32 v10, s1, v10
	s_delay_alu instid0(VALU_DEP_1) | instskip(SKIP_1) | instid1(SALU_CYCLE_1)
	v_cmp_le_i32_e32 vcc_lo, s3, v10
	s_or_b32 s18, vcc_lo, s18
	s_and_not1_b32 exec_lo, exec_lo, s18
	s_cbranch_execz .LBB349_8
.LBB349_5:                              ; =>This Loop Header: Depth=1
                                        ;     Child Loop BB349_7 Depth 2
	s_clause 0x1
	global_load_b64 v[12:13], v10, s[6:7] scale_offset
	global_load_b64 v[14:15], v10, s[4:5] scale_offset
	s_mov_b32 s19, exec_lo
	s_wait_loadcnt 0x1
	v_sub_nc_u64_e64 v[12:13], v[12:13], s[16:17]
	s_wait_loadcnt 0x0
	v_add_nc_u64_e32 v[14:15], v[14:15], v[8:9]
	s_wait_xcnt 0x0
	s_delay_alu instid0(VALU_DEP_1)
	v_cmpx_lt_i64_e64 v[14:15], v[12:13]
	s_cbranch_execz .LBB349_4
; %bb.6:                                ;   in Loop: Header=BB349_5 Depth=1
	v_ashrrev_i32_e32 v11, 31, v10
	v_lshl_add_u64 v[24:25], v[14:15], 2, s[8:9]
	v_lshl_add_u64 v[26:27], v[14:15], 3, s[10:11]
	s_mov_b32 s20, 0
	s_delay_alu instid0(VALU_DEP_3)
	v_lshl_add_u64 v[16:17], v[10:11], 4, s[12:13]
	global_load_b128 v[20:23], v[16:17], off
	s_wait_loadcnt 0x0
	s_wait_xcnt 0x0
	v_mul_f64_e32 v[16:17], v[2:3], v[22:23]
	v_mul_f64_e64 v[18:19], v[22:23], -v[4:5]
	s_delay_alu instid0(VALU_DEP_2) | instskip(NEXT) | instid1(VALU_DEP_2)
	v_fmac_f64_e32 v[16:17], v[4:5], v[20:21]
	v_fmac_f64_e32 v[18:19], v[2:3], v[20:21]
	s_delay_alu instid0(VALU_DEP_2) | instskip(NEXT) | instid1(VALU_DEP_2)
	v_mul_f64_e32 v[20:21], 0x80000000, v[16:17]
	v_mul_f64_e32 v[22:23], 0, v[18:19]
.LBB349_7:                              ;   Parent Loop BB349_5 Depth=1
                                        ; =>  This Inner Loop Header: Depth=2
	global_load_b64 v[28:29], v[26:27], off
	global_load_b32 v1, v[24:25], off
	v_add_nc_u64_e32 v[14:15], 16, v[14:15]
	s_wait_xcnt 0x0
	v_add_nc_u64_e32 v[24:25], 64, v[24:25]
	v_add_nc_u64_e32 v[26:27], 0x80, v[26:27]
	s_delay_alu instid0(VALU_DEP_3)
	v_cmp_ge_i64_e32 vcc_lo, v[14:15], v[12:13]
	s_or_b32 s20, vcc_lo, s20
	s_wait_loadcnt 0x1
	v_fma_f64 v[30:31], v[18:19], v[28:29], v[20:21]
	v_fma_f64 v[28:29], v[16:17], v[28:29], v[22:23]
	s_wait_loadcnt 0x0
	v_subrev_nc_u32_e32 v32, s16, v1
	s_delay_alu instid0(VALU_DEP_1) | instskip(NEXT) | instid1(VALU_DEP_1)
	v_ashrrev_i32_e32 v33, 31, v32
	v_lshl_add_u64 v[32:33], v[32:33], 4, s[14:15]
	global_atomic_add_f64 v[32:33], v[30:31], off scope:SCOPE_DEV
	s_wait_xcnt 0x0
	global_atomic_add_f64 v[32:33], v[28:29], off offset:8 scope:SCOPE_DEV
	s_wait_xcnt 0x0
	s_and_not1_b32 exec_lo, exec_lo, s20
	s_cbranch_execnz .LBB349_7
	s_branch .LBB349_4
.LBB349_8:
	s_or_b32 exec_lo, exec_lo, s2
	s_mov_b32 s2, 0
.LBB349_9:
	s_delay_alu instid0(SALU_CYCLE_1)
	s_and_not1_b32 vcc_lo, exec_lo, s2
	s_cbranch_vccnz .LBB349_18
; %bb.10:
	s_and_b32 exec_lo, exec_lo, s0
	s_cbranch_execz .LBB349_18
; %bb.11:
	v_mov_b32_e32 v1, 0
	s_mov_b32 s17, 0
	s_delay_alu instid0(SALU_CYCLE_1) | instskip(NEXT) | instid1(VALU_DEP_1)
	s_mov_b32 s0, s17
	v_sub_nc_u64_e64 v[0:1], v[0:1], s[16:17]
	s_branch .LBB349_13
.LBB349_12:                             ;   in Loop: Header=BB349_13 Depth=1
	s_or_b32 exec_lo, exec_lo, s2
	v_add_nc_u32_e32 v6, s1, v6
	s_delay_alu instid0(VALU_DEP_1) | instskip(SKIP_1) | instid1(SALU_CYCLE_1)
	v_cmp_le_i32_e32 vcc_lo, s3, v6
	s_or_b32 s0, vcc_lo, s0
	s_and_not1_b32 exec_lo, exec_lo, s0
	s_cbranch_execz .LBB349_18
.LBB349_13:                             ; =>This Loop Header: Depth=1
                                        ;     Child Loop BB349_16 Depth 2
	s_clause 0x1
	global_load_b64 v[8:9], v6, s[6:7] scale_offset
	global_load_b64 v[10:11], v6, s[4:5] scale_offset
	s_mov_b32 s2, exec_lo
	s_wait_loadcnt 0x1
	v_sub_nc_u64_e64 v[8:9], v[8:9], s[16:17]
	s_wait_loadcnt 0x0
	v_add_nc_u64_e32 v[10:11], v[10:11], v[0:1]
	s_wait_xcnt 0x0
	s_delay_alu instid0(VALU_DEP_1)
	v_cmpx_lt_i64_e64 v[10:11], v[8:9]
	s_cbranch_execz .LBB349_12
; %bb.14:                               ;   in Loop: Header=BB349_13 Depth=1
	v_ashrrev_i32_e32 v7, 31, v6
	v_lshl_add_u64 v[20:21], v[10:11], 2, s[8:9]
	v_lshl_add_u64 v[22:23], v[10:11], 3, s[10:11]
	s_mov_b32 s18, 0
	s_delay_alu instid0(VALU_DEP_3) | instskip(SKIP_4) | instid1(VALU_DEP_2)
	v_lshl_add_u64 v[12:13], v[6:7], 4, s[12:13]
	global_load_b128 v[16:19], v[12:13], off
	s_wait_loadcnt 0x0
	v_mul_f64_e32 v[12:13], v[2:3], v[18:19]
	v_mul_f64_e64 v[14:15], v[18:19], -v[4:5]
	v_fmac_f64_e32 v[12:13], v[4:5], v[16:17]
	s_delay_alu instid0(VALU_DEP_2) | instskip(NEXT) | instid1(VALU_DEP_2)
	v_fmac_f64_e32 v[14:15], v[2:3], v[16:17]
	v_mul_f64_e32 v[16:17], 0x80000000, v[12:13]
	s_delay_alu instid0(VALU_DEP_2)
	v_mul_f64_e32 v[18:19], 0, v[14:15]
	s_branch .LBB349_16
.LBB349_15:                             ;   in Loop: Header=BB349_16 Depth=2
	s_wait_xcnt 0x0
	s_or_b32 exec_lo, exec_lo, s19
	v_add_nc_u64_e32 v[10:11], 16, v[10:11]
	v_add_nc_u64_e32 v[20:21], 64, v[20:21]
	;; [unrolled: 1-line block ×3, first 2 shown]
	s_delay_alu instid0(VALU_DEP_3) | instskip(SKIP_1) | instid1(SALU_CYCLE_1)
	v_cmp_ge_i64_e32 vcc_lo, v[10:11], v[8:9]
	s_or_b32 s18, vcc_lo, s18
	s_and_not1_b32 exec_lo, exec_lo, s18
	s_cbranch_execz .LBB349_12
.LBB349_16:                             ;   Parent Loop BB349_13 Depth=1
                                        ; =>  This Inner Loop Header: Depth=2
	global_load_b32 v7, v[20:21], off
	s_mov_b32 s19, exec_lo
	s_wait_loadcnt 0x0
	v_subrev_nc_u32_e32 v24, s16, v7
	s_wait_xcnt 0x0
	s_delay_alu instid0(VALU_DEP_1)
	v_cmpx_ne_u32_e64 v24, v6
	s_cbranch_execz .LBB349_15
; %bb.17:                               ;   in Loop: Header=BB349_16 Depth=2
	global_load_b64 v[26:27], v[22:23], off
	v_ashrrev_i32_e32 v25, 31, v24
	s_delay_alu instid0(VALU_DEP_1)
	v_lshl_add_u64 v[24:25], v[24:25], 4, s[14:15]
	s_wait_loadcnt 0x0
	v_fma_f64 v[28:29], v[14:15], v[26:27], v[16:17]
	v_fma_f64 v[26:27], v[12:13], v[26:27], v[18:19]
	s_wait_xcnt 0x0
	global_atomic_add_f64 v[24:25], v[28:29], off scope:SCOPE_DEV
	s_wait_xcnt 0x0
	global_atomic_add_f64 v[24:25], v[26:27], off offset:8 scope:SCOPE_DEV
	s_branch .LBB349_15
.LBB349_18:
	s_endpgm
	.section	.rodata,"a",@progbits
	.p2align	6, 0x0
	.amdhsa_kernel _ZN9rocsparseL21csrmvt_general_kernelILj256ELj16Elid21rocsparse_complex_numIdES2_S2_EEvbbT2_NS_24const_host_device_scalarIT6_EEPKT1_S9_PKS3_PKT3_PKT4_PT5_21rocsparse_index_base_b
		.amdhsa_group_segment_fixed_size 0
		.amdhsa_private_segment_fixed_size 0
		.amdhsa_kernarg_size 336
		.amdhsa_user_sgpr_count 2
		.amdhsa_user_sgpr_dispatch_ptr 0
		.amdhsa_user_sgpr_queue_ptr 0
		.amdhsa_user_sgpr_kernarg_segment_ptr 1
		.amdhsa_user_sgpr_dispatch_id 0
		.amdhsa_user_sgpr_kernarg_preload_length 0
		.amdhsa_user_sgpr_kernarg_preload_offset 0
		.amdhsa_user_sgpr_private_segment_size 0
		.amdhsa_wavefront_size32 1
		.amdhsa_uses_dynamic_stack 0
		.amdhsa_enable_private_segment 0
		.amdhsa_system_sgpr_workgroup_id_x 1
		.amdhsa_system_sgpr_workgroup_id_y 0
		.amdhsa_system_sgpr_workgroup_id_z 0
		.amdhsa_system_sgpr_workgroup_info 0
		.amdhsa_system_vgpr_workitem_id 0
		.amdhsa_next_free_vgpr 34
		.amdhsa_next_free_sgpr 21
		.amdhsa_named_barrier_count 0
		.amdhsa_reserve_vcc 1
		.amdhsa_float_round_mode_32 0
		.amdhsa_float_round_mode_16_64 0
		.amdhsa_float_denorm_mode_32 3
		.amdhsa_float_denorm_mode_16_64 3
		.amdhsa_fp16_overflow 0
		.amdhsa_memory_ordered 1
		.amdhsa_forward_progress 1
		.amdhsa_inst_pref_size 9
		.amdhsa_round_robin_scheduling 0
		.amdhsa_exception_fp_ieee_invalid_op 0
		.amdhsa_exception_fp_denorm_src 0
		.amdhsa_exception_fp_ieee_div_zero 0
		.amdhsa_exception_fp_ieee_overflow 0
		.amdhsa_exception_fp_ieee_underflow 0
		.amdhsa_exception_fp_ieee_inexact 0
		.amdhsa_exception_int_div_zero 0
	.end_amdhsa_kernel
	.section	.text._ZN9rocsparseL21csrmvt_general_kernelILj256ELj16Elid21rocsparse_complex_numIdES2_S2_EEvbbT2_NS_24const_host_device_scalarIT6_EEPKT1_S9_PKS3_PKT3_PKT4_PT5_21rocsparse_index_base_b,"axG",@progbits,_ZN9rocsparseL21csrmvt_general_kernelILj256ELj16Elid21rocsparse_complex_numIdES2_S2_EEvbbT2_NS_24const_host_device_scalarIT6_EEPKT1_S9_PKS3_PKT3_PKT4_PT5_21rocsparse_index_base_b,comdat
.Lfunc_end349:
	.size	_ZN9rocsparseL21csrmvt_general_kernelILj256ELj16Elid21rocsparse_complex_numIdES2_S2_EEvbbT2_NS_24const_host_device_scalarIT6_EEPKT1_S9_PKS3_PKT3_PKT4_PT5_21rocsparse_index_base_b, .Lfunc_end349-_ZN9rocsparseL21csrmvt_general_kernelILj256ELj16Elid21rocsparse_complex_numIdES2_S2_EEvbbT2_NS_24const_host_device_scalarIT6_EEPKT1_S9_PKS3_PKT3_PKT4_PT5_21rocsparse_index_base_b
                                        ; -- End function
	.set _ZN9rocsparseL21csrmvt_general_kernelILj256ELj16Elid21rocsparse_complex_numIdES2_S2_EEvbbT2_NS_24const_host_device_scalarIT6_EEPKT1_S9_PKS3_PKT3_PKT4_PT5_21rocsparse_index_base_b.num_vgpr, 34
	.set _ZN9rocsparseL21csrmvt_general_kernelILj256ELj16Elid21rocsparse_complex_numIdES2_S2_EEvbbT2_NS_24const_host_device_scalarIT6_EEPKT1_S9_PKS3_PKT3_PKT4_PT5_21rocsparse_index_base_b.num_agpr, 0
	.set _ZN9rocsparseL21csrmvt_general_kernelILj256ELj16Elid21rocsparse_complex_numIdES2_S2_EEvbbT2_NS_24const_host_device_scalarIT6_EEPKT1_S9_PKS3_PKT3_PKT4_PT5_21rocsparse_index_base_b.numbered_sgpr, 21
	.set _ZN9rocsparseL21csrmvt_general_kernelILj256ELj16Elid21rocsparse_complex_numIdES2_S2_EEvbbT2_NS_24const_host_device_scalarIT6_EEPKT1_S9_PKS3_PKT3_PKT4_PT5_21rocsparse_index_base_b.num_named_barrier, 0
	.set _ZN9rocsparseL21csrmvt_general_kernelILj256ELj16Elid21rocsparse_complex_numIdES2_S2_EEvbbT2_NS_24const_host_device_scalarIT6_EEPKT1_S9_PKS3_PKT3_PKT4_PT5_21rocsparse_index_base_b.private_seg_size, 0
	.set _ZN9rocsparseL21csrmvt_general_kernelILj256ELj16Elid21rocsparse_complex_numIdES2_S2_EEvbbT2_NS_24const_host_device_scalarIT6_EEPKT1_S9_PKS3_PKT3_PKT4_PT5_21rocsparse_index_base_b.uses_vcc, 1
	.set _ZN9rocsparseL21csrmvt_general_kernelILj256ELj16Elid21rocsparse_complex_numIdES2_S2_EEvbbT2_NS_24const_host_device_scalarIT6_EEPKT1_S9_PKS3_PKT3_PKT4_PT5_21rocsparse_index_base_b.uses_flat_scratch, 0
	.set _ZN9rocsparseL21csrmvt_general_kernelILj256ELj16Elid21rocsparse_complex_numIdES2_S2_EEvbbT2_NS_24const_host_device_scalarIT6_EEPKT1_S9_PKS3_PKT3_PKT4_PT5_21rocsparse_index_base_b.has_dyn_sized_stack, 0
	.set _ZN9rocsparseL21csrmvt_general_kernelILj256ELj16Elid21rocsparse_complex_numIdES2_S2_EEvbbT2_NS_24const_host_device_scalarIT6_EEPKT1_S9_PKS3_PKT3_PKT4_PT5_21rocsparse_index_base_b.has_recursion, 0
	.set _ZN9rocsparseL21csrmvt_general_kernelILj256ELj16Elid21rocsparse_complex_numIdES2_S2_EEvbbT2_NS_24const_host_device_scalarIT6_EEPKT1_S9_PKS3_PKT3_PKT4_PT5_21rocsparse_index_base_b.has_indirect_call, 0
	.section	.AMDGPU.csdata,"",@progbits
; Kernel info:
; codeLenInByte = 1032
; TotalNumSgprs: 23
; NumVgprs: 34
; ScratchSize: 0
; MemoryBound: 0
; FloatMode: 240
; IeeeMode: 1
; LDSByteSize: 0 bytes/workgroup (compile time only)
; SGPRBlocks: 0
; VGPRBlocks: 2
; NumSGPRsForWavesPerEU: 23
; NumVGPRsForWavesPerEU: 34
; NamedBarCnt: 0
; Occupancy: 16
; WaveLimiterHint : 1
; COMPUTE_PGM_RSRC2:SCRATCH_EN: 0
; COMPUTE_PGM_RSRC2:USER_SGPR: 2
; COMPUTE_PGM_RSRC2:TRAP_HANDLER: 0
; COMPUTE_PGM_RSRC2:TGID_X_EN: 1
; COMPUTE_PGM_RSRC2:TGID_Y_EN: 0
; COMPUTE_PGM_RSRC2:TGID_Z_EN: 0
; COMPUTE_PGM_RSRC2:TIDIG_COMP_CNT: 0
	.section	.text._ZN9rocsparseL21csrmvt_general_kernelILj256ELj32Elid21rocsparse_complex_numIdES2_S2_EEvbbT2_NS_24const_host_device_scalarIT6_EEPKT1_S9_PKS3_PKT3_PKT4_PT5_21rocsparse_index_base_b,"axG",@progbits,_ZN9rocsparseL21csrmvt_general_kernelILj256ELj32Elid21rocsparse_complex_numIdES2_S2_EEvbbT2_NS_24const_host_device_scalarIT6_EEPKT1_S9_PKS3_PKT3_PKT4_PT5_21rocsparse_index_base_b,comdat
	.globl	_ZN9rocsparseL21csrmvt_general_kernelILj256ELj32Elid21rocsparse_complex_numIdES2_S2_EEvbbT2_NS_24const_host_device_scalarIT6_EEPKT1_S9_PKS3_PKT3_PKT4_PT5_21rocsparse_index_base_b ; -- Begin function _ZN9rocsparseL21csrmvt_general_kernelILj256ELj32Elid21rocsparse_complex_numIdES2_S2_EEvbbT2_NS_24const_host_device_scalarIT6_EEPKT1_S9_PKS3_PKT3_PKT4_PT5_21rocsparse_index_base_b
	.p2align	8
	.type	_ZN9rocsparseL21csrmvt_general_kernelILj256ELj32Elid21rocsparse_complex_numIdES2_S2_EEvbbT2_NS_24const_host_device_scalarIT6_EEPKT1_S9_PKS3_PKT3_PKT4_PT5_21rocsparse_index_base_b,@function
_ZN9rocsparseL21csrmvt_general_kernelILj256ELj32Elid21rocsparse_complex_numIdES2_S2_EEvbbT2_NS_24const_host_device_scalarIT6_EEPKT1_S9_PKS3_PKT3_PKT4_PT5_21rocsparse_index_base_b: ; @_ZN9rocsparseL21csrmvt_general_kernelILj256ELj32Elid21rocsparse_complex_numIdES2_S2_EEvbbT2_NS_24const_host_device_scalarIT6_EEPKT1_S9_PKS3_PKT3_PKT4_PT5_21rocsparse_index_base_b
; %bb.0:
	s_clause 0x1
	s_load_b64 s[16:17], s[0:1], 0x48
	s_load_b64 s[2:3], s[0:1], 0x8
	v_mov_b32_e32 v1, 0
	s_add_nc_u64 s[4:5], s[0:1], 8
	s_wait_kmcnt 0x0
	s_bitcmp1_b32 s17, 0
	s_cselect_b32 s3, s5, s3
	s_cselect_b32 s2, s4, s2
	flat_load_b128 v[2:5], v1, s[2:3]
	s_wait_loadcnt_dscnt 0x0
	v_cmp_neq_f64_e32 vcc_lo, 0, v[2:3]
	v_cmp_neq_f64_e64 s2, 0, v[4:5]
	s_or_b32 s2, vcc_lo, s2
	s_delay_alu instid0(SALU_CYCLE_1)
	s_and_saveexec_b32 s3, s2
	s_cbranch_execz .LBB350_18
; %bb.1:
	s_clause 0x3
	s_load_b64 s[2:3], s[0:1], 0x0
	s_load_b32 s17, s[0:1], 0x50
	s_load_b128 s[12:15], s[0:1], 0x38
	s_load_b256 s[4:11], s[0:1], 0x18
	s_wait_xcnt 0x0
	s_bfe_u32 s0, ttmp6, 0x4000c
	s_and_b32 s18, ttmp6, 15
	s_add_co_i32 s0, s0, 1
	s_getreg_b32 s19, hwreg(HW_REG_IB_STS2, 6, 4)
	s_mul_i32 s0, ttmp9, s0
	s_delay_alu instid0(SALU_CYCLE_1)
	s_add_co_i32 s18, s18, s0
	s_wait_kmcnt 0x0
	s_and_b32 s2, s2, 1
	s_lshl_b32 s1, s17, 3
	s_cmp_eq_u32 s19, 0
	s_cselect_b32 s0, ttmp9, s18
	s_cmp_eq_u32 s2, 0
	v_lshl_or_b32 v1, s0, 8, v0
	s_mov_b32 s2, -1
	s_delay_alu instid0(VALU_DEP_1) | instskip(NEXT) | instid1(VALU_DEP_1)
	v_dual_lshrrev_b32 v6, 5, v1 :: v_dual_bitop2_b32 v0, 31, v0 bitop3:0x40
	v_cmp_gt_i32_e64 s0, s3, v6
	s_cbranch_scc0 .LBB350_9
; %bb.2:
	s_and_saveexec_b32 s2, s0
	s_cbranch_execz .LBB350_8
; %bb.3:
	v_dual_mov_b32 v1, 0 :: v_dual_mov_b32 v10, v6
	s_mov_b32 s17, 0
	s_delay_alu instid0(SALU_CYCLE_1) | instskip(NEXT) | instid1(VALU_DEP_1)
	s_mov_b32 s18, s17
	v_sub_nc_u64_e64 v[8:9], v[0:1], s[16:17]
	s_branch .LBB350_5
.LBB350_4:                              ;   in Loop: Header=BB350_5 Depth=1
	s_or_b32 exec_lo, exec_lo, s19
	v_add_nc_u32_e32 v10, s1, v10
	s_delay_alu instid0(VALU_DEP_1) | instskip(SKIP_1) | instid1(SALU_CYCLE_1)
	v_cmp_le_i32_e32 vcc_lo, s3, v10
	s_or_b32 s18, vcc_lo, s18
	s_and_not1_b32 exec_lo, exec_lo, s18
	s_cbranch_execz .LBB350_8
.LBB350_5:                              ; =>This Loop Header: Depth=1
                                        ;     Child Loop BB350_7 Depth 2
	s_clause 0x1
	global_load_b64 v[12:13], v10, s[6:7] scale_offset
	global_load_b64 v[14:15], v10, s[4:5] scale_offset
	s_mov_b32 s19, exec_lo
	s_wait_loadcnt 0x1
	v_sub_nc_u64_e64 v[12:13], v[12:13], s[16:17]
	s_wait_loadcnt 0x0
	v_add_nc_u64_e32 v[14:15], v[14:15], v[8:9]
	s_wait_xcnt 0x0
	s_delay_alu instid0(VALU_DEP_1)
	v_cmpx_lt_i64_e64 v[14:15], v[12:13]
	s_cbranch_execz .LBB350_4
; %bb.6:                                ;   in Loop: Header=BB350_5 Depth=1
	v_ashrrev_i32_e32 v11, 31, v10
	v_lshl_add_u64 v[24:25], v[14:15], 2, s[8:9]
	v_lshl_add_u64 v[26:27], v[14:15], 3, s[10:11]
	s_mov_b32 s20, 0
	s_delay_alu instid0(VALU_DEP_3)
	v_lshl_add_u64 v[16:17], v[10:11], 4, s[12:13]
	global_load_b128 v[20:23], v[16:17], off
	s_wait_loadcnt 0x0
	s_wait_xcnt 0x0
	v_mul_f64_e32 v[16:17], v[2:3], v[22:23]
	v_mul_f64_e64 v[18:19], v[22:23], -v[4:5]
	s_delay_alu instid0(VALU_DEP_2) | instskip(NEXT) | instid1(VALU_DEP_2)
	v_fmac_f64_e32 v[16:17], v[4:5], v[20:21]
	v_fmac_f64_e32 v[18:19], v[2:3], v[20:21]
	s_delay_alu instid0(VALU_DEP_2) | instskip(NEXT) | instid1(VALU_DEP_2)
	v_mul_f64_e32 v[20:21], 0x80000000, v[16:17]
	v_mul_f64_e32 v[22:23], 0, v[18:19]
.LBB350_7:                              ;   Parent Loop BB350_5 Depth=1
                                        ; =>  This Inner Loop Header: Depth=2
	global_load_b64 v[28:29], v[26:27], off
	global_load_b32 v1, v[24:25], off
	v_add_nc_u64_e32 v[14:15], 32, v[14:15]
	s_wait_xcnt 0x0
	v_add_nc_u64_e32 v[24:25], 0x80, v[24:25]
	v_add_nc_u64_e32 v[26:27], 0x100, v[26:27]
	s_delay_alu instid0(VALU_DEP_3)
	v_cmp_ge_i64_e32 vcc_lo, v[14:15], v[12:13]
	s_or_b32 s20, vcc_lo, s20
	s_wait_loadcnt 0x1
	v_fma_f64 v[30:31], v[18:19], v[28:29], v[20:21]
	v_fma_f64 v[28:29], v[16:17], v[28:29], v[22:23]
	s_wait_loadcnt 0x0
	v_subrev_nc_u32_e32 v32, s16, v1
	s_delay_alu instid0(VALU_DEP_1) | instskip(NEXT) | instid1(VALU_DEP_1)
	v_ashrrev_i32_e32 v33, 31, v32
	v_lshl_add_u64 v[32:33], v[32:33], 4, s[14:15]
	global_atomic_add_f64 v[32:33], v[30:31], off scope:SCOPE_DEV
	s_wait_xcnt 0x0
	global_atomic_add_f64 v[32:33], v[28:29], off offset:8 scope:SCOPE_DEV
	s_wait_xcnt 0x0
	s_and_not1_b32 exec_lo, exec_lo, s20
	s_cbranch_execnz .LBB350_7
	s_branch .LBB350_4
.LBB350_8:
	s_or_b32 exec_lo, exec_lo, s2
	s_mov_b32 s2, 0
.LBB350_9:
	s_delay_alu instid0(SALU_CYCLE_1)
	s_and_not1_b32 vcc_lo, exec_lo, s2
	s_cbranch_vccnz .LBB350_18
; %bb.10:
	s_and_b32 exec_lo, exec_lo, s0
	s_cbranch_execz .LBB350_18
; %bb.11:
	v_mov_b32_e32 v1, 0
	s_mov_b32 s17, 0
	s_delay_alu instid0(SALU_CYCLE_1) | instskip(NEXT) | instid1(VALU_DEP_1)
	s_mov_b32 s0, s17
	v_sub_nc_u64_e64 v[0:1], v[0:1], s[16:17]
	s_branch .LBB350_13
.LBB350_12:                             ;   in Loop: Header=BB350_13 Depth=1
	s_or_b32 exec_lo, exec_lo, s2
	v_add_nc_u32_e32 v6, s1, v6
	s_delay_alu instid0(VALU_DEP_1) | instskip(SKIP_1) | instid1(SALU_CYCLE_1)
	v_cmp_le_i32_e32 vcc_lo, s3, v6
	s_or_b32 s0, vcc_lo, s0
	s_and_not1_b32 exec_lo, exec_lo, s0
	s_cbranch_execz .LBB350_18
.LBB350_13:                             ; =>This Loop Header: Depth=1
                                        ;     Child Loop BB350_16 Depth 2
	s_clause 0x1
	global_load_b64 v[8:9], v6, s[6:7] scale_offset
	global_load_b64 v[10:11], v6, s[4:5] scale_offset
	s_mov_b32 s2, exec_lo
	s_wait_loadcnt 0x1
	v_sub_nc_u64_e64 v[8:9], v[8:9], s[16:17]
	s_wait_loadcnt 0x0
	v_add_nc_u64_e32 v[10:11], v[10:11], v[0:1]
	s_wait_xcnt 0x0
	s_delay_alu instid0(VALU_DEP_1)
	v_cmpx_lt_i64_e64 v[10:11], v[8:9]
	s_cbranch_execz .LBB350_12
; %bb.14:                               ;   in Loop: Header=BB350_13 Depth=1
	v_ashrrev_i32_e32 v7, 31, v6
	v_lshl_add_u64 v[20:21], v[10:11], 2, s[8:9]
	v_lshl_add_u64 v[22:23], v[10:11], 3, s[10:11]
	s_mov_b32 s18, 0
	s_delay_alu instid0(VALU_DEP_3) | instskip(SKIP_4) | instid1(VALU_DEP_2)
	v_lshl_add_u64 v[12:13], v[6:7], 4, s[12:13]
	global_load_b128 v[16:19], v[12:13], off
	s_wait_loadcnt 0x0
	v_mul_f64_e32 v[12:13], v[2:3], v[18:19]
	v_mul_f64_e64 v[14:15], v[18:19], -v[4:5]
	v_fmac_f64_e32 v[12:13], v[4:5], v[16:17]
	s_delay_alu instid0(VALU_DEP_2) | instskip(NEXT) | instid1(VALU_DEP_2)
	v_fmac_f64_e32 v[14:15], v[2:3], v[16:17]
	v_mul_f64_e32 v[16:17], 0x80000000, v[12:13]
	s_delay_alu instid0(VALU_DEP_2)
	v_mul_f64_e32 v[18:19], 0, v[14:15]
	s_branch .LBB350_16
.LBB350_15:                             ;   in Loop: Header=BB350_16 Depth=2
	s_wait_xcnt 0x0
	s_or_b32 exec_lo, exec_lo, s19
	v_add_nc_u64_e32 v[10:11], 32, v[10:11]
	v_add_nc_u64_e32 v[20:21], 0x80, v[20:21]
	;; [unrolled: 1-line block ×3, first 2 shown]
	s_delay_alu instid0(VALU_DEP_3) | instskip(SKIP_1) | instid1(SALU_CYCLE_1)
	v_cmp_ge_i64_e32 vcc_lo, v[10:11], v[8:9]
	s_or_b32 s18, vcc_lo, s18
	s_and_not1_b32 exec_lo, exec_lo, s18
	s_cbranch_execz .LBB350_12
.LBB350_16:                             ;   Parent Loop BB350_13 Depth=1
                                        ; =>  This Inner Loop Header: Depth=2
	global_load_b32 v7, v[20:21], off
	s_mov_b32 s19, exec_lo
	s_wait_loadcnt 0x0
	v_subrev_nc_u32_e32 v24, s16, v7
	s_wait_xcnt 0x0
	s_delay_alu instid0(VALU_DEP_1)
	v_cmpx_ne_u32_e64 v24, v6
	s_cbranch_execz .LBB350_15
; %bb.17:                               ;   in Loop: Header=BB350_16 Depth=2
	global_load_b64 v[26:27], v[22:23], off
	v_ashrrev_i32_e32 v25, 31, v24
	s_delay_alu instid0(VALU_DEP_1)
	v_lshl_add_u64 v[24:25], v[24:25], 4, s[14:15]
	s_wait_loadcnt 0x0
	v_fma_f64 v[28:29], v[14:15], v[26:27], v[16:17]
	v_fma_f64 v[26:27], v[12:13], v[26:27], v[18:19]
	s_wait_xcnt 0x0
	global_atomic_add_f64 v[24:25], v[28:29], off scope:SCOPE_DEV
	s_wait_xcnt 0x0
	global_atomic_add_f64 v[24:25], v[26:27], off offset:8 scope:SCOPE_DEV
	s_branch .LBB350_15
.LBB350_18:
	s_endpgm
	.section	.rodata,"a",@progbits
	.p2align	6, 0x0
	.amdhsa_kernel _ZN9rocsparseL21csrmvt_general_kernelILj256ELj32Elid21rocsparse_complex_numIdES2_S2_EEvbbT2_NS_24const_host_device_scalarIT6_EEPKT1_S9_PKS3_PKT3_PKT4_PT5_21rocsparse_index_base_b
		.amdhsa_group_segment_fixed_size 0
		.amdhsa_private_segment_fixed_size 0
		.amdhsa_kernarg_size 336
		.amdhsa_user_sgpr_count 2
		.amdhsa_user_sgpr_dispatch_ptr 0
		.amdhsa_user_sgpr_queue_ptr 0
		.amdhsa_user_sgpr_kernarg_segment_ptr 1
		.amdhsa_user_sgpr_dispatch_id 0
		.amdhsa_user_sgpr_kernarg_preload_length 0
		.amdhsa_user_sgpr_kernarg_preload_offset 0
		.amdhsa_user_sgpr_private_segment_size 0
		.amdhsa_wavefront_size32 1
		.amdhsa_uses_dynamic_stack 0
		.amdhsa_enable_private_segment 0
		.amdhsa_system_sgpr_workgroup_id_x 1
		.amdhsa_system_sgpr_workgroup_id_y 0
		.amdhsa_system_sgpr_workgroup_id_z 0
		.amdhsa_system_sgpr_workgroup_info 0
		.amdhsa_system_vgpr_workitem_id 0
		.amdhsa_next_free_vgpr 34
		.amdhsa_next_free_sgpr 21
		.amdhsa_named_barrier_count 0
		.amdhsa_reserve_vcc 1
		.amdhsa_float_round_mode_32 0
		.amdhsa_float_round_mode_16_64 0
		.amdhsa_float_denorm_mode_32 3
		.amdhsa_float_denorm_mode_16_64 3
		.amdhsa_fp16_overflow 0
		.amdhsa_memory_ordered 1
		.amdhsa_forward_progress 1
		.amdhsa_inst_pref_size 9
		.amdhsa_round_robin_scheduling 0
		.amdhsa_exception_fp_ieee_invalid_op 0
		.amdhsa_exception_fp_denorm_src 0
		.amdhsa_exception_fp_ieee_div_zero 0
		.amdhsa_exception_fp_ieee_overflow 0
		.amdhsa_exception_fp_ieee_underflow 0
		.amdhsa_exception_fp_ieee_inexact 0
		.amdhsa_exception_int_div_zero 0
	.end_amdhsa_kernel
	.section	.text._ZN9rocsparseL21csrmvt_general_kernelILj256ELj32Elid21rocsparse_complex_numIdES2_S2_EEvbbT2_NS_24const_host_device_scalarIT6_EEPKT1_S9_PKS3_PKT3_PKT4_PT5_21rocsparse_index_base_b,"axG",@progbits,_ZN9rocsparseL21csrmvt_general_kernelILj256ELj32Elid21rocsparse_complex_numIdES2_S2_EEvbbT2_NS_24const_host_device_scalarIT6_EEPKT1_S9_PKS3_PKT3_PKT4_PT5_21rocsparse_index_base_b,comdat
.Lfunc_end350:
	.size	_ZN9rocsparseL21csrmvt_general_kernelILj256ELj32Elid21rocsparse_complex_numIdES2_S2_EEvbbT2_NS_24const_host_device_scalarIT6_EEPKT1_S9_PKS3_PKT3_PKT4_PT5_21rocsparse_index_base_b, .Lfunc_end350-_ZN9rocsparseL21csrmvt_general_kernelILj256ELj32Elid21rocsparse_complex_numIdES2_S2_EEvbbT2_NS_24const_host_device_scalarIT6_EEPKT1_S9_PKS3_PKT3_PKT4_PT5_21rocsparse_index_base_b
                                        ; -- End function
	.set _ZN9rocsparseL21csrmvt_general_kernelILj256ELj32Elid21rocsparse_complex_numIdES2_S2_EEvbbT2_NS_24const_host_device_scalarIT6_EEPKT1_S9_PKS3_PKT3_PKT4_PT5_21rocsparse_index_base_b.num_vgpr, 34
	.set _ZN9rocsparseL21csrmvt_general_kernelILj256ELj32Elid21rocsparse_complex_numIdES2_S2_EEvbbT2_NS_24const_host_device_scalarIT6_EEPKT1_S9_PKS3_PKT3_PKT4_PT5_21rocsparse_index_base_b.num_agpr, 0
	.set _ZN9rocsparseL21csrmvt_general_kernelILj256ELj32Elid21rocsparse_complex_numIdES2_S2_EEvbbT2_NS_24const_host_device_scalarIT6_EEPKT1_S9_PKS3_PKT3_PKT4_PT5_21rocsparse_index_base_b.numbered_sgpr, 21
	.set _ZN9rocsparseL21csrmvt_general_kernelILj256ELj32Elid21rocsparse_complex_numIdES2_S2_EEvbbT2_NS_24const_host_device_scalarIT6_EEPKT1_S9_PKS3_PKT3_PKT4_PT5_21rocsparse_index_base_b.num_named_barrier, 0
	.set _ZN9rocsparseL21csrmvt_general_kernelILj256ELj32Elid21rocsparse_complex_numIdES2_S2_EEvbbT2_NS_24const_host_device_scalarIT6_EEPKT1_S9_PKS3_PKT3_PKT4_PT5_21rocsparse_index_base_b.private_seg_size, 0
	.set _ZN9rocsparseL21csrmvt_general_kernelILj256ELj32Elid21rocsparse_complex_numIdES2_S2_EEvbbT2_NS_24const_host_device_scalarIT6_EEPKT1_S9_PKS3_PKT3_PKT4_PT5_21rocsparse_index_base_b.uses_vcc, 1
	.set _ZN9rocsparseL21csrmvt_general_kernelILj256ELj32Elid21rocsparse_complex_numIdES2_S2_EEvbbT2_NS_24const_host_device_scalarIT6_EEPKT1_S9_PKS3_PKT3_PKT4_PT5_21rocsparse_index_base_b.uses_flat_scratch, 0
	.set _ZN9rocsparseL21csrmvt_general_kernelILj256ELj32Elid21rocsparse_complex_numIdES2_S2_EEvbbT2_NS_24const_host_device_scalarIT6_EEPKT1_S9_PKS3_PKT3_PKT4_PT5_21rocsparse_index_base_b.has_dyn_sized_stack, 0
	.set _ZN9rocsparseL21csrmvt_general_kernelILj256ELj32Elid21rocsparse_complex_numIdES2_S2_EEvbbT2_NS_24const_host_device_scalarIT6_EEPKT1_S9_PKS3_PKT3_PKT4_PT5_21rocsparse_index_base_b.has_recursion, 0
	.set _ZN9rocsparseL21csrmvt_general_kernelILj256ELj32Elid21rocsparse_complex_numIdES2_S2_EEvbbT2_NS_24const_host_device_scalarIT6_EEPKT1_S9_PKS3_PKT3_PKT4_PT5_21rocsparse_index_base_b.has_indirect_call, 0
	.section	.AMDGPU.csdata,"",@progbits
; Kernel info:
; codeLenInByte = 1040
; TotalNumSgprs: 23
; NumVgprs: 34
; ScratchSize: 0
; MemoryBound: 0
; FloatMode: 240
; IeeeMode: 1
; LDSByteSize: 0 bytes/workgroup (compile time only)
; SGPRBlocks: 0
; VGPRBlocks: 2
; NumSGPRsForWavesPerEU: 23
; NumVGPRsForWavesPerEU: 34
; NamedBarCnt: 0
; Occupancy: 16
; WaveLimiterHint : 1
; COMPUTE_PGM_RSRC2:SCRATCH_EN: 0
; COMPUTE_PGM_RSRC2:USER_SGPR: 2
; COMPUTE_PGM_RSRC2:TRAP_HANDLER: 0
; COMPUTE_PGM_RSRC2:TGID_X_EN: 1
; COMPUTE_PGM_RSRC2:TGID_Y_EN: 0
; COMPUTE_PGM_RSRC2:TGID_Z_EN: 0
; COMPUTE_PGM_RSRC2:TIDIG_COMP_CNT: 0
	.section	.text._ZN9rocsparseL21csrmvt_general_kernelILj256ELj64Elid21rocsparse_complex_numIdES2_S2_EEvbbT2_NS_24const_host_device_scalarIT6_EEPKT1_S9_PKS3_PKT3_PKT4_PT5_21rocsparse_index_base_b,"axG",@progbits,_ZN9rocsparseL21csrmvt_general_kernelILj256ELj64Elid21rocsparse_complex_numIdES2_S2_EEvbbT2_NS_24const_host_device_scalarIT6_EEPKT1_S9_PKS3_PKT3_PKT4_PT5_21rocsparse_index_base_b,comdat
	.globl	_ZN9rocsparseL21csrmvt_general_kernelILj256ELj64Elid21rocsparse_complex_numIdES2_S2_EEvbbT2_NS_24const_host_device_scalarIT6_EEPKT1_S9_PKS3_PKT3_PKT4_PT5_21rocsparse_index_base_b ; -- Begin function _ZN9rocsparseL21csrmvt_general_kernelILj256ELj64Elid21rocsparse_complex_numIdES2_S2_EEvbbT2_NS_24const_host_device_scalarIT6_EEPKT1_S9_PKS3_PKT3_PKT4_PT5_21rocsparse_index_base_b
	.p2align	8
	.type	_ZN9rocsparseL21csrmvt_general_kernelILj256ELj64Elid21rocsparse_complex_numIdES2_S2_EEvbbT2_NS_24const_host_device_scalarIT6_EEPKT1_S9_PKS3_PKT3_PKT4_PT5_21rocsparse_index_base_b,@function
_ZN9rocsparseL21csrmvt_general_kernelILj256ELj64Elid21rocsparse_complex_numIdES2_S2_EEvbbT2_NS_24const_host_device_scalarIT6_EEPKT1_S9_PKS3_PKT3_PKT4_PT5_21rocsparse_index_base_b: ; @_ZN9rocsparseL21csrmvt_general_kernelILj256ELj64Elid21rocsparse_complex_numIdES2_S2_EEvbbT2_NS_24const_host_device_scalarIT6_EEPKT1_S9_PKS3_PKT3_PKT4_PT5_21rocsparse_index_base_b
; %bb.0:
	s_clause 0x1
	s_load_b64 s[16:17], s[0:1], 0x48
	s_load_b64 s[2:3], s[0:1], 0x8
	v_mov_b32_e32 v1, 0
	s_add_nc_u64 s[4:5], s[0:1], 8
	s_wait_kmcnt 0x0
	s_bitcmp1_b32 s17, 0
	s_cselect_b32 s3, s5, s3
	s_cselect_b32 s2, s4, s2
	flat_load_b128 v[2:5], v1, s[2:3]
	s_wait_loadcnt_dscnt 0x0
	v_cmp_neq_f64_e32 vcc_lo, 0, v[2:3]
	v_cmp_neq_f64_e64 s2, 0, v[4:5]
	s_or_b32 s2, vcc_lo, s2
	s_delay_alu instid0(SALU_CYCLE_1)
	s_and_saveexec_b32 s3, s2
	s_cbranch_execz .LBB351_18
; %bb.1:
	s_clause 0x3
	s_load_b64 s[2:3], s[0:1], 0x0
	s_load_b32 s17, s[0:1], 0x50
	s_load_b128 s[12:15], s[0:1], 0x38
	s_load_b256 s[4:11], s[0:1], 0x18
	s_wait_xcnt 0x0
	s_bfe_u32 s0, ttmp6, 0x4000c
	s_and_b32 s18, ttmp6, 15
	s_add_co_i32 s0, s0, 1
	s_getreg_b32 s19, hwreg(HW_REG_IB_STS2, 6, 4)
	s_mul_i32 s0, ttmp9, s0
	s_delay_alu instid0(SALU_CYCLE_1)
	s_add_co_i32 s18, s18, s0
	s_wait_kmcnt 0x0
	s_and_b32 s2, s2, 1
	s_lshl_b32 s1, s17, 2
	s_cmp_eq_u32 s19, 0
	s_cselect_b32 s0, ttmp9, s18
	s_cmp_eq_u32 s2, 0
	v_lshl_or_b32 v1, s0, 8, v0
	s_mov_b32 s2, -1
	s_delay_alu instid0(VALU_DEP_1) | instskip(NEXT) | instid1(VALU_DEP_1)
	v_dual_lshrrev_b32 v6, 6, v1 :: v_dual_bitop2_b32 v0, 63, v0 bitop3:0x40
	v_cmp_gt_i32_e64 s0, s3, v6
	s_cbranch_scc0 .LBB351_9
; %bb.2:
	s_and_saveexec_b32 s2, s0
	s_cbranch_execz .LBB351_8
; %bb.3:
	v_dual_mov_b32 v1, 0 :: v_dual_mov_b32 v10, v6
	s_mov_b32 s17, 0
	s_delay_alu instid0(SALU_CYCLE_1) | instskip(NEXT) | instid1(VALU_DEP_1)
	s_mov_b32 s18, s17
	v_sub_nc_u64_e64 v[8:9], v[0:1], s[16:17]
	s_branch .LBB351_5
.LBB351_4:                              ;   in Loop: Header=BB351_5 Depth=1
	s_or_b32 exec_lo, exec_lo, s19
	v_add_nc_u32_e32 v10, s1, v10
	s_delay_alu instid0(VALU_DEP_1) | instskip(SKIP_1) | instid1(SALU_CYCLE_1)
	v_cmp_le_i32_e32 vcc_lo, s3, v10
	s_or_b32 s18, vcc_lo, s18
	s_and_not1_b32 exec_lo, exec_lo, s18
	s_cbranch_execz .LBB351_8
.LBB351_5:                              ; =>This Loop Header: Depth=1
                                        ;     Child Loop BB351_7 Depth 2
	s_clause 0x1
	global_load_b64 v[12:13], v10, s[6:7] scale_offset
	global_load_b64 v[14:15], v10, s[4:5] scale_offset
	s_mov_b32 s19, exec_lo
	s_wait_loadcnt 0x1
	v_sub_nc_u64_e64 v[12:13], v[12:13], s[16:17]
	s_wait_loadcnt 0x0
	v_add_nc_u64_e32 v[14:15], v[14:15], v[8:9]
	s_wait_xcnt 0x0
	s_delay_alu instid0(VALU_DEP_1)
	v_cmpx_lt_i64_e64 v[14:15], v[12:13]
	s_cbranch_execz .LBB351_4
; %bb.6:                                ;   in Loop: Header=BB351_5 Depth=1
	v_ashrrev_i32_e32 v11, 31, v10
	v_lshl_add_u64 v[24:25], v[14:15], 2, s[8:9]
	v_lshl_add_u64 v[26:27], v[14:15], 3, s[10:11]
	s_mov_b32 s20, 0
	s_delay_alu instid0(VALU_DEP_3)
	v_lshl_add_u64 v[16:17], v[10:11], 4, s[12:13]
	global_load_b128 v[20:23], v[16:17], off
	s_wait_loadcnt 0x0
	s_wait_xcnt 0x0
	v_mul_f64_e32 v[16:17], v[2:3], v[22:23]
	v_mul_f64_e64 v[18:19], v[22:23], -v[4:5]
	s_delay_alu instid0(VALU_DEP_2) | instskip(NEXT) | instid1(VALU_DEP_2)
	v_fmac_f64_e32 v[16:17], v[4:5], v[20:21]
	v_fmac_f64_e32 v[18:19], v[2:3], v[20:21]
	s_delay_alu instid0(VALU_DEP_2) | instskip(NEXT) | instid1(VALU_DEP_2)
	v_mul_f64_e32 v[20:21], 0x80000000, v[16:17]
	v_mul_f64_e32 v[22:23], 0, v[18:19]
.LBB351_7:                              ;   Parent Loop BB351_5 Depth=1
                                        ; =>  This Inner Loop Header: Depth=2
	global_load_b64 v[28:29], v[26:27], off
	global_load_b32 v1, v[24:25], off
	v_add_nc_u64_e32 v[14:15], 64, v[14:15]
	s_wait_xcnt 0x0
	v_add_nc_u64_e32 v[24:25], 0x100, v[24:25]
	v_add_nc_u64_e32 v[26:27], 0x200, v[26:27]
	s_delay_alu instid0(VALU_DEP_3)
	v_cmp_ge_i64_e32 vcc_lo, v[14:15], v[12:13]
	s_or_b32 s20, vcc_lo, s20
	s_wait_loadcnt 0x1
	v_fma_f64 v[30:31], v[18:19], v[28:29], v[20:21]
	v_fma_f64 v[28:29], v[16:17], v[28:29], v[22:23]
	s_wait_loadcnt 0x0
	v_subrev_nc_u32_e32 v32, s16, v1
	s_delay_alu instid0(VALU_DEP_1) | instskip(NEXT) | instid1(VALU_DEP_1)
	v_ashrrev_i32_e32 v33, 31, v32
	v_lshl_add_u64 v[32:33], v[32:33], 4, s[14:15]
	global_atomic_add_f64 v[32:33], v[30:31], off scope:SCOPE_DEV
	s_wait_xcnt 0x0
	global_atomic_add_f64 v[32:33], v[28:29], off offset:8 scope:SCOPE_DEV
	s_wait_xcnt 0x0
	s_and_not1_b32 exec_lo, exec_lo, s20
	s_cbranch_execnz .LBB351_7
	s_branch .LBB351_4
.LBB351_8:
	s_or_b32 exec_lo, exec_lo, s2
	s_mov_b32 s2, 0
.LBB351_9:
	s_delay_alu instid0(SALU_CYCLE_1)
	s_and_not1_b32 vcc_lo, exec_lo, s2
	s_cbranch_vccnz .LBB351_18
; %bb.10:
	s_and_b32 exec_lo, exec_lo, s0
	s_cbranch_execz .LBB351_18
; %bb.11:
	v_mov_b32_e32 v1, 0
	s_mov_b32 s17, 0
	s_delay_alu instid0(SALU_CYCLE_1) | instskip(NEXT) | instid1(VALU_DEP_1)
	s_mov_b32 s0, s17
	v_sub_nc_u64_e64 v[0:1], v[0:1], s[16:17]
	s_branch .LBB351_13
.LBB351_12:                             ;   in Loop: Header=BB351_13 Depth=1
	s_or_b32 exec_lo, exec_lo, s2
	v_add_nc_u32_e32 v6, s1, v6
	s_delay_alu instid0(VALU_DEP_1) | instskip(SKIP_1) | instid1(SALU_CYCLE_1)
	v_cmp_le_i32_e32 vcc_lo, s3, v6
	s_or_b32 s0, vcc_lo, s0
	s_and_not1_b32 exec_lo, exec_lo, s0
	s_cbranch_execz .LBB351_18
.LBB351_13:                             ; =>This Loop Header: Depth=1
                                        ;     Child Loop BB351_16 Depth 2
	s_clause 0x1
	global_load_b64 v[8:9], v6, s[6:7] scale_offset
	global_load_b64 v[10:11], v6, s[4:5] scale_offset
	s_mov_b32 s2, exec_lo
	s_wait_loadcnt 0x1
	v_sub_nc_u64_e64 v[8:9], v[8:9], s[16:17]
	s_wait_loadcnt 0x0
	v_add_nc_u64_e32 v[10:11], v[10:11], v[0:1]
	s_wait_xcnt 0x0
	s_delay_alu instid0(VALU_DEP_1)
	v_cmpx_lt_i64_e64 v[10:11], v[8:9]
	s_cbranch_execz .LBB351_12
; %bb.14:                               ;   in Loop: Header=BB351_13 Depth=1
	v_ashrrev_i32_e32 v7, 31, v6
	v_lshl_add_u64 v[20:21], v[10:11], 2, s[8:9]
	v_lshl_add_u64 v[22:23], v[10:11], 3, s[10:11]
	s_mov_b32 s18, 0
	s_delay_alu instid0(VALU_DEP_3) | instskip(SKIP_4) | instid1(VALU_DEP_2)
	v_lshl_add_u64 v[12:13], v[6:7], 4, s[12:13]
	global_load_b128 v[16:19], v[12:13], off
	s_wait_loadcnt 0x0
	v_mul_f64_e32 v[12:13], v[2:3], v[18:19]
	v_mul_f64_e64 v[14:15], v[18:19], -v[4:5]
	v_fmac_f64_e32 v[12:13], v[4:5], v[16:17]
	s_delay_alu instid0(VALU_DEP_2) | instskip(NEXT) | instid1(VALU_DEP_2)
	v_fmac_f64_e32 v[14:15], v[2:3], v[16:17]
	v_mul_f64_e32 v[16:17], 0x80000000, v[12:13]
	s_delay_alu instid0(VALU_DEP_2)
	v_mul_f64_e32 v[18:19], 0, v[14:15]
	s_branch .LBB351_16
.LBB351_15:                             ;   in Loop: Header=BB351_16 Depth=2
	s_wait_xcnt 0x0
	s_or_b32 exec_lo, exec_lo, s19
	v_add_nc_u64_e32 v[10:11], 64, v[10:11]
	v_add_nc_u64_e32 v[20:21], 0x100, v[20:21]
	;; [unrolled: 1-line block ×3, first 2 shown]
	s_delay_alu instid0(VALU_DEP_3) | instskip(SKIP_1) | instid1(SALU_CYCLE_1)
	v_cmp_ge_i64_e32 vcc_lo, v[10:11], v[8:9]
	s_or_b32 s18, vcc_lo, s18
	s_and_not1_b32 exec_lo, exec_lo, s18
	s_cbranch_execz .LBB351_12
.LBB351_16:                             ;   Parent Loop BB351_13 Depth=1
                                        ; =>  This Inner Loop Header: Depth=2
	global_load_b32 v7, v[20:21], off
	s_mov_b32 s19, exec_lo
	s_wait_loadcnt 0x0
	v_subrev_nc_u32_e32 v24, s16, v7
	s_wait_xcnt 0x0
	s_delay_alu instid0(VALU_DEP_1)
	v_cmpx_ne_u32_e64 v24, v6
	s_cbranch_execz .LBB351_15
; %bb.17:                               ;   in Loop: Header=BB351_16 Depth=2
	global_load_b64 v[26:27], v[22:23], off
	v_ashrrev_i32_e32 v25, 31, v24
	s_delay_alu instid0(VALU_DEP_1)
	v_lshl_add_u64 v[24:25], v[24:25], 4, s[14:15]
	s_wait_loadcnt 0x0
	v_fma_f64 v[28:29], v[14:15], v[26:27], v[16:17]
	v_fma_f64 v[26:27], v[12:13], v[26:27], v[18:19]
	s_wait_xcnt 0x0
	global_atomic_add_f64 v[24:25], v[28:29], off scope:SCOPE_DEV
	s_wait_xcnt 0x0
	global_atomic_add_f64 v[24:25], v[26:27], off offset:8 scope:SCOPE_DEV
	s_branch .LBB351_15
.LBB351_18:
	s_endpgm
	.section	.rodata,"a",@progbits
	.p2align	6, 0x0
	.amdhsa_kernel _ZN9rocsparseL21csrmvt_general_kernelILj256ELj64Elid21rocsparse_complex_numIdES2_S2_EEvbbT2_NS_24const_host_device_scalarIT6_EEPKT1_S9_PKS3_PKT3_PKT4_PT5_21rocsparse_index_base_b
		.amdhsa_group_segment_fixed_size 0
		.amdhsa_private_segment_fixed_size 0
		.amdhsa_kernarg_size 336
		.amdhsa_user_sgpr_count 2
		.amdhsa_user_sgpr_dispatch_ptr 0
		.amdhsa_user_sgpr_queue_ptr 0
		.amdhsa_user_sgpr_kernarg_segment_ptr 1
		.amdhsa_user_sgpr_dispatch_id 0
		.amdhsa_user_sgpr_kernarg_preload_length 0
		.amdhsa_user_sgpr_kernarg_preload_offset 0
		.amdhsa_user_sgpr_private_segment_size 0
		.amdhsa_wavefront_size32 1
		.amdhsa_uses_dynamic_stack 0
		.amdhsa_enable_private_segment 0
		.amdhsa_system_sgpr_workgroup_id_x 1
		.amdhsa_system_sgpr_workgroup_id_y 0
		.amdhsa_system_sgpr_workgroup_id_z 0
		.amdhsa_system_sgpr_workgroup_info 0
		.amdhsa_system_vgpr_workitem_id 0
		.amdhsa_next_free_vgpr 34
		.amdhsa_next_free_sgpr 21
		.amdhsa_named_barrier_count 0
		.amdhsa_reserve_vcc 1
		.amdhsa_float_round_mode_32 0
		.amdhsa_float_round_mode_16_64 0
		.amdhsa_float_denorm_mode_32 3
		.amdhsa_float_denorm_mode_16_64 3
		.amdhsa_fp16_overflow 0
		.amdhsa_memory_ordered 1
		.amdhsa_forward_progress 1
		.amdhsa_inst_pref_size 9
		.amdhsa_round_robin_scheduling 0
		.amdhsa_exception_fp_ieee_invalid_op 0
		.amdhsa_exception_fp_denorm_src 0
		.amdhsa_exception_fp_ieee_div_zero 0
		.amdhsa_exception_fp_ieee_overflow 0
		.amdhsa_exception_fp_ieee_underflow 0
		.amdhsa_exception_fp_ieee_inexact 0
		.amdhsa_exception_int_div_zero 0
	.end_amdhsa_kernel
	.section	.text._ZN9rocsparseL21csrmvt_general_kernelILj256ELj64Elid21rocsparse_complex_numIdES2_S2_EEvbbT2_NS_24const_host_device_scalarIT6_EEPKT1_S9_PKS3_PKT3_PKT4_PT5_21rocsparse_index_base_b,"axG",@progbits,_ZN9rocsparseL21csrmvt_general_kernelILj256ELj64Elid21rocsparse_complex_numIdES2_S2_EEvbbT2_NS_24const_host_device_scalarIT6_EEPKT1_S9_PKS3_PKT3_PKT4_PT5_21rocsparse_index_base_b,comdat
.Lfunc_end351:
	.size	_ZN9rocsparseL21csrmvt_general_kernelILj256ELj64Elid21rocsparse_complex_numIdES2_S2_EEvbbT2_NS_24const_host_device_scalarIT6_EEPKT1_S9_PKS3_PKT3_PKT4_PT5_21rocsparse_index_base_b, .Lfunc_end351-_ZN9rocsparseL21csrmvt_general_kernelILj256ELj64Elid21rocsparse_complex_numIdES2_S2_EEvbbT2_NS_24const_host_device_scalarIT6_EEPKT1_S9_PKS3_PKT3_PKT4_PT5_21rocsparse_index_base_b
                                        ; -- End function
	.set _ZN9rocsparseL21csrmvt_general_kernelILj256ELj64Elid21rocsparse_complex_numIdES2_S2_EEvbbT2_NS_24const_host_device_scalarIT6_EEPKT1_S9_PKS3_PKT3_PKT4_PT5_21rocsparse_index_base_b.num_vgpr, 34
	.set _ZN9rocsparseL21csrmvt_general_kernelILj256ELj64Elid21rocsparse_complex_numIdES2_S2_EEvbbT2_NS_24const_host_device_scalarIT6_EEPKT1_S9_PKS3_PKT3_PKT4_PT5_21rocsparse_index_base_b.num_agpr, 0
	.set _ZN9rocsparseL21csrmvt_general_kernelILj256ELj64Elid21rocsparse_complex_numIdES2_S2_EEvbbT2_NS_24const_host_device_scalarIT6_EEPKT1_S9_PKS3_PKT3_PKT4_PT5_21rocsparse_index_base_b.numbered_sgpr, 21
	.set _ZN9rocsparseL21csrmvt_general_kernelILj256ELj64Elid21rocsparse_complex_numIdES2_S2_EEvbbT2_NS_24const_host_device_scalarIT6_EEPKT1_S9_PKS3_PKT3_PKT4_PT5_21rocsparse_index_base_b.num_named_barrier, 0
	.set _ZN9rocsparseL21csrmvt_general_kernelILj256ELj64Elid21rocsparse_complex_numIdES2_S2_EEvbbT2_NS_24const_host_device_scalarIT6_EEPKT1_S9_PKS3_PKT3_PKT4_PT5_21rocsparse_index_base_b.private_seg_size, 0
	.set _ZN9rocsparseL21csrmvt_general_kernelILj256ELj64Elid21rocsparse_complex_numIdES2_S2_EEvbbT2_NS_24const_host_device_scalarIT6_EEPKT1_S9_PKS3_PKT3_PKT4_PT5_21rocsparse_index_base_b.uses_vcc, 1
	.set _ZN9rocsparseL21csrmvt_general_kernelILj256ELj64Elid21rocsparse_complex_numIdES2_S2_EEvbbT2_NS_24const_host_device_scalarIT6_EEPKT1_S9_PKS3_PKT3_PKT4_PT5_21rocsparse_index_base_b.uses_flat_scratch, 0
	.set _ZN9rocsparseL21csrmvt_general_kernelILj256ELj64Elid21rocsparse_complex_numIdES2_S2_EEvbbT2_NS_24const_host_device_scalarIT6_EEPKT1_S9_PKS3_PKT3_PKT4_PT5_21rocsparse_index_base_b.has_dyn_sized_stack, 0
	.set _ZN9rocsparseL21csrmvt_general_kernelILj256ELj64Elid21rocsparse_complex_numIdES2_S2_EEvbbT2_NS_24const_host_device_scalarIT6_EEPKT1_S9_PKS3_PKT3_PKT4_PT5_21rocsparse_index_base_b.has_recursion, 0
	.set _ZN9rocsparseL21csrmvt_general_kernelILj256ELj64Elid21rocsparse_complex_numIdES2_S2_EEvbbT2_NS_24const_host_device_scalarIT6_EEPKT1_S9_PKS3_PKT3_PKT4_PT5_21rocsparse_index_base_b.has_indirect_call, 0
	.section	.AMDGPU.csdata,"",@progbits
; Kernel info:
; codeLenInByte = 1040
; TotalNumSgprs: 23
; NumVgprs: 34
; ScratchSize: 0
; MemoryBound: 0
; FloatMode: 240
; IeeeMode: 1
; LDSByteSize: 0 bytes/workgroup (compile time only)
; SGPRBlocks: 0
; VGPRBlocks: 2
; NumSGPRsForWavesPerEU: 23
; NumVGPRsForWavesPerEU: 34
; NamedBarCnt: 0
; Occupancy: 16
; WaveLimiterHint : 1
; COMPUTE_PGM_RSRC2:SCRATCH_EN: 0
; COMPUTE_PGM_RSRC2:USER_SGPR: 2
; COMPUTE_PGM_RSRC2:TRAP_HANDLER: 0
; COMPUTE_PGM_RSRC2:TGID_X_EN: 1
; COMPUTE_PGM_RSRC2:TGID_Y_EN: 0
; COMPUTE_PGM_RSRC2:TGID_Z_EN: 0
; COMPUTE_PGM_RSRC2:TIDIG_COMP_CNT: 0
	.section	.text._ZN9rocsparseL21csrmvn_general_kernelILj256ELj2Elld21rocsparse_complex_numIdES2_S2_EEvbT2_NS_24const_host_device_scalarIT6_EEPKT1_S9_PKS3_PKT3_PKT4_S6_PT5_21rocsparse_index_base_b,"axG",@progbits,_ZN9rocsparseL21csrmvn_general_kernelILj256ELj2Elld21rocsparse_complex_numIdES2_S2_EEvbT2_NS_24const_host_device_scalarIT6_EEPKT1_S9_PKS3_PKT3_PKT4_S6_PT5_21rocsparse_index_base_b,comdat
	.globl	_ZN9rocsparseL21csrmvn_general_kernelILj256ELj2Elld21rocsparse_complex_numIdES2_S2_EEvbT2_NS_24const_host_device_scalarIT6_EEPKT1_S9_PKS3_PKT3_PKT4_S6_PT5_21rocsparse_index_base_b ; -- Begin function _ZN9rocsparseL21csrmvn_general_kernelILj256ELj2Elld21rocsparse_complex_numIdES2_S2_EEvbT2_NS_24const_host_device_scalarIT6_EEPKT1_S9_PKS3_PKT3_PKT4_S6_PT5_21rocsparse_index_base_b
	.p2align	8
	.type	_ZN9rocsparseL21csrmvn_general_kernelILj256ELj2Elld21rocsparse_complex_numIdES2_S2_EEvbT2_NS_24const_host_device_scalarIT6_EEPKT1_S9_PKS3_PKT3_PKT4_S6_PT5_21rocsparse_index_base_b,@function
_ZN9rocsparseL21csrmvn_general_kernelILj256ELj2Elld21rocsparse_complex_numIdES2_S2_EEvbT2_NS_24const_host_device_scalarIT6_EEPKT1_S9_PKS3_PKT3_PKT4_S6_PT5_21rocsparse_index_base_b: ; @_ZN9rocsparseL21csrmvn_general_kernelILj256ELj2Elld21rocsparse_complex_numIdES2_S2_EEvbT2_NS_24const_host_device_scalarIT6_EEPKT1_S9_PKS3_PKT3_PKT4_S6_PT5_21rocsparse_index_base_b
; %bb.0:
	s_clause 0x1
	s_load_b64 s[16:17], s[0:1], 0x60
	s_load_b128 s[12:15], s[0:1], 0x8
	v_mov_b32_e32 v1, 0
	s_add_nc_u64 s[2:3], s[0:1], 16
	s_load_b64 s[4:5], s[0:1], 0x48
	s_wait_kmcnt 0x0
	s_bitcmp1_b32 s17, 0
	s_cselect_b32 s3, s3, s15
	s_cselect_b32 s2, s2, s14
	flat_load_b128 v[2:5], v1, s[2:3]
	s_wait_xcnt 0x0
	s_add_nc_u64 s[2:3], s[0:1], 0x48
	s_delay_alu instid0(SALU_CYCLE_1)
	s_cselect_b32 s3, s3, s5
	s_cselect_b32 s2, s2, s4
	flat_load_b128 v[6:9], v1, s[2:3]
	s_wait_loadcnt_dscnt 0x101
	v_cmp_eq_f64_e32 vcc_lo, 0, v[2:3]
	s_wait_xcnt 0x0
	v_cmp_eq_f64_e64 s2, 0, v[4:5]
	s_and_b32 s4, vcc_lo, s2
	s_mov_b32 s2, -1
	s_and_saveexec_b32 s3, s4
	s_cbranch_execz .LBB352_2
; %bb.1:
	s_wait_loadcnt_dscnt 0x0
	v_cmp_neq_f64_e32 vcc_lo, 1.0, v[6:7]
	v_cmp_neq_f64_e64 s2, 0, v[8:9]
	s_or_b32 s2, vcc_lo, s2
	s_delay_alu instid0(SALU_CYCLE_1)
	s_or_not1_b32 s2, s2, exec_lo
.LBB352_2:
	s_or_b32 exec_lo, exec_lo, s3
	s_and_saveexec_b32 s3, s2
	s_cbranch_execz .LBB352_14
; %bb.3:
	s_bfe_u32 s2, ttmp6, 0x4000c
	s_and_b32 s3, ttmp6, 15
	s_add_co_i32 s2, s2, 1
	s_getreg_b32 s4, hwreg(HW_REG_IB_STS2, 6, 4)
	s_mul_i32 s2, ttmp9, s2
	s_mov_b32 s15, 0
	s_add_co_i32 s3, s3, s2
	s_cmp_eq_u32 s4, 0
	v_mov_b32_e32 v15, 0
	s_cselect_b32 s2, ttmp9, s3
	s_delay_alu instid0(SALU_CYCLE_1) | instskip(NEXT) | instid1(VALU_DEP_1)
	v_lshl_or_b32 v1, s2, 8, v0
	v_lshrrev_b32_e32 v14, 1, v1
	s_delay_alu instid0(VALU_DEP_1)
	v_cmp_gt_i64_e32 vcc_lo, s[12:13], v[14:15]
	s_and_b32 exec_lo, exec_lo, vcc_lo
	s_cbranch_execz .LBB352_14
; %bb.4:
	s_wait_loadcnt_dscnt 0x0
	v_cmp_neq_f64_e64 s2, 0, v[6:7]
	v_cmp_neq_f64_e64 s3, 0, v[8:9]
	v_mul_f64_e32 v[16:17], 0x80000000, v[4:5]
	v_mbcnt_lo_u32_b32 v1, -1, 0
	v_mul_f64_e32 v[18:19], 0, v[2:3]
	s_clause 0x3
	s_load_b32 s14, s[0:1], 0x68
	s_load_b64 s[20:21], s[0:1], 0x40
	s_load_b64 s[18:19], s[0:1], 0x58
	s_load_b256 s[4:11], s[0:1], 0x20
	v_dual_mov_b32 v11, v15 :: v_dual_bitop2_b32 v10, 1, v0 bitop3:0x40
	v_xor_b32_e32 v12, 1, v1
	s_mov_b32 s17, s15
	s_wait_xcnt 0x0
	s_ashr_i32 s1, s16, 31
	s_mov_b32 s0, s16
	v_cmp_gt_i32_e32 vcc_lo, 32, v12
	s_lshl_b64 s[0:1], s[0:1], 4
	v_cndmask_b32_e32 v12, v1, v12, vcc_lo
	v_sub_nc_u64_e64 v[0:1], v[10:11], s[16:17]
	v_cmp_eq_u32_e32 vcc_lo, 1, v10
	s_delay_alu instid0(VALU_DEP_3)
	v_lshlrev_b32_e32 v28, 2, v12
	s_wait_kmcnt 0x0
	s_lshl_b32 s14, s14, 7
	s_sub_nc_u64 s[20:21], s[20:21], s[0:1]
	s_or_b32 s1, s2, s3
	s_mov_b32 s2, s15
	s_branch .LBB352_7
.LBB352_5:                              ;   in Loop: Header=BB352_7 Depth=1
	s_wait_xcnt 0x0
	s_or_b32 exec_lo, exec_lo, s3
	global_store_b128 v[20:21], v[10:13], off
.LBB352_6:                              ;   in Loop: Header=BB352_7 Depth=1
	s_wait_xcnt 0x0
	s_or_b32 exec_lo, exec_lo, s0
	v_add_nc_u64_e32 v[14:15], s[14:15], v[14:15]
	s_delay_alu instid0(VALU_DEP_1) | instskip(SKIP_1) | instid1(SALU_CYCLE_1)
	v_cmp_le_i64_e64 s0, s[12:13], v[14:15]
	s_or_b32 s2, s0, s2
	s_and_not1_b32 exec_lo, exec_lo, s2
	s_cbranch_execz .LBB352_14
.LBB352_7:                              ; =>This Loop Header: Depth=1
                                        ;     Child Loop BB352_9 Depth 2
	v_lshlrev_b64_e32 v[10:11], 3, v[14:15]
	s_mov_b32 s3, exec_lo
	s_delay_alu instid0(VALU_DEP_1)
	v_add_nc_u64_e32 v[12:13], s[6:7], v[10:11]
	v_add_nc_u64_e32 v[10:11], s[4:5], v[10:11]
	s_wait_dscnt 0x0
	global_load_b64 v[20:21], v[12:13], off
	global_load_b64 v[22:23], v[10:11], off
	s_wait_xcnt 0x1
	v_mov_b64_e32 v[12:13], 0
	s_wait_xcnt 0x0
	v_mov_b64_e32 v[10:11], 0
	s_wait_loadcnt 0x1
	v_sub_nc_u64_e64 v[20:21], v[20:21], s[16:17]
	s_wait_loadcnt 0x0
	v_add_nc_u64_e32 v[22:23], v[22:23], v[0:1]
	s_delay_alu instid0(VALU_DEP_1)
	v_cmpx_lt_i64_e64 v[22:23], v[20:21]
	s_cbranch_execz .LBB352_11
; %bb.8:                                ;   in Loop: Header=BB352_7 Depth=1
	v_lshlrev_b64_e32 v[10:11], 3, v[22:23]
	v_mov_b64_e32 v[12:13], 0
	s_mov_b32 s22, 0
	s_delay_alu instid0(VALU_DEP_2)
	v_add_nc_u64_e32 v[24:25], s[10:11], v[10:11]
	v_add_nc_u64_e32 v[26:27], s[8:9], v[10:11]
	v_mov_b64_e32 v[10:11], 0
.LBB352_9:                              ;   Parent Loop BB352_7 Depth=1
                                        ; =>  This Inner Loop Header: Depth=2
	global_load_b64 v[30:31], v[26:27], off
	global_load_b64 v[34:35], v[24:25], off
	v_add_nc_u64_e32 v[22:23], 2, v[22:23]
	s_wait_xcnt 0x0
	v_add_nc_u64_e32 v[24:25], 16, v[24:25]
	v_add_nc_u64_e32 v[26:27], 16, v[26:27]
	s_delay_alu instid0(VALU_DEP_3)
	v_cmp_ge_i64_e64 s0, v[22:23], v[20:21]
	s_or_b32 s22, s0, s22
	s_wait_loadcnt 0x1
	v_lshl_add_u64 v[30:31], v[30:31], 4, s[20:21]
	s_wait_loadcnt 0x0
	v_fma_f64 v[36:37], v[2:3], v[34:35], v[16:17]
	v_fma_f64 v[34:35], v[4:5], v[34:35], v[18:19]
	global_load_b128 v[30:33], v[30:31], off
	s_wait_loadcnt 0x0
	v_fmac_f64_e32 v[10:11], v[36:37], v[30:31]
	v_fmac_f64_e32 v[12:13], v[34:35], v[30:31]
	s_delay_alu instid0(VALU_DEP_2) | instskip(NEXT) | instid1(VALU_DEP_2)
	v_fma_f64 v[10:11], -v[34:35], v[32:33], v[10:11]
	v_fmac_f64_e32 v[12:13], v[36:37], v[32:33]
	s_wait_xcnt 0x0
	s_and_not1_b32 exec_lo, exec_lo, s22
	s_cbranch_execnz .LBB352_9
; %bb.10:                               ;   in Loop: Header=BB352_7 Depth=1
	s_or_b32 exec_lo, exec_lo, s22
.LBB352_11:                             ;   in Loop: Header=BB352_7 Depth=1
	s_delay_alu instid0(SALU_CYCLE_1)
	s_or_b32 exec_lo, exec_lo, s3
	ds_bpermute_b32 v22, v28, v10
	ds_bpermute_b32 v23, v28, v11
	;; [unrolled: 1-line block ×4, first 2 shown]
	s_and_saveexec_b32 s0, vcc_lo
	s_cbranch_execz .LBB352_6
; %bb.12:                               ;   in Loop: Header=BB352_7 Depth=1
	s_wait_dscnt 0x2
	v_add_f64_e32 v[10:11], v[10:11], v[22:23]
	s_wait_dscnt 0x0
	v_add_f64_e32 v[12:13], v[12:13], v[20:21]
	v_lshl_add_u64 v[20:21], v[14:15], 4, s[18:19]
	s_and_saveexec_b32 s3, s1
	s_cbranch_execz .LBB352_5
; %bb.13:                               ;   in Loop: Header=BB352_7 Depth=1
	global_load_b128 v[22:25], v[20:21], off
	s_wait_loadcnt 0x0
	v_fmac_f64_e32 v[10:11], v[6:7], v[22:23]
	v_fmac_f64_e32 v[12:13], v[8:9], v[22:23]
	s_delay_alu instid0(VALU_DEP_2) | instskip(NEXT) | instid1(VALU_DEP_2)
	v_fma_f64 v[10:11], -v[8:9], v[24:25], v[10:11]
	v_fmac_f64_e32 v[12:13], v[6:7], v[24:25]
	s_branch .LBB352_5
.LBB352_14:
	s_endpgm
	.section	.rodata,"a",@progbits
	.p2align	6, 0x0
	.amdhsa_kernel _ZN9rocsparseL21csrmvn_general_kernelILj256ELj2Elld21rocsparse_complex_numIdES2_S2_EEvbT2_NS_24const_host_device_scalarIT6_EEPKT1_S9_PKS3_PKT3_PKT4_S6_PT5_21rocsparse_index_base_b
		.amdhsa_group_segment_fixed_size 0
		.amdhsa_private_segment_fixed_size 0
		.amdhsa_kernarg_size 360
		.amdhsa_user_sgpr_count 2
		.amdhsa_user_sgpr_dispatch_ptr 0
		.amdhsa_user_sgpr_queue_ptr 0
		.amdhsa_user_sgpr_kernarg_segment_ptr 1
		.amdhsa_user_sgpr_dispatch_id 0
		.amdhsa_user_sgpr_kernarg_preload_length 0
		.amdhsa_user_sgpr_kernarg_preload_offset 0
		.amdhsa_user_sgpr_private_segment_size 0
		.amdhsa_wavefront_size32 1
		.amdhsa_uses_dynamic_stack 0
		.amdhsa_enable_private_segment 0
		.amdhsa_system_sgpr_workgroup_id_x 1
		.amdhsa_system_sgpr_workgroup_id_y 0
		.amdhsa_system_sgpr_workgroup_id_z 0
		.amdhsa_system_sgpr_workgroup_info 0
		.amdhsa_system_vgpr_workitem_id 0
		.amdhsa_next_free_vgpr 38
		.amdhsa_next_free_sgpr 23
		.amdhsa_named_barrier_count 0
		.amdhsa_reserve_vcc 1
		.amdhsa_float_round_mode_32 0
		.amdhsa_float_round_mode_16_64 0
		.amdhsa_float_denorm_mode_32 3
		.amdhsa_float_denorm_mode_16_64 3
		.amdhsa_fp16_overflow 0
		.amdhsa_memory_ordered 1
		.amdhsa_forward_progress 1
		.amdhsa_inst_pref_size 7
		.amdhsa_round_robin_scheduling 0
		.amdhsa_exception_fp_ieee_invalid_op 0
		.amdhsa_exception_fp_denorm_src 0
		.amdhsa_exception_fp_ieee_div_zero 0
		.amdhsa_exception_fp_ieee_overflow 0
		.amdhsa_exception_fp_ieee_underflow 0
		.amdhsa_exception_fp_ieee_inexact 0
		.amdhsa_exception_int_div_zero 0
	.end_amdhsa_kernel
	.section	.text._ZN9rocsparseL21csrmvn_general_kernelILj256ELj2Elld21rocsparse_complex_numIdES2_S2_EEvbT2_NS_24const_host_device_scalarIT6_EEPKT1_S9_PKS3_PKT3_PKT4_S6_PT5_21rocsparse_index_base_b,"axG",@progbits,_ZN9rocsparseL21csrmvn_general_kernelILj256ELj2Elld21rocsparse_complex_numIdES2_S2_EEvbT2_NS_24const_host_device_scalarIT6_EEPKT1_S9_PKS3_PKT3_PKT4_S6_PT5_21rocsparse_index_base_b,comdat
.Lfunc_end352:
	.size	_ZN9rocsparseL21csrmvn_general_kernelILj256ELj2Elld21rocsparse_complex_numIdES2_S2_EEvbT2_NS_24const_host_device_scalarIT6_EEPKT1_S9_PKS3_PKT3_PKT4_S6_PT5_21rocsparse_index_base_b, .Lfunc_end352-_ZN9rocsparseL21csrmvn_general_kernelILj256ELj2Elld21rocsparse_complex_numIdES2_S2_EEvbT2_NS_24const_host_device_scalarIT6_EEPKT1_S9_PKS3_PKT3_PKT4_S6_PT5_21rocsparse_index_base_b
                                        ; -- End function
	.set _ZN9rocsparseL21csrmvn_general_kernelILj256ELj2Elld21rocsparse_complex_numIdES2_S2_EEvbT2_NS_24const_host_device_scalarIT6_EEPKT1_S9_PKS3_PKT3_PKT4_S6_PT5_21rocsparse_index_base_b.num_vgpr, 38
	.set _ZN9rocsparseL21csrmvn_general_kernelILj256ELj2Elld21rocsparse_complex_numIdES2_S2_EEvbT2_NS_24const_host_device_scalarIT6_EEPKT1_S9_PKS3_PKT3_PKT4_S6_PT5_21rocsparse_index_base_b.num_agpr, 0
	.set _ZN9rocsparseL21csrmvn_general_kernelILj256ELj2Elld21rocsparse_complex_numIdES2_S2_EEvbT2_NS_24const_host_device_scalarIT6_EEPKT1_S9_PKS3_PKT3_PKT4_S6_PT5_21rocsparse_index_base_b.numbered_sgpr, 23
	.set _ZN9rocsparseL21csrmvn_general_kernelILj256ELj2Elld21rocsparse_complex_numIdES2_S2_EEvbT2_NS_24const_host_device_scalarIT6_EEPKT1_S9_PKS3_PKT3_PKT4_S6_PT5_21rocsparse_index_base_b.num_named_barrier, 0
	.set _ZN9rocsparseL21csrmvn_general_kernelILj256ELj2Elld21rocsparse_complex_numIdES2_S2_EEvbT2_NS_24const_host_device_scalarIT6_EEPKT1_S9_PKS3_PKT3_PKT4_S6_PT5_21rocsparse_index_base_b.private_seg_size, 0
	.set _ZN9rocsparseL21csrmvn_general_kernelILj256ELj2Elld21rocsparse_complex_numIdES2_S2_EEvbT2_NS_24const_host_device_scalarIT6_EEPKT1_S9_PKS3_PKT3_PKT4_S6_PT5_21rocsparse_index_base_b.uses_vcc, 1
	.set _ZN9rocsparseL21csrmvn_general_kernelILj256ELj2Elld21rocsparse_complex_numIdES2_S2_EEvbT2_NS_24const_host_device_scalarIT6_EEPKT1_S9_PKS3_PKT3_PKT4_S6_PT5_21rocsparse_index_base_b.uses_flat_scratch, 0
	.set _ZN9rocsparseL21csrmvn_general_kernelILj256ELj2Elld21rocsparse_complex_numIdES2_S2_EEvbT2_NS_24const_host_device_scalarIT6_EEPKT1_S9_PKS3_PKT3_PKT4_S6_PT5_21rocsparse_index_base_b.has_dyn_sized_stack, 0
	.set _ZN9rocsparseL21csrmvn_general_kernelILj256ELj2Elld21rocsparse_complex_numIdES2_S2_EEvbT2_NS_24const_host_device_scalarIT6_EEPKT1_S9_PKS3_PKT3_PKT4_S6_PT5_21rocsparse_index_base_b.has_recursion, 0
	.set _ZN9rocsparseL21csrmvn_general_kernelILj256ELj2Elld21rocsparse_complex_numIdES2_S2_EEvbT2_NS_24const_host_device_scalarIT6_EEPKT1_S9_PKS3_PKT3_PKT4_S6_PT5_21rocsparse_index_base_b.has_indirect_call, 0
	.section	.AMDGPU.csdata,"",@progbits
; Kernel info:
; codeLenInByte = 872
; TotalNumSgprs: 25
; NumVgprs: 38
; ScratchSize: 0
; MemoryBound: 0
; FloatMode: 240
; IeeeMode: 1
; LDSByteSize: 0 bytes/workgroup (compile time only)
; SGPRBlocks: 0
; VGPRBlocks: 2
; NumSGPRsForWavesPerEU: 25
; NumVGPRsForWavesPerEU: 38
; NamedBarCnt: 0
; Occupancy: 16
; WaveLimiterHint : 1
; COMPUTE_PGM_RSRC2:SCRATCH_EN: 0
; COMPUTE_PGM_RSRC2:USER_SGPR: 2
; COMPUTE_PGM_RSRC2:TRAP_HANDLER: 0
; COMPUTE_PGM_RSRC2:TGID_X_EN: 1
; COMPUTE_PGM_RSRC2:TGID_Y_EN: 0
; COMPUTE_PGM_RSRC2:TGID_Z_EN: 0
; COMPUTE_PGM_RSRC2:TIDIG_COMP_CNT: 0
	.section	.text._ZN9rocsparseL21csrmvn_general_kernelILj256ELj4Elld21rocsparse_complex_numIdES2_S2_EEvbT2_NS_24const_host_device_scalarIT6_EEPKT1_S9_PKS3_PKT3_PKT4_S6_PT5_21rocsparse_index_base_b,"axG",@progbits,_ZN9rocsparseL21csrmvn_general_kernelILj256ELj4Elld21rocsparse_complex_numIdES2_S2_EEvbT2_NS_24const_host_device_scalarIT6_EEPKT1_S9_PKS3_PKT3_PKT4_S6_PT5_21rocsparse_index_base_b,comdat
	.globl	_ZN9rocsparseL21csrmvn_general_kernelILj256ELj4Elld21rocsparse_complex_numIdES2_S2_EEvbT2_NS_24const_host_device_scalarIT6_EEPKT1_S9_PKS3_PKT3_PKT4_S6_PT5_21rocsparse_index_base_b ; -- Begin function _ZN9rocsparseL21csrmvn_general_kernelILj256ELj4Elld21rocsparse_complex_numIdES2_S2_EEvbT2_NS_24const_host_device_scalarIT6_EEPKT1_S9_PKS3_PKT3_PKT4_S6_PT5_21rocsparse_index_base_b
	.p2align	8
	.type	_ZN9rocsparseL21csrmvn_general_kernelILj256ELj4Elld21rocsparse_complex_numIdES2_S2_EEvbT2_NS_24const_host_device_scalarIT6_EEPKT1_S9_PKS3_PKT3_PKT4_S6_PT5_21rocsparse_index_base_b,@function
_ZN9rocsparseL21csrmvn_general_kernelILj256ELj4Elld21rocsparse_complex_numIdES2_S2_EEvbT2_NS_24const_host_device_scalarIT6_EEPKT1_S9_PKS3_PKT3_PKT4_S6_PT5_21rocsparse_index_base_b: ; @_ZN9rocsparseL21csrmvn_general_kernelILj256ELj4Elld21rocsparse_complex_numIdES2_S2_EEvbT2_NS_24const_host_device_scalarIT6_EEPKT1_S9_PKS3_PKT3_PKT4_S6_PT5_21rocsparse_index_base_b
; %bb.0:
	s_clause 0x1
	s_load_b64 s[16:17], s[0:1], 0x60
	s_load_b128 s[12:15], s[0:1], 0x8
	v_mov_b32_e32 v1, 0
	s_add_nc_u64 s[2:3], s[0:1], 16
	s_load_b64 s[4:5], s[0:1], 0x48
	s_wait_kmcnt 0x0
	s_bitcmp1_b32 s17, 0
	s_cselect_b32 s3, s3, s15
	s_cselect_b32 s2, s2, s14
	flat_load_b128 v[2:5], v1, s[2:3]
	s_wait_xcnt 0x0
	s_add_nc_u64 s[2:3], s[0:1], 0x48
	s_delay_alu instid0(SALU_CYCLE_1)
	s_cselect_b32 s3, s3, s5
	s_cselect_b32 s2, s2, s4
	flat_load_b128 v[6:9], v1, s[2:3]
	s_wait_loadcnt_dscnt 0x101
	v_cmp_eq_f64_e32 vcc_lo, 0, v[2:3]
	s_wait_xcnt 0x0
	v_cmp_eq_f64_e64 s2, 0, v[4:5]
	s_and_b32 s4, vcc_lo, s2
	s_mov_b32 s2, -1
	s_and_saveexec_b32 s3, s4
	s_cbranch_execz .LBB353_2
; %bb.1:
	s_wait_loadcnt_dscnt 0x0
	v_cmp_neq_f64_e32 vcc_lo, 1.0, v[6:7]
	v_cmp_neq_f64_e64 s2, 0, v[8:9]
	s_or_b32 s2, vcc_lo, s2
	s_delay_alu instid0(SALU_CYCLE_1)
	s_or_not1_b32 s2, s2, exec_lo
.LBB353_2:
	s_or_b32 exec_lo, exec_lo, s3
	s_and_saveexec_b32 s3, s2
	s_cbranch_execz .LBB353_14
; %bb.3:
	s_bfe_u32 s2, ttmp6, 0x4000c
	s_and_b32 s3, ttmp6, 15
	s_add_co_i32 s2, s2, 1
	s_getreg_b32 s4, hwreg(HW_REG_IB_STS2, 6, 4)
	s_mul_i32 s2, ttmp9, s2
	s_mov_b32 s15, 0
	s_add_co_i32 s3, s3, s2
	s_cmp_eq_u32 s4, 0
	v_mov_b32_e32 v15, 0
	s_cselect_b32 s2, ttmp9, s3
	s_delay_alu instid0(SALU_CYCLE_1) | instskip(NEXT) | instid1(VALU_DEP_1)
	v_lshl_or_b32 v1, s2, 8, v0
	v_lshrrev_b32_e32 v14, 2, v1
	s_delay_alu instid0(VALU_DEP_1)
	v_cmp_gt_i64_e32 vcc_lo, s[12:13], v[14:15]
	s_and_b32 exec_lo, exec_lo, vcc_lo
	s_cbranch_execz .LBB353_14
; %bb.4:
	s_wait_loadcnt_dscnt 0x0
	v_cmp_neq_f64_e64 s2, 0, v[6:7]
	v_cmp_neq_f64_e64 s3, 0, v[8:9]
	v_mul_f64_e32 v[16:17], 0x80000000, v[4:5]
	v_dual_mul_f64 v[18:19], 0, v[2:3] :: v_dual_bitop2_b32 v10, 3, v0 bitop3:0x40
	v_mbcnt_lo_u32_b32 v1, -1, 0
	s_clause 0x3
	s_load_b32 s14, s[0:1], 0x68
	s_load_b64 s[20:21], s[0:1], 0x40
	s_load_b64 s[18:19], s[0:1], 0x58
	s_load_b256 s[4:11], s[0:1], 0x20
	v_mov_b32_e32 v11, v15
	s_mov_b32 s17, s15
	s_wait_xcnt 0x0
	s_ashr_i32 s1, s16, 31
	v_xor_b32_e32 v0, 2, v1
	s_mov_b32 s0, s16
	s_delay_alu instid0(SALU_CYCLE_1) | instskip(NEXT) | instid1(VALU_DEP_1)
	s_lshl_b64 s[0:1], s[0:1], 4
	v_cmp_gt_i32_e32 vcc_lo, 32, v0
	v_dual_cndmask_b32 v13, v1, v0, vcc_lo :: v_dual_bitop2_b32 v12, 1, v1 bitop3:0x14
	s_delay_alu instid0(VALU_DEP_1)
	v_cmp_gt_i32_e32 vcc_lo, 32, v12
	s_wait_kmcnt 0x0
	s_lshl_b32 s14, s14, 6
	s_sub_nc_u64 s[20:21], s[20:21], s[0:1]
	v_dual_lshlrev_b32 v28, 2, v13 :: v_dual_cndmask_b32 v12, v1, v12, vcc_lo
	v_sub_nc_u64_e64 v[0:1], v[10:11], s[16:17]
	v_cmp_eq_u32_e32 vcc_lo, 3, v10
	s_delay_alu instid0(VALU_DEP_3)
	v_lshlrev_b32_e32 v29, 2, v12
	s_or_b32 s1, s2, s3
	s_mov_b32 s2, s15
	s_branch .LBB353_7
.LBB353_5:                              ;   in Loop: Header=BB353_7 Depth=1
	s_wait_xcnt 0x0
	s_or_b32 exec_lo, exec_lo, s3
	global_store_b128 v[20:21], v[10:13], off
.LBB353_6:                              ;   in Loop: Header=BB353_7 Depth=1
	s_wait_xcnt 0x0
	s_or_b32 exec_lo, exec_lo, s0
	v_add_nc_u64_e32 v[14:15], s[14:15], v[14:15]
	s_delay_alu instid0(VALU_DEP_1) | instskip(SKIP_1) | instid1(SALU_CYCLE_1)
	v_cmp_le_i64_e64 s0, s[12:13], v[14:15]
	s_or_b32 s2, s0, s2
	s_and_not1_b32 exec_lo, exec_lo, s2
	s_cbranch_execz .LBB353_14
.LBB353_7:                              ; =>This Loop Header: Depth=1
                                        ;     Child Loop BB353_9 Depth 2
	s_wait_dscnt 0x2
	v_lshlrev_b64_e32 v[10:11], 3, v[14:15]
	s_mov_b32 s3, exec_lo
	s_delay_alu instid0(VALU_DEP_1)
	v_add_nc_u64_e32 v[12:13], s[6:7], v[10:11]
	v_add_nc_u64_e32 v[10:11], s[4:5], v[10:11]
	global_load_b64 v[20:21], v[12:13], off
	s_wait_dscnt 0x0
	global_load_b64 v[22:23], v[10:11], off
	s_wait_xcnt 0x0
	v_mov_b64_e32 v[10:11], 0
	v_mov_b64_e32 v[12:13], 0
	s_wait_loadcnt 0x1
	v_sub_nc_u64_e64 v[20:21], v[20:21], s[16:17]
	s_wait_loadcnt 0x0
	v_add_nc_u64_e32 v[22:23], v[22:23], v[0:1]
	s_delay_alu instid0(VALU_DEP_1)
	v_cmpx_lt_i64_e64 v[22:23], v[20:21]
	s_cbranch_execz .LBB353_11
; %bb.8:                                ;   in Loop: Header=BB353_7 Depth=1
	v_lshlrev_b64_e32 v[12:13], 3, v[22:23]
	v_mov_b64_e32 v[10:11], 0
	s_mov_b32 s22, 0
	s_delay_alu instid0(VALU_DEP_2)
	v_add_nc_u64_e32 v[24:25], s[10:11], v[12:13]
	v_add_nc_u64_e32 v[26:27], s[8:9], v[12:13]
	v_mov_b64_e32 v[12:13], 0
.LBB353_9:                              ;   Parent Loop BB353_7 Depth=1
                                        ; =>  This Inner Loop Header: Depth=2
	global_load_b64 v[30:31], v[26:27], off
	global_load_b64 v[34:35], v[24:25], off
	v_add_nc_u64_e32 v[22:23], 4, v[22:23]
	s_wait_xcnt 0x0
	v_add_nc_u64_e32 v[24:25], 32, v[24:25]
	v_add_nc_u64_e32 v[26:27], 32, v[26:27]
	s_delay_alu instid0(VALU_DEP_3)
	v_cmp_ge_i64_e64 s0, v[22:23], v[20:21]
	s_or_b32 s22, s0, s22
	s_wait_loadcnt 0x1
	v_lshl_add_u64 v[30:31], v[30:31], 4, s[20:21]
	s_wait_loadcnt 0x0
	v_fma_f64 v[36:37], v[2:3], v[34:35], v[16:17]
	v_fma_f64 v[34:35], v[4:5], v[34:35], v[18:19]
	global_load_b128 v[30:33], v[30:31], off
	s_wait_loadcnt 0x0
	v_fmac_f64_e32 v[12:13], v[36:37], v[30:31]
	v_fmac_f64_e32 v[10:11], v[34:35], v[30:31]
	s_delay_alu instid0(VALU_DEP_2) | instskip(NEXT) | instid1(VALU_DEP_2)
	v_fma_f64 v[12:13], -v[34:35], v[32:33], v[12:13]
	v_fmac_f64_e32 v[10:11], v[36:37], v[32:33]
	s_wait_xcnt 0x0
	s_and_not1_b32 exec_lo, exec_lo, s22
	s_cbranch_execnz .LBB353_9
; %bb.10:                               ;   in Loop: Header=BB353_7 Depth=1
	s_or_b32 exec_lo, exec_lo, s22
.LBB353_11:                             ;   in Loop: Header=BB353_7 Depth=1
	s_delay_alu instid0(SALU_CYCLE_1)
	s_or_b32 exec_lo, exec_lo, s3
	ds_bpermute_b32 v20, v28, v12
	ds_bpermute_b32 v21, v28, v13
	;; [unrolled: 1-line block ×4, first 2 shown]
	s_wait_dscnt 0x2
	v_add_f64_e32 v[12:13], v[12:13], v[20:21]
	s_wait_dscnt 0x0
	v_add_f64_e32 v[20:21], v[10:11], v[22:23]
	ds_bpermute_b32 v10, v29, v12
	ds_bpermute_b32 v11, v29, v13
	ds_bpermute_b32 v22, v29, v20
	ds_bpermute_b32 v23, v29, v21
	s_and_saveexec_b32 s0, vcc_lo
	s_cbranch_execz .LBB353_6
; %bb.12:                               ;   in Loop: Header=BB353_7 Depth=1
	s_wait_dscnt 0x2
	v_add_f64_e32 v[10:11], v[12:13], v[10:11]
	s_wait_dscnt 0x0
	v_add_f64_e32 v[12:13], v[20:21], v[22:23]
	v_lshl_add_u64 v[20:21], v[14:15], 4, s[18:19]
	s_and_saveexec_b32 s3, s1
	s_cbranch_execz .LBB353_5
; %bb.13:                               ;   in Loop: Header=BB353_7 Depth=1
	global_load_b128 v[22:25], v[20:21], off
	s_wait_loadcnt 0x0
	v_fmac_f64_e32 v[10:11], v[6:7], v[22:23]
	v_fmac_f64_e32 v[12:13], v[8:9], v[22:23]
	s_delay_alu instid0(VALU_DEP_2) | instskip(NEXT) | instid1(VALU_DEP_2)
	v_fma_f64 v[10:11], -v[8:9], v[24:25], v[10:11]
	v_fmac_f64_e32 v[12:13], v[6:7], v[24:25]
	s_branch .LBB353_5
.LBB353_14:
	s_endpgm
	.section	.rodata,"a",@progbits
	.p2align	6, 0x0
	.amdhsa_kernel _ZN9rocsparseL21csrmvn_general_kernelILj256ELj4Elld21rocsparse_complex_numIdES2_S2_EEvbT2_NS_24const_host_device_scalarIT6_EEPKT1_S9_PKS3_PKT3_PKT4_S6_PT5_21rocsparse_index_base_b
		.amdhsa_group_segment_fixed_size 0
		.amdhsa_private_segment_fixed_size 0
		.amdhsa_kernarg_size 360
		.amdhsa_user_sgpr_count 2
		.amdhsa_user_sgpr_dispatch_ptr 0
		.amdhsa_user_sgpr_queue_ptr 0
		.amdhsa_user_sgpr_kernarg_segment_ptr 1
		.amdhsa_user_sgpr_dispatch_id 0
		.amdhsa_user_sgpr_kernarg_preload_length 0
		.amdhsa_user_sgpr_kernarg_preload_offset 0
		.amdhsa_user_sgpr_private_segment_size 0
		.amdhsa_wavefront_size32 1
		.amdhsa_uses_dynamic_stack 0
		.amdhsa_enable_private_segment 0
		.amdhsa_system_sgpr_workgroup_id_x 1
		.amdhsa_system_sgpr_workgroup_id_y 0
		.amdhsa_system_sgpr_workgroup_id_z 0
		.amdhsa_system_sgpr_workgroup_info 0
		.amdhsa_system_vgpr_workitem_id 0
		.amdhsa_next_free_vgpr 38
		.amdhsa_next_free_sgpr 23
		.amdhsa_named_barrier_count 0
		.amdhsa_reserve_vcc 1
		.amdhsa_float_round_mode_32 0
		.amdhsa_float_round_mode_16_64 0
		.amdhsa_float_denorm_mode_32 3
		.amdhsa_float_denorm_mode_16_64 3
		.amdhsa_fp16_overflow 0
		.amdhsa_memory_ordered 1
		.amdhsa_forward_progress 1
		.amdhsa_inst_pref_size 8
		.amdhsa_round_robin_scheduling 0
		.amdhsa_exception_fp_ieee_invalid_op 0
		.amdhsa_exception_fp_denorm_src 0
		.amdhsa_exception_fp_ieee_div_zero 0
		.amdhsa_exception_fp_ieee_overflow 0
		.amdhsa_exception_fp_ieee_underflow 0
		.amdhsa_exception_fp_ieee_inexact 0
		.amdhsa_exception_int_div_zero 0
	.end_amdhsa_kernel
	.section	.text._ZN9rocsparseL21csrmvn_general_kernelILj256ELj4Elld21rocsparse_complex_numIdES2_S2_EEvbT2_NS_24const_host_device_scalarIT6_EEPKT1_S9_PKS3_PKT3_PKT4_S6_PT5_21rocsparse_index_base_b,"axG",@progbits,_ZN9rocsparseL21csrmvn_general_kernelILj256ELj4Elld21rocsparse_complex_numIdES2_S2_EEvbT2_NS_24const_host_device_scalarIT6_EEPKT1_S9_PKS3_PKT3_PKT4_S6_PT5_21rocsparse_index_base_b,comdat
.Lfunc_end353:
	.size	_ZN9rocsparseL21csrmvn_general_kernelILj256ELj4Elld21rocsparse_complex_numIdES2_S2_EEvbT2_NS_24const_host_device_scalarIT6_EEPKT1_S9_PKS3_PKT3_PKT4_S6_PT5_21rocsparse_index_base_b, .Lfunc_end353-_ZN9rocsparseL21csrmvn_general_kernelILj256ELj4Elld21rocsparse_complex_numIdES2_S2_EEvbT2_NS_24const_host_device_scalarIT6_EEPKT1_S9_PKS3_PKT3_PKT4_S6_PT5_21rocsparse_index_base_b
                                        ; -- End function
	.set _ZN9rocsparseL21csrmvn_general_kernelILj256ELj4Elld21rocsparse_complex_numIdES2_S2_EEvbT2_NS_24const_host_device_scalarIT6_EEPKT1_S9_PKS3_PKT3_PKT4_S6_PT5_21rocsparse_index_base_b.num_vgpr, 38
	.set _ZN9rocsparseL21csrmvn_general_kernelILj256ELj4Elld21rocsparse_complex_numIdES2_S2_EEvbT2_NS_24const_host_device_scalarIT6_EEPKT1_S9_PKS3_PKT3_PKT4_S6_PT5_21rocsparse_index_base_b.num_agpr, 0
	.set _ZN9rocsparseL21csrmvn_general_kernelILj256ELj4Elld21rocsparse_complex_numIdES2_S2_EEvbT2_NS_24const_host_device_scalarIT6_EEPKT1_S9_PKS3_PKT3_PKT4_S6_PT5_21rocsparse_index_base_b.numbered_sgpr, 23
	.set _ZN9rocsparseL21csrmvn_general_kernelILj256ELj4Elld21rocsparse_complex_numIdES2_S2_EEvbT2_NS_24const_host_device_scalarIT6_EEPKT1_S9_PKS3_PKT3_PKT4_S6_PT5_21rocsparse_index_base_b.num_named_barrier, 0
	.set _ZN9rocsparseL21csrmvn_general_kernelILj256ELj4Elld21rocsparse_complex_numIdES2_S2_EEvbT2_NS_24const_host_device_scalarIT6_EEPKT1_S9_PKS3_PKT3_PKT4_S6_PT5_21rocsparse_index_base_b.private_seg_size, 0
	.set _ZN9rocsparseL21csrmvn_general_kernelILj256ELj4Elld21rocsparse_complex_numIdES2_S2_EEvbT2_NS_24const_host_device_scalarIT6_EEPKT1_S9_PKS3_PKT3_PKT4_S6_PT5_21rocsparse_index_base_b.uses_vcc, 1
	.set _ZN9rocsparseL21csrmvn_general_kernelILj256ELj4Elld21rocsparse_complex_numIdES2_S2_EEvbT2_NS_24const_host_device_scalarIT6_EEPKT1_S9_PKS3_PKT3_PKT4_S6_PT5_21rocsparse_index_base_b.uses_flat_scratch, 0
	.set _ZN9rocsparseL21csrmvn_general_kernelILj256ELj4Elld21rocsparse_complex_numIdES2_S2_EEvbT2_NS_24const_host_device_scalarIT6_EEPKT1_S9_PKS3_PKT3_PKT4_S6_PT5_21rocsparse_index_base_b.has_dyn_sized_stack, 0
	.set _ZN9rocsparseL21csrmvn_general_kernelILj256ELj4Elld21rocsparse_complex_numIdES2_S2_EEvbT2_NS_24const_host_device_scalarIT6_EEPKT1_S9_PKS3_PKT3_PKT4_S6_PT5_21rocsparse_index_base_b.has_recursion, 0
	.set _ZN9rocsparseL21csrmvn_general_kernelILj256ELj4Elld21rocsparse_complex_numIdES2_S2_EEvbT2_NS_24const_host_device_scalarIT6_EEPKT1_S9_PKS3_PKT3_PKT4_S6_PT5_21rocsparse_index_base_b.has_indirect_call, 0
	.section	.AMDGPU.csdata,"",@progbits
; Kernel info:
; codeLenInByte = 952
; TotalNumSgprs: 25
; NumVgprs: 38
; ScratchSize: 0
; MemoryBound: 0
; FloatMode: 240
; IeeeMode: 1
; LDSByteSize: 0 bytes/workgroup (compile time only)
; SGPRBlocks: 0
; VGPRBlocks: 2
; NumSGPRsForWavesPerEU: 25
; NumVGPRsForWavesPerEU: 38
; NamedBarCnt: 0
; Occupancy: 16
; WaveLimiterHint : 1
; COMPUTE_PGM_RSRC2:SCRATCH_EN: 0
; COMPUTE_PGM_RSRC2:USER_SGPR: 2
; COMPUTE_PGM_RSRC2:TRAP_HANDLER: 0
; COMPUTE_PGM_RSRC2:TGID_X_EN: 1
; COMPUTE_PGM_RSRC2:TGID_Y_EN: 0
; COMPUTE_PGM_RSRC2:TGID_Z_EN: 0
; COMPUTE_PGM_RSRC2:TIDIG_COMP_CNT: 0
	.section	.text._ZN9rocsparseL21csrmvn_general_kernelILj256ELj8Elld21rocsparse_complex_numIdES2_S2_EEvbT2_NS_24const_host_device_scalarIT6_EEPKT1_S9_PKS3_PKT3_PKT4_S6_PT5_21rocsparse_index_base_b,"axG",@progbits,_ZN9rocsparseL21csrmvn_general_kernelILj256ELj8Elld21rocsparse_complex_numIdES2_S2_EEvbT2_NS_24const_host_device_scalarIT6_EEPKT1_S9_PKS3_PKT3_PKT4_S6_PT5_21rocsparse_index_base_b,comdat
	.globl	_ZN9rocsparseL21csrmvn_general_kernelILj256ELj8Elld21rocsparse_complex_numIdES2_S2_EEvbT2_NS_24const_host_device_scalarIT6_EEPKT1_S9_PKS3_PKT3_PKT4_S6_PT5_21rocsparse_index_base_b ; -- Begin function _ZN9rocsparseL21csrmvn_general_kernelILj256ELj8Elld21rocsparse_complex_numIdES2_S2_EEvbT2_NS_24const_host_device_scalarIT6_EEPKT1_S9_PKS3_PKT3_PKT4_S6_PT5_21rocsparse_index_base_b
	.p2align	8
	.type	_ZN9rocsparseL21csrmvn_general_kernelILj256ELj8Elld21rocsparse_complex_numIdES2_S2_EEvbT2_NS_24const_host_device_scalarIT6_EEPKT1_S9_PKS3_PKT3_PKT4_S6_PT5_21rocsparse_index_base_b,@function
_ZN9rocsparseL21csrmvn_general_kernelILj256ELj8Elld21rocsparse_complex_numIdES2_S2_EEvbT2_NS_24const_host_device_scalarIT6_EEPKT1_S9_PKS3_PKT3_PKT4_S6_PT5_21rocsparse_index_base_b: ; @_ZN9rocsparseL21csrmvn_general_kernelILj256ELj8Elld21rocsparse_complex_numIdES2_S2_EEvbT2_NS_24const_host_device_scalarIT6_EEPKT1_S9_PKS3_PKT3_PKT4_S6_PT5_21rocsparse_index_base_b
; %bb.0:
	s_clause 0x1
	s_load_b64 s[16:17], s[0:1], 0x60
	s_load_b128 s[12:15], s[0:1], 0x8
	v_mov_b32_e32 v1, 0
	s_add_nc_u64 s[2:3], s[0:1], 16
	s_load_b64 s[4:5], s[0:1], 0x48
	s_wait_kmcnt 0x0
	s_bitcmp1_b32 s17, 0
	s_cselect_b32 s3, s3, s15
	s_cselect_b32 s2, s2, s14
	flat_load_b128 v[2:5], v1, s[2:3]
	s_wait_xcnt 0x0
	s_add_nc_u64 s[2:3], s[0:1], 0x48
	s_delay_alu instid0(SALU_CYCLE_1)
	s_cselect_b32 s3, s3, s5
	s_cselect_b32 s2, s2, s4
	flat_load_b128 v[6:9], v1, s[2:3]
	s_wait_loadcnt_dscnt 0x101
	v_cmp_eq_f64_e32 vcc_lo, 0, v[2:3]
	s_wait_xcnt 0x0
	v_cmp_eq_f64_e64 s2, 0, v[4:5]
	s_and_b32 s4, vcc_lo, s2
	s_mov_b32 s2, -1
	s_and_saveexec_b32 s3, s4
	s_cbranch_execz .LBB354_2
; %bb.1:
	s_wait_loadcnt_dscnt 0x0
	v_cmp_neq_f64_e32 vcc_lo, 1.0, v[6:7]
	v_cmp_neq_f64_e64 s2, 0, v[8:9]
	s_or_b32 s2, vcc_lo, s2
	s_delay_alu instid0(SALU_CYCLE_1)
	s_or_not1_b32 s2, s2, exec_lo
.LBB354_2:
	s_or_b32 exec_lo, exec_lo, s3
	s_and_saveexec_b32 s3, s2
	s_cbranch_execz .LBB354_14
; %bb.3:
	s_bfe_u32 s2, ttmp6, 0x4000c
	s_and_b32 s3, ttmp6, 15
	s_add_co_i32 s2, s2, 1
	s_getreg_b32 s4, hwreg(HW_REG_IB_STS2, 6, 4)
	s_mul_i32 s2, ttmp9, s2
	s_mov_b32 s15, 0
	s_add_co_i32 s3, s3, s2
	s_cmp_eq_u32 s4, 0
	v_mov_b32_e32 v15, 0
	s_cselect_b32 s2, ttmp9, s3
	s_delay_alu instid0(SALU_CYCLE_1) | instskip(NEXT) | instid1(VALU_DEP_1)
	v_lshl_or_b32 v1, s2, 8, v0
	v_lshrrev_b32_e32 v14, 3, v1
	s_delay_alu instid0(VALU_DEP_1)
	v_cmp_gt_i64_e32 vcc_lo, s[12:13], v[14:15]
	s_and_b32 exec_lo, exec_lo, vcc_lo
	s_cbranch_execz .LBB354_14
; %bb.4:
	v_mbcnt_lo_u32_b32 v1, -1, 0
	s_wait_loadcnt_dscnt 0x0
	v_cmp_neq_f64_e64 s2, 0, v[6:7]
	v_cmp_neq_f64_e64 s3, 0, v[8:9]
	v_mul_f64_e32 v[16:17], 0x80000000, v[4:5]
	v_dual_mul_f64 v[18:19], 0, v[2:3] :: v_dual_bitop2_b32 v10, 7, v0 bitop3:0x40
	v_dual_mov_b32 v11, v15 :: v_dual_bitop2_b32 v0, 4, v1 bitop3:0x14
	s_clause 0x3
	s_load_b256 s[4:11], s[0:1], 0x20
	s_load_b64 s[18:19], s[0:1], 0x58
	s_load_b32 s14, s[0:1], 0x68
	s_load_b64 s[20:21], s[0:1], 0x40
	s_mov_b32 s17, s15
	s_wait_xcnt 0x0
	s_ashr_i32 s1, s16, 31
	s_mov_b32 s0, s16
	v_cmp_gt_i32_e32 vcc_lo, 32, v0
	v_xor_b32_e32 v12, 2, v1
	s_lshl_b64 s[0:1], s[0:1], 4
	v_cndmask_b32_e32 v20, v1, v0, vcc_lo
	s_delay_alu instid0(VALU_DEP_2) | instskip(NEXT) | instid1(VALU_DEP_2)
	v_cmp_gt_i32_e32 vcc_lo, 32, v12
	v_dual_lshlrev_b32 v28, 2, v20 :: v_dual_bitop2_b32 v13, 1, v1 bitop3:0x14
	v_cndmask_b32_e32 v12, v1, v12, vcc_lo
	s_delay_alu instid0(VALU_DEP_2)
	v_cmp_gt_i32_e32 vcc_lo, 32, v13
	s_wait_kmcnt 0x0
	s_lshl_b32 s14, s14, 5
	s_sub_nc_u64 s[20:21], s[20:21], s[0:1]
	v_cndmask_b32_e32 v13, v1, v13, vcc_lo
	v_sub_nc_u64_e64 v[0:1], v[10:11], s[16:17]
	v_lshlrev_b32_e32 v29, 2, v12
	v_cmp_eq_u32_e32 vcc_lo, 7, v10
	s_delay_alu instid0(VALU_DEP_4)
	v_lshlrev_b32_e32 v30, 2, v13
	s_or_b32 s1, s2, s3
	s_mov_b32 s2, s15
	s_branch .LBB354_7
.LBB354_5:                              ;   in Loop: Header=BB354_7 Depth=1
	s_wait_xcnt 0x0
	s_or_b32 exec_lo, exec_lo, s3
	global_store_b128 v[20:21], v[10:13], off
.LBB354_6:                              ;   in Loop: Header=BB354_7 Depth=1
	s_wait_xcnt 0x0
	s_or_b32 exec_lo, exec_lo, s0
	v_add_nc_u64_e32 v[14:15], s[14:15], v[14:15]
	s_delay_alu instid0(VALU_DEP_1) | instskip(SKIP_1) | instid1(SALU_CYCLE_1)
	v_cmp_le_i64_e64 s0, s[12:13], v[14:15]
	s_or_b32 s2, s0, s2
	s_and_not1_b32 exec_lo, exec_lo, s2
	s_cbranch_execz .LBB354_14
.LBB354_7:                              ; =>This Loop Header: Depth=1
                                        ;     Child Loop BB354_9 Depth 2
	v_lshlrev_b64_e32 v[10:11], 3, v[14:15]
	s_mov_b32 s3, exec_lo
	s_delay_alu instid0(VALU_DEP_1)
	v_add_nc_u64_e32 v[12:13], s[6:7], v[10:11]
	v_add_nc_u64_e32 v[10:11], s[4:5], v[10:11]
	s_wait_dscnt 0x0
	global_load_b64 v[20:21], v[12:13], off
	global_load_b64 v[22:23], v[10:11], off
	s_wait_xcnt 0x0
	v_mov_b64_e32 v[10:11], 0
	v_mov_b64_e32 v[12:13], 0
	s_wait_loadcnt 0x1
	v_sub_nc_u64_e64 v[20:21], v[20:21], s[16:17]
	s_wait_loadcnt 0x0
	v_add_nc_u64_e32 v[22:23], v[22:23], v[0:1]
	s_delay_alu instid0(VALU_DEP_1)
	v_cmpx_lt_i64_e64 v[22:23], v[20:21]
	s_cbranch_execz .LBB354_11
; %bb.8:                                ;   in Loop: Header=BB354_7 Depth=1
	v_lshlrev_b64_e32 v[12:13], 3, v[22:23]
	v_mov_b64_e32 v[10:11], 0
	s_mov_b32 s22, 0
	s_delay_alu instid0(VALU_DEP_2)
	v_add_nc_u64_e32 v[24:25], s[10:11], v[12:13]
	v_add_nc_u64_e32 v[26:27], s[8:9], v[12:13]
	v_mov_b64_e32 v[12:13], 0
.LBB354_9:                              ;   Parent Loop BB354_7 Depth=1
                                        ; =>  This Inner Loop Header: Depth=2
	global_load_b64 v[32:33], v[26:27], off
	global_load_b64 v[36:37], v[24:25], off
	v_add_nc_u64_e32 v[22:23], 8, v[22:23]
	s_wait_xcnt 0x0
	v_add_nc_u64_e32 v[24:25], 64, v[24:25]
	v_add_nc_u64_e32 v[26:27], 64, v[26:27]
	s_delay_alu instid0(VALU_DEP_3)
	v_cmp_ge_i64_e64 s0, v[22:23], v[20:21]
	s_or_b32 s22, s0, s22
	s_wait_loadcnt 0x1
	v_lshl_add_u64 v[32:33], v[32:33], 4, s[20:21]
	s_wait_loadcnt 0x0
	v_fma_f64 v[38:39], v[2:3], v[36:37], v[16:17]
	v_fma_f64 v[36:37], v[4:5], v[36:37], v[18:19]
	global_load_b128 v[32:35], v[32:33], off
	s_wait_loadcnt 0x0
	v_fmac_f64_e32 v[12:13], v[38:39], v[32:33]
	v_fmac_f64_e32 v[10:11], v[36:37], v[32:33]
	s_delay_alu instid0(VALU_DEP_2) | instskip(NEXT) | instid1(VALU_DEP_2)
	v_fma_f64 v[12:13], -v[36:37], v[34:35], v[12:13]
	v_fmac_f64_e32 v[10:11], v[38:39], v[34:35]
	s_wait_xcnt 0x0
	s_and_not1_b32 exec_lo, exec_lo, s22
	s_cbranch_execnz .LBB354_9
; %bb.10:                               ;   in Loop: Header=BB354_7 Depth=1
	s_or_b32 exec_lo, exec_lo, s22
.LBB354_11:                             ;   in Loop: Header=BB354_7 Depth=1
	s_delay_alu instid0(SALU_CYCLE_1)
	s_or_b32 exec_lo, exec_lo, s3
	ds_bpermute_b32 v20, v28, v12
	ds_bpermute_b32 v21, v28, v13
	;; [unrolled: 1-line block ×4, first 2 shown]
	s_wait_dscnt 0x2
	v_add_f64_e32 v[12:13], v[12:13], v[20:21]
	s_wait_dscnt 0x0
	v_add_f64_e32 v[20:21], v[10:11], v[22:23]
	ds_bpermute_b32 v10, v29, v12
	ds_bpermute_b32 v11, v29, v13
	;; [unrolled: 1-line block ×4, first 2 shown]
	s_wait_dscnt 0x2
	v_add_f64_e32 v[10:11], v[12:13], v[10:11]
	s_wait_dscnt 0x0
	v_add_f64_e32 v[12:13], v[20:21], v[22:23]
	ds_bpermute_b32 v22, v30, v10
	ds_bpermute_b32 v23, v30, v11
	;; [unrolled: 1-line block ×4, first 2 shown]
	s_and_saveexec_b32 s0, vcc_lo
	s_cbranch_execz .LBB354_6
; %bb.12:                               ;   in Loop: Header=BB354_7 Depth=1
	s_wait_dscnt 0x2
	v_add_f64_e32 v[10:11], v[10:11], v[22:23]
	s_wait_dscnt 0x0
	v_add_f64_e32 v[12:13], v[12:13], v[20:21]
	v_lshl_add_u64 v[20:21], v[14:15], 4, s[18:19]
	s_and_saveexec_b32 s3, s1
	s_cbranch_execz .LBB354_5
; %bb.13:                               ;   in Loop: Header=BB354_7 Depth=1
	global_load_b128 v[22:25], v[20:21], off
	s_wait_loadcnt 0x0
	v_fmac_f64_e32 v[10:11], v[6:7], v[22:23]
	v_fmac_f64_e32 v[12:13], v[8:9], v[22:23]
	s_delay_alu instid0(VALU_DEP_2) | instskip(NEXT) | instid1(VALU_DEP_2)
	v_fma_f64 v[10:11], -v[8:9], v[24:25], v[10:11]
	v_fmac_f64_e32 v[12:13], v[6:7], v[24:25]
	s_branch .LBB354_5
.LBB354_14:
	s_endpgm
	.section	.rodata,"a",@progbits
	.p2align	6, 0x0
	.amdhsa_kernel _ZN9rocsparseL21csrmvn_general_kernelILj256ELj8Elld21rocsparse_complex_numIdES2_S2_EEvbT2_NS_24const_host_device_scalarIT6_EEPKT1_S9_PKS3_PKT3_PKT4_S6_PT5_21rocsparse_index_base_b
		.amdhsa_group_segment_fixed_size 0
		.amdhsa_private_segment_fixed_size 0
		.amdhsa_kernarg_size 360
		.amdhsa_user_sgpr_count 2
		.amdhsa_user_sgpr_dispatch_ptr 0
		.amdhsa_user_sgpr_queue_ptr 0
		.amdhsa_user_sgpr_kernarg_segment_ptr 1
		.amdhsa_user_sgpr_dispatch_id 0
		.amdhsa_user_sgpr_kernarg_preload_length 0
		.amdhsa_user_sgpr_kernarg_preload_offset 0
		.amdhsa_user_sgpr_private_segment_size 0
		.amdhsa_wavefront_size32 1
		.amdhsa_uses_dynamic_stack 0
		.amdhsa_enable_private_segment 0
		.amdhsa_system_sgpr_workgroup_id_x 1
		.amdhsa_system_sgpr_workgroup_id_y 0
		.amdhsa_system_sgpr_workgroup_id_z 0
		.amdhsa_system_sgpr_workgroup_info 0
		.amdhsa_system_vgpr_workitem_id 0
		.amdhsa_next_free_vgpr 40
		.amdhsa_next_free_sgpr 23
		.amdhsa_named_barrier_count 0
		.amdhsa_reserve_vcc 1
		.amdhsa_float_round_mode_32 0
		.amdhsa_float_round_mode_16_64 0
		.amdhsa_float_denorm_mode_32 3
		.amdhsa_float_denorm_mode_16_64 3
		.amdhsa_fp16_overflow 0
		.amdhsa_memory_ordered 1
		.amdhsa_forward_progress 1
		.amdhsa_inst_pref_size 8
		.amdhsa_round_robin_scheduling 0
		.amdhsa_exception_fp_ieee_invalid_op 0
		.amdhsa_exception_fp_denorm_src 0
		.amdhsa_exception_fp_ieee_div_zero 0
		.amdhsa_exception_fp_ieee_overflow 0
		.amdhsa_exception_fp_ieee_underflow 0
		.amdhsa_exception_fp_ieee_inexact 0
		.amdhsa_exception_int_div_zero 0
	.end_amdhsa_kernel
	.section	.text._ZN9rocsparseL21csrmvn_general_kernelILj256ELj8Elld21rocsparse_complex_numIdES2_S2_EEvbT2_NS_24const_host_device_scalarIT6_EEPKT1_S9_PKS3_PKT3_PKT4_S6_PT5_21rocsparse_index_base_b,"axG",@progbits,_ZN9rocsparseL21csrmvn_general_kernelILj256ELj8Elld21rocsparse_complex_numIdES2_S2_EEvbT2_NS_24const_host_device_scalarIT6_EEPKT1_S9_PKS3_PKT3_PKT4_S6_PT5_21rocsparse_index_base_b,comdat
.Lfunc_end354:
	.size	_ZN9rocsparseL21csrmvn_general_kernelILj256ELj8Elld21rocsparse_complex_numIdES2_S2_EEvbT2_NS_24const_host_device_scalarIT6_EEPKT1_S9_PKS3_PKT3_PKT4_S6_PT5_21rocsparse_index_base_b, .Lfunc_end354-_ZN9rocsparseL21csrmvn_general_kernelILj256ELj8Elld21rocsparse_complex_numIdES2_S2_EEvbT2_NS_24const_host_device_scalarIT6_EEPKT1_S9_PKS3_PKT3_PKT4_S6_PT5_21rocsparse_index_base_b
                                        ; -- End function
	.set _ZN9rocsparseL21csrmvn_general_kernelILj256ELj8Elld21rocsparse_complex_numIdES2_S2_EEvbT2_NS_24const_host_device_scalarIT6_EEPKT1_S9_PKS3_PKT3_PKT4_S6_PT5_21rocsparse_index_base_b.num_vgpr, 40
	.set _ZN9rocsparseL21csrmvn_general_kernelILj256ELj8Elld21rocsparse_complex_numIdES2_S2_EEvbT2_NS_24const_host_device_scalarIT6_EEPKT1_S9_PKS3_PKT3_PKT4_S6_PT5_21rocsparse_index_base_b.num_agpr, 0
	.set _ZN9rocsparseL21csrmvn_general_kernelILj256ELj8Elld21rocsparse_complex_numIdES2_S2_EEvbT2_NS_24const_host_device_scalarIT6_EEPKT1_S9_PKS3_PKT3_PKT4_S6_PT5_21rocsparse_index_base_b.numbered_sgpr, 23
	.set _ZN9rocsparseL21csrmvn_general_kernelILj256ELj8Elld21rocsparse_complex_numIdES2_S2_EEvbT2_NS_24const_host_device_scalarIT6_EEPKT1_S9_PKS3_PKT3_PKT4_S6_PT5_21rocsparse_index_base_b.num_named_barrier, 0
	.set _ZN9rocsparseL21csrmvn_general_kernelILj256ELj8Elld21rocsparse_complex_numIdES2_S2_EEvbT2_NS_24const_host_device_scalarIT6_EEPKT1_S9_PKS3_PKT3_PKT4_S6_PT5_21rocsparse_index_base_b.private_seg_size, 0
	.set _ZN9rocsparseL21csrmvn_general_kernelILj256ELj8Elld21rocsparse_complex_numIdES2_S2_EEvbT2_NS_24const_host_device_scalarIT6_EEPKT1_S9_PKS3_PKT3_PKT4_S6_PT5_21rocsparse_index_base_b.uses_vcc, 1
	.set _ZN9rocsparseL21csrmvn_general_kernelILj256ELj8Elld21rocsparse_complex_numIdES2_S2_EEvbT2_NS_24const_host_device_scalarIT6_EEPKT1_S9_PKS3_PKT3_PKT4_S6_PT5_21rocsparse_index_base_b.uses_flat_scratch, 0
	.set _ZN9rocsparseL21csrmvn_general_kernelILj256ELj8Elld21rocsparse_complex_numIdES2_S2_EEvbT2_NS_24const_host_device_scalarIT6_EEPKT1_S9_PKS3_PKT3_PKT4_S6_PT5_21rocsparse_index_base_b.has_dyn_sized_stack, 0
	.set _ZN9rocsparseL21csrmvn_general_kernelILj256ELj8Elld21rocsparse_complex_numIdES2_S2_EEvbT2_NS_24const_host_device_scalarIT6_EEPKT1_S9_PKS3_PKT3_PKT4_S6_PT5_21rocsparse_index_base_b.has_recursion, 0
	.set _ZN9rocsparseL21csrmvn_general_kernelILj256ELj8Elld21rocsparse_complex_numIdES2_S2_EEvbT2_NS_24const_host_device_scalarIT6_EEPKT1_S9_PKS3_PKT3_PKT4_S6_PT5_21rocsparse_index_base_b.has_indirect_call, 0
	.section	.AMDGPU.csdata,"",@progbits
; Kernel info:
; codeLenInByte = 1012
; TotalNumSgprs: 25
; NumVgprs: 40
; ScratchSize: 0
; MemoryBound: 0
; FloatMode: 240
; IeeeMode: 1
; LDSByteSize: 0 bytes/workgroup (compile time only)
; SGPRBlocks: 0
; VGPRBlocks: 2
; NumSGPRsForWavesPerEU: 25
; NumVGPRsForWavesPerEU: 40
; NamedBarCnt: 0
; Occupancy: 16
; WaveLimiterHint : 1
; COMPUTE_PGM_RSRC2:SCRATCH_EN: 0
; COMPUTE_PGM_RSRC2:USER_SGPR: 2
; COMPUTE_PGM_RSRC2:TRAP_HANDLER: 0
; COMPUTE_PGM_RSRC2:TGID_X_EN: 1
; COMPUTE_PGM_RSRC2:TGID_Y_EN: 0
; COMPUTE_PGM_RSRC2:TGID_Z_EN: 0
; COMPUTE_PGM_RSRC2:TIDIG_COMP_CNT: 0
	.section	.text._ZN9rocsparseL21csrmvn_general_kernelILj256ELj16Elld21rocsparse_complex_numIdES2_S2_EEvbT2_NS_24const_host_device_scalarIT6_EEPKT1_S9_PKS3_PKT3_PKT4_S6_PT5_21rocsparse_index_base_b,"axG",@progbits,_ZN9rocsparseL21csrmvn_general_kernelILj256ELj16Elld21rocsparse_complex_numIdES2_S2_EEvbT2_NS_24const_host_device_scalarIT6_EEPKT1_S9_PKS3_PKT3_PKT4_S6_PT5_21rocsparse_index_base_b,comdat
	.globl	_ZN9rocsparseL21csrmvn_general_kernelILj256ELj16Elld21rocsparse_complex_numIdES2_S2_EEvbT2_NS_24const_host_device_scalarIT6_EEPKT1_S9_PKS3_PKT3_PKT4_S6_PT5_21rocsparse_index_base_b ; -- Begin function _ZN9rocsparseL21csrmvn_general_kernelILj256ELj16Elld21rocsparse_complex_numIdES2_S2_EEvbT2_NS_24const_host_device_scalarIT6_EEPKT1_S9_PKS3_PKT3_PKT4_S6_PT5_21rocsparse_index_base_b
	.p2align	8
	.type	_ZN9rocsparseL21csrmvn_general_kernelILj256ELj16Elld21rocsparse_complex_numIdES2_S2_EEvbT2_NS_24const_host_device_scalarIT6_EEPKT1_S9_PKS3_PKT3_PKT4_S6_PT5_21rocsparse_index_base_b,@function
_ZN9rocsparseL21csrmvn_general_kernelILj256ELj16Elld21rocsparse_complex_numIdES2_S2_EEvbT2_NS_24const_host_device_scalarIT6_EEPKT1_S9_PKS3_PKT3_PKT4_S6_PT5_21rocsparse_index_base_b: ; @_ZN9rocsparseL21csrmvn_general_kernelILj256ELj16Elld21rocsparse_complex_numIdES2_S2_EEvbT2_NS_24const_host_device_scalarIT6_EEPKT1_S9_PKS3_PKT3_PKT4_S6_PT5_21rocsparse_index_base_b
; %bb.0:
	s_clause 0x1
	s_load_b64 s[16:17], s[0:1], 0x60
	s_load_b128 s[12:15], s[0:1], 0x8
	v_mov_b32_e32 v1, 0
	s_add_nc_u64 s[2:3], s[0:1], 16
	s_load_b64 s[4:5], s[0:1], 0x48
	s_wait_kmcnt 0x0
	s_bitcmp1_b32 s17, 0
	s_cselect_b32 s3, s3, s15
	s_cselect_b32 s2, s2, s14
	flat_load_b128 v[2:5], v1, s[2:3]
	s_wait_xcnt 0x0
	s_add_nc_u64 s[2:3], s[0:1], 0x48
	s_delay_alu instid0(SALU_CYCLE_1)
	s_cselect_b32 s3, s3, s5
	s_cselect_b32 s2, s2, s4
	flat_load_b128 v[6:9], v1, s[2:3]
	s_wait_loadcnt_dscnt 0x101
	v_cmp_eq_f64_e32 vcc_lo, 0, v[2:3]
	s_wait_xcnt 0x0
	v_cmp_eq_f64_e64 s2, 0, v[4:5]
	s_and_b32 s4, vcc_lo, s2
	s_mov_b32 s2, -1
	s_and_saveexec_b32 s3, s4
	s_cbranch_execz .LBB355_2
; %bb.1:
	s_wait_loadcnt_dscnt 0x0
	v_cmp_neq_f64_e32 vcc_lo, 1.0, v[6:7]
	v_cmp_neq_f64_e64 s2, 0, v[8:9]
	s_or_b32 s2, vcc_lo, s2
	s_delay_alu instid0(SALU_CYCLE_1)
	s_or_not1_b32 s2, s2, exec_lo
.LBB355_2:
	s_or_b32 exec_lo, exec_lo, s3
	s_and_saveexec_b32 s3, s2
	s_cbranch_execz .LBB355_14
; %bb.3:
	s_bfe_u32 s2, ttmp6, 0x4000c
	s_and_b32 s3, ttmp6, 15
	s_add_co_i32 s2, s2, 1
	s_getreg_b32 s4, hwreg(HW_REG_IB_STS2, 6, 4)
	s_mul_i32 s2, ttmp9, s2
	s_mov_b32 s15, 0
	s_add_co_i32 s3, s3, s2
	s_cmp_eq_u32 s4, 0
	v_mov_b32_e32 v15, 0
	s_cselect_b32 s2, ttmp9, s3
	s_delay_alu instid0(SALU_CYCLE_1) | instskip(NEXT) | instid1(VALU_DEP_1)
	v_lshl_or_b32 v1, s2, 8, v0
	v_lshrrev_b32_e32 v14, 4, v1
	s_delay_alu instid0(VALU_DEP_1)
	v_cmp_gt_i64_e32 vcc_lo, s[12:13], v[14:15]
	s_and_b32 exec_lo, exec_lo, vcc_lo
	s_cbranch_execz .LBB355_14
; %bb.4:
	v_mbcnt_lo_u32_b32 v12, -1, 0
	v_dual_mul_f64 v[18:19], 0, v[2:3] :: v_dual_bitop2_b32 v10, 15, v0 bitop3:0x40
	v_mov_b32_e32 v11, v15
	s_wait_loadcnt_dscnt 0x0
	v_cmp_neq_f64_e64 s2, 0, v[6:7]
	v_xor_b32_e32 v13, 8, v12
	v_cmp_neq_f64_e64 s3, 0, v[8:9]
	v_mul_f64_e32 v[16:17], 0x80000000, v[4:5]
	s_mov_b32 s17, s15
	s_clause 0x1
	s_load_b32 s14, s[0:1], 0x68
	s_load_b256 s[4:11], s[0:1], 0x20
	v_sub_nc_u64_e64 v[0:1], v[10:11], s[16:17]
	v_cmp_gt_i32_e32 vcc_lo, 32, v13
	v_xor_b32_e32 v11, 4, v12
	s_clause 0x1
	s_load_b64 s[18:19], s[0:1], 0x58
	s_load_b64 s[20:21], s[0:1], 0x40
	s_wait_xcnt 0x0
	s_ashr_i32 s1, s16, 31
	s_mov_b32 s0, s16
	v_cndmask_b32_e32 v13, v12, v13, vcc_lo
	v_cmp_gt_i32_e32 vcc_lo, 32, v11
	v_xor_b32_e32 v20, 2, v12
	v_xor_b32_e32 v21, 1, v12
	s_lshl_b64 s[0:1], s[0:1], 4
	v_dual_cndmask_b32 v11, v12, v11 :: v_dual_lshlrev_b32 v28, 2, v13
	s_delay_alu instid0(VALU_DEP_3)
	v_cmp_gt_i32_e32 vcc_lo, 32, v20
	s_wait_kmcnt 0x0
	s_lshl_b32 s14, s14, 4
	v_cndmask_b32_e32 v20, v12, v20, vcc_lo
	v_cmp_gt_i32_e32 vcc_lo, 32, v21
	s_sub_nc_u64 s[20:21], s[20:21], s[0:1]
	v_dual_cndmask_b32 v12, v12, v21 :: v_dual_lshlrev_b32 v29, 2, v11
	s_delay_alu instid0(VALU_DEP_3) | instskip(SKIP_2) | instid1(VALU_DEP_2)
	v_lshlrev_b32_e32 v30, 2, v20
	s_or_b32 s1, s2, s3
	s_mov_b32 s2, s15
	v_lshlrev_b32_e32 v31, 2, v12
	v_cmp_eq_u32_e32 vcc_lo, 15, v10
	s_branch .LBB355_7
.LBB355_5:                              ;   in Loop: Header=BB355_7 Depth=1
	s_wait_xcnt 0x0
	s_or_b32 exec_lo, exec_lo, s3
	global_store_b128 v[20:21], v[10:13], off
.LBB355_6:                              ;   in Loop: Header=BB355_7 Depth=1
	s_wait_xcnt 0x0
	s_or_b32 exec_lo, exec_lo, s0
	v_add_nc_u64_e32 v[14:15], s[14:15], v[14:15]
	s_delay_alu instid0(VALU_DEP_1) | instskip(SKIP_1) | instid1(SALU_CYCLE_1)
	v_cmp_le_i64_e64 s0, s[12:13], v[14:15]
	s_or_b32 s2, s0, s2
	s_and_not1_b32 exec_lo, exec_lo, s2
	s_cbranch_execz .LBB355_14
.LBB355_7:                              ; =>This Loop Header: Depth=1
                                        ;     Child Loop BB355_9 Depth 2
	v_lshlrev_b64_e32 v[10:11], 3, v[14:15]
	s_mov_b32 s3, exec_lo
	s_delay_alu instid0(VALU_DEP_1)
	v_add_nc_u64_e32 v[12:13], s[6:7], v[10:11]
	v_add_nc_u64_e32 v[10:11], s[4:5], v[10:11]
	s_wait_dscnt 0x0
	global_load_b64 v[20:21], v[12:13], off
	global_load_b64 v[22:23], v[10:11], off
	s_wait_xcnt 0x0
	v_mov_b64_e32 v[10:11], 0
	v_mov_b64_e32 v[12:13], 0
	s_wait_loadcnt 0x1
	v_sub_nc_u64_e64 v[20:21], v[20:21], s[16:17]
	s_wait_loadcnt 0x0
	v_add_nc_u64_e32 v[22:23], v[22:23], v[0:1]
	s_delay_alu instid0(VALU_DEP_1)
	v_cmpx_lt_i64_e64 v[22:23], v[20:21]
	s_cbranch_execz .LBB355_11
; %bb.8:                                ;   in Loop: Header=BB355_7 Depth=1
	v_lshlrev_b64_e32 v[12:13], 3, v[22:23]
	v_mov_b64_e32 v[10:11], 0
	s_mov_b32 s22, 0
	s_delay_alu instid0(VALU_DEP_2)
	v_add_nc_u64_e32 v[24:25], s[10:11], v[12:13]
	v_add_nc_u64_e32 v[26:27], s[8:9], v[12:13]
	v_mov_b64_e32 v[12:13], 0
.LBB355_9:                              ;   Parent Loop BB355_7 Depth=1
                                        ; =>  This Inner Loop Header: Depth=2
	global_load_b64 v[32:33], v[26:27], off
	global_load_b64 v[36:37], v[24:25], off
	v_add_nc_u64_e32 v[22:23], 16, v[22:23]
	s_wait_xcnt 0x0
	v_add_nc_u64_e32 v[24:25], 0x80, v[24:25]
	v_add_nc_u64_e32 v[26:27], 0x80, v[26:27]
	s_delay_alu instid0(VALU_DEP_3)
	v_cmp_ge_i64_e64 s0, v[22:23], v[20:21]
	s_or_b32 s22, s0, s22
	s_wait_loadcnt 0x1
	v_lshl_add_u64 v[32:33], v[32:33], 4, s[20:21]
	s_wait_loadcnt 0x0
	v_fma_f64 v[38:39], v[2:3], v[36:37], v[16:17]
	v_fma_f64 v[36:37], v[4:5], v[36:37], v[18:19]
	global_load_b128 v[32:35], v[32:33], off
	s_wait_loadcnt 0x0
	v_fmac_f64_e32 v[12:13], v[38:39], v[32:33]
	v_fmac_f64_e32 v[10:11], v[36:37], v[32:33]
	s_delay_alu instid0(VALU_DEP_2) | instskip(NEXT) | instid1(VALU_DEP_2)
	v_fma_f64 v[12:13], -v[36:37], v[34:35], v[12:13]
	v_fmac_f64_e32 v[10:11], v[38:39], v[34:35]
	s_wait_xcnt 0x0
	s_and_not1_b32 exec_lo, exec_lo, s22
	s_cbranch_execnz .LBB355_9
; %bb.10:                               ;   in Loop: Header=BB355_7 Depth=1
	s_or_b32 exec_lo, exec_lo, s22
.LBB355_11:                             ;   in Loop: Header=BB355_7 Depth=1
	s_delay_alu instid0(SALU_CYCLE_1)
	s_or_b32 exec_lo, exec_lo, s3
	ds_bpermute_b32 v20, v28, v12
	ds_bpermute_b32 v21, v28, v13
	ds_bpermute_b32 v22, v28, v10
	ds_bpermute_b32 v23, v28, v11
	s_wait_dscnt 0x2
	v_add_f64_e32 v[12:13], v[12:13], v[20:21]
	s_wait_dscnt 0x0
	v_add_f64_e32 v[10:11], v[10:11], v[22:23]
	ds_bpermute_b32 v20, v29, v12
	ds_bpermute_b32 v21, v29, v13
	ds_bpermute_b32 v22, v29, v10
	ds_bpermute_b32 v23, v29, v11
	s_wait_dscnt 0x2
	v_add_f64_e32 v[12:13], v[12:13], v[20:21]
	s_wait_dscnt 0x0
	v_add_f64_e32 v[20:21], v[10:11], v[22:23]
	;; [unrolled: 8-line block ×3, first 2 shown]
	ds_bpermute_b32 v22, v31, v10
	ds_bpermute_b32 v23, v31, v11
	ds_bpermute_b32 v20, v31, v12
	ds_bpermute_b32 v21, v31, v13
	s_and_saveexec_b32 s0, vcc_lo
	s_cbranch_execz .LBB355_6
; %bb.12:                               ;   in Loop: Header=BB355_7 Depth=1
	s_wait_dscnt 0x2
	v_add_f64_e32 v[10:11], v[10:11], v[22:23]
	s_wait_dscnt 0x0
	v_add_f64_e32 v[12:13], v[12:13], v[20:21]
	v_lshl_add_u64 v[20:21], v[14:15], 4, s[18:19]
	s_and_saveexec_b32 s3, s1
	s_cbranch_execz .LBB355_5
; %bb.13:                               ;   in Loop: Header=BB355_7 Depth=1
	global_load_b128 v[22:25], v[20:21], off
	s_wait_loadcnt 0x0
	v_fmac_f64_e32 v[10:11], v[6:7], v[22:23]
	v_fmac_f64_e32 v[12:13], v[8:9], v[22:23]
	s_delay_alu instid0(VALU_DEP_2) | instskip(NEXT) | instid1(VALU_DEP_2)
	v_fma_f64 v[10:11], -v[8:9], v[24:25], v[10:11]
	v_fmac_f64_e32 v[12:13], v[6:7], v[24:25]
	s_branch .LBB355_5
.LBB355_14:
	s_endpgm
	.section	.rodata,"a",@progbits
	.p2align	6, 0x0
	.amdhsa_kernel _ZN9rocsparseL21csrmvn_general_kernelILj256ELj16Elld21rocsparse_complex_numIdES2_S2_EEvbT2_NS_24const_host_device_scalarIT6_EEPKT1_S9_PKS3_PKT3_PKT4_S6_PT5_21rocsparse_index_base_b
		.amdhsa_group_segment_fixed_size 0
		.amdhsa_private_segment_fixed_size 0
		.amdhsa_kernarg_size 360
		.amdhsa_user_sgpr_count 2
		.amdhsa_user_sgpr_dispatch_ptr 0
		.amdhsa_user_sgpr_queue_ptr 0
		.amdhsa_user_sgpr_kernarg_segment_ptr 1
		.amdhsa_user_sgpr_dispatch_id 0
		.amdhsa_user_sgpr_kernarg_preload_length 0
		.amdhsa_user_sgpr_kernarg_preload_offset 0
		.amdhsa_user_sgpr_private_segment_size 0
		.amdhsa_wavefront_size32 1
		.amdhsa_uses_dynamic_stack 0
		.amdhsa_enable_private_segment 0
		.amdhsa_system_sgpr_workgroup_id_x 1
		.amdhsa_system_sgpr_workgroup_id_y 0
		.amdhsa_system_sgpr_workgroup_id_z 0
		.amdhsa_system_sgpr_workgroup_info 0
		.amdhsa_system_vgpr_workitem_id 0
		.amdhsa_next_free_vgpr 40
		.amdhsa_next_free_sgpr 23
		.amdhsa_named_barrier_count 0
		.amdhsa_reserve_vcc 1
		.amdhsa_float_round_mode_32 0
		.amdhsa_float_round_mode_16_64 0
		.amdhsa_float_denorm_mode_32 3
		.amdhsa_float_denorm_mode_16_64 3
		.amdhsa_fp16_overflow 0
		.amdhsa_memory_ordered 1
		.amdhsa_forward_progress 1
		.amdhsa_inst_pref_size 9
		.amdhsa_round_robin_scheduling 0
		.amdhsa_exception_fp_ieee_invalid_op 0
		.amdhsa_exception_fp_denorm_src 0
		.amdhsa_exception_fp_ieee_div_zero 0
		.amdhsa_exception_fp_ieee_overflow 0
		.amdhsa_exception_fp_ieee_underflow 0
		.amdhsa_exception_fp_ieee_inexact 0
		.amdhsa_exception_int_div_zero 0
	.end_amdhsa_kernel
	.section	.text._ZN9rocsparseL21csrmvn_general_kernelILj256ELj16Elld21rocsparse_complex_numIdES2_S2_EEvbT2_NS_24const_host_device_scalarIT6_EEPKT1_S9_PKS3_PKT3_PKT4_S6_PT5_21rocsparse_index_base_b,"axG",@progbits,_ZN9rocsparseL21csrmvn_general_kernelILj256ELj16Elld21rocsparse_complex_numIdES2_S2_EEvbT2_NS_24const_host_device_scalarIT6_EEPKT1_S9_PKS3_PKT3_PKT4_S6_PT5_21rocsparse_index_base_b,comdat
.Lfunc_end355:
	.size	_ZN9rocsparseL21csrmvn_general_kernelILj256ELj16Elld21rocsparse_complex_numIdES2_S2_EEvbT2_NS_24const_host_device_scalarIT6_EEPKT1_S9_PKS3_PKT3_PKT4_S6_PT5_21rocsparse_index_base_b, .Lfunc_end355-_ZN9rocsparseL21csrmvn_general_kernelILj256ELj16Elld21rocsparse_complex_numIdES2_S2_EEvbT2_NS_24const_host_device_scalarIT6_EEPKT1_S9_PKS3_PKT3_PKT4_S6_PT5_21rocsparse_index_base_b
                                        ; -- End function
	.set _ZN9rocsparseL21csrmvn_general_kernelILj256ELj16Elld21rocsparse_complex_numIdES2_S2_EEvbT2_NS_24const_host_device_scalarIT6_EEPKT1_S9_PKS3_PKT3_PKT4_S6_PT5_21rocsparse_index_base_b.num_vgpr, 40
	.set _ZN9rocsparseL21csrmvn_general_kernelILj256ELj16Elld21rocsparse_complex_numIdES2_S2_EEvbT2_NS_24const_host_device_scalarIT6_EEPKT1_S9_PKS3_PKT3_PKT4_S6_PT5_21rocsparse_index_base_b.num_agpr, 0
	.set _ZN9rocsparseL21csrmvn_general_kernelILj256ELj16Elld21rocsparse_complex_numIdES2_S2_EEvbT2_NS_24const_host_device_scalarIT6_EEPKT1_S9_PKS3_PKT3_PKT4_S6_PT5_21rocsparse_index_base_b.numbered_sgpr, 23
	.set _ZN9rocsparseL21csrmvn_general_kernelILj256ELj16Elld21rocsparse_complex_numIdES2_S2_EEvbT2_NS_24const_host_device_scalarIT6_EEPKT1_S9_PKS3_PKT3_PKT4_S6_PT5_21rocsparse_index_base_b.num_named_barrier, 0
	.set _ZN9rocsparseL21csrmvn_general_kernelILj256ELj16Elld21rocsparse_complex_numIdES2_S2_EEvbT2_NS_24const_host_device_scalarIT6_EEPKT1_S9_PKS3_PKT3_PKT4_S6_PT5_21rocsparse_index_base_b.private_seg_size, 0
	.set _ZN9rocsparseL21csrmvn_general_kernelILj256ELj16Elld21rocsparse_complex_numIdES2_S2_EEvbT2_NS_24const_host_device_scalarIT6_EEPKT1_S9_PKS3_PKT3_PKT4_S6_PT5_21rocsparse_index_base_b.uses_vcc, 1
	.set _ZN9rocsparseL21csrmvn_general_kernelILj256ELj16Elld21rocsparse_complex_numIdES2_S2_EEvbT2_NS_24const_host_device_scalarIT6_EEPKT1_S9_PKS3_PKT3_PKT4_S6_PT5_21rocsparse_index_base_b.uses_flat_scratch, 0
	.set _ZN9rocsparseL21csrmvn_general_kernelILj256ELj16Elld21rocsparse_complex_numIdES2_S2_EEvbT2_NS_24const_host_device_scalarIT6_EEPKT1_S9_PKS3_PKT3_PKT4_S6_PT5_21rocsparse_index_base_b.has_dyn_sized_stack, 0
	.set _ZN9rocsparseL21csrmvn_general_kernelILj256ELj16Elld21rocsparse_complex_numIdES2_S2_EEvbT2_NS_24const_host_device_scalarIT6_EEPKT1_S9_PKS3_PKT3_PKT4_S6_PT5_21rocsparse_index_base_b.has_recursion, 0
	.set _ZN9rocsparseL21csrmvn_general_kernelILj256ELj16Elld21rocsparse_complex_numIdES2_S2_EEvbT2_NS_24const_host_device_scalarIT6_EEPKT1_S9_PKS3_PKT3_PKT4_S6_PT5_21rocsparse_index_base_b.has_indirect_call, 0
	.section	.AMDGPU.csdata,"",@progbits
; Kernel info:
; codeLenInByte = 1076
; TotalNumSgprs: 25
; NumVgprs: 40
; ScratchSize: 0
; MemoryBound: 0
; FloatMode: 240
; IeeeMode: 1
; LDSByteSize: 0 bytes/workgroup (compile time only)
; SGPRBlocks: 0
; VGPRBlocks: 2
; NumSGPRsForWavesPerEU: 25
; NumVGPRsForWavesPerEU: 40
; NamedBarCnt: 0
; Occupancy: 16
; WaveLimiterHint : 1
; COMPUTE_PGM_RSRC2:SCRATCH_EN: 0
; COMPUTE_PGM_RSRC2:USER_SGPR: 2
; COMPUTE_PGM_RSRC2:TRAP_HANDLER: 0
; COMPUTE_PGM_RSRC2:TGID_X_EN: 1
; COMPUTE_PGM_RSRC2:TGID_Y_EN: 0
; COMPUTE_PGM_RSRC2:TGID_Z_EN: 0
; COMPUTE_PGM_RSRC2:TIDIG_COMP_CNT: 0
	.section	.text._ZN9rocsparseL21csrmvn_general_kernelILj256ELj32Elld21rocsparse_complex_numIdES2_S2_EEvbT2_NS_24const_host_device_scalarIT6_EEPKT1_S9_PKS3_PKT3_PKT4_S6_PT5_21rocsparse_index_base_b,"axG",@progbits,_ZN9rocsparseL21csrmvn_general_kernelILj256ELj32Elld21rocsparse_complex_numIdES2_S2_EEvbT2_NS_24const_host_device_scalarIT6_EEPKT1_S9_PKS3_PKT3_PKT4_S6_PT5_21rocsparse_index_base_b,comdat
	.globl	_ZN9rocsparseL21csrmvn_general_kernelILj256ELj32Elld21rocsparse_complex_numIdES2_S2_EEvbT2_NS_24const_host_device_scalarIT6_EEPKT1_S9_PKS3_PKT3_PKT4_S6_PT5_21rocsparse_index_base_b ; -- Begin function _ZN9rocsparseL21csrmvn_general_kernelILj256ELj32Elld21rocsparse_complex_numIdES2_S2_EEvbT2_NS_24const_host_device_scalarIT6_EEPKT1_S9_PKS3_PKT3_PKT4_S6_PT5_21rocsparse_index_base_b
	.p2align	8
	.type	_ZN9rocsparseL21csrmvn_general_kernelILj256ELj32Elld21rocsparse_complex_numIdES2_S2_EEvbT2_NS_24const_host_device_scalarIT6_EEPKT1_S9_PKS3_PKT3_PKT4_S6_PT5_21rocsparse_index_base_b,@function
_ZN9rocsparseL21csrmvn_general_kernelILj256ELj32Elld21rocsparse_complex_numIdES2_S2_EEvbT2_NS_24const_host_device_scalarIT6_EEPKT1_S9_PKS3_PKT3_PKT4_S6_PT5_21rocsparse_index_base_b: ; @_ZN9rocsparseL21csrmvn_general_kernelILj256ELj32Elld21rocsparse_complex_numIdES2_S2_EEvbT2_NS_24const_host_device_scalarIT6_EEPKT1_S9_PKS3_PKT3_PKT4_S6_PT5_21rocsparse_index_base_b
; %bb.0:
	s_clause 0x1
	s_load_b64 s[16:17], s[0:1], 0x60
	s_load_b128 s[12:15], s[0:1], 0x8
	v_mov_b32_e32 v1, 0
	s_add_nc_u64 s[2:3], s[0:1], 16
	s_load_b64 s[4:5], s[0:1], 0x48
	s_wait_kmcnt 0x0
	s_bitcmp1_b32 s17, 0
	s_cselect_b32 s3, s3, s15
	s_cselect_b32 s2, s2, s14
	flat_load_b128 v[2:5], v1, s[2:3]
	s_wait_xcnt 0x0
	s_add_nc_u64 s[2:3], s[0:1], 0x48
	s_delay_alu instid0(SALU_CYCLE_1)
	s_cselect_b32 s3, s3, s5
	s_cselect_b32 s2, s2, s4
	flat_load_b128 v[6:9], v1, s[2:3]
	s_wait_loadcnt_dscnt 0x101
	v_cmp_eq_f64_e32 vcc_lo, 0, v[2:3]
	s_wait_xcnt 0x0
	v_cmp_eq_f64_e64 s2, 0, v[4:5]
	s_and_b32 s4, vcc_lo, s2
	s_mov_b32 s2, -1
	s_and_saveexec_b32 s3, s4
	s_cbranch_execz .LBB356_2
; %bb.1:
	s_wait_loadcnt_dscnt 0x0
	v_cmp_neq_f64_e32 vcc_lo, 1.0, v[6:7]
	v_cmp_neq_f64_e64 s2, 0, v[8:9]
	s_or_b32 s2, vcc_lo, s2
	s_delay_alu instid0(SALU_CYCLE_1)
	s_or_not1_b32 s2, s2, exec_lo
.LBB356_2:
	s_or_b32 exec_lo, exec_lo, s3
	s_and_saveexec_b32 s3, s2
	s_cbranch_execz .LBB356_14
; %bb.3:
	s_bfe_u32 s2, ttmp6, 0x4000c
	s_and_b32 s3, ttmp6, 15
	s_add_co_i32 s2, s2, 1
	s_getreg_b32 s4, hwreg(HW_REG_IB_STS2, 6, 4)
	s_mul_i32 s2, ttmp9, s2
	v_mov_b32_e32 v15, 0
	s_add_co_i32 s3, s3, s2
	s_cmp_eq_u32 s4, 0
	s_cselect_b32 s2, ttmp9, s3
	s_mov_b32 s3, 0
	v_lshl_or_b32 v1, s2, 8, v0
	s_delay_alu instid0(VALU_DEP_1) | instskip(NEXT) | instid1(VALU_DEP_1)
	v_lshrrev_b32_e32 v14, 5, v1
	v_cmp_gt_i64_e32 vcc_lo, s[12:13], v[14:15]
	s_and_b32 exec_lo, exec_lo, vcc_lo
	s_cbranch_execz .LBB356_14
; %bb.4:
	v_mbcnt_lo_u32_b32 v12, -1, 0
	v_dual_mov_b32 v11, v15 :: v_dual_bitop2_b32 v10, 31, v0 bitop3:0x40
	v_mul_f64_e32 v[16:17], 0, v[2:3]
	s_mov_b32 s17, s3
	s_delay_alu instid0(VALU_DEP_3)
	v_xor_b32_e32 v13, 16, v12
	s_clause 0x3
	s_load_b32 s2, s[0:1], 0x68
	s_load_b256 s[4:11], s[0:1], 0x20
	s_load_b64 s[14:15], s[0:1], 0x58
	s_load_b64 s[18:19], s[0:1], 0x40
	v_sub_nc_u64_e64 v[18:19], v[10:11], s[16:17]
	s_wait_loadcnt_dscnt 0x0
	v_cmp_neq_f64_e64 s0, 0, v[6:7]
	v_cmp_neq_f64_e64 s1, 0, v[8:9]
	v_cmp_gt_i32_e32 vcc_lo, 32, v13
	v_xor_b32_e32 v11, 8, v12
	v_mul_f64_e32 v[0:1], 0x80000000, v[4:5]
	v_xor_b32_e32 v22, 1, v12
	v_dual_cndmask_b32 v13, v12, v13, vcc_lo :: v_dual_bitop2_b32 v21, 2, v12 bitop3:0x14
	s_delay_alu instid0(VALU_DEP_4) | instskip(SKIP_4) | instid1(VALU_DEP_2)
	v_cmp_gt_i32_e32 vcc_lo, 32, v11
	v_xor_b32_e32 v20, 4, v12
	s_ashr_i32 s21, s16, 31
	s_mov_b32 s20, s16
	v_dual_cndmask_b32 v11, v12, v11 :: v_dual_lshlrev_b32 v28, 2, v13
	v_cmp_gt_i32_e32 vcc_lo, 32, v20
	s_lshl_b64 s[20:21], s[20:21], 4
	s_wait_kmcnt 0x0
	s_lshl_b32 s2, s2, 3
	s_sub_nc_u64 s[18:19], s[18:19], s[20:21]
	v_cndmask_b32_e32 v20, v12, v20, vcc_lo
	v_cmp_gt_i32_e32 vcc_lo, 32, v21
	v_lshlrev_b32_e32 v29, 2, v11
	s_mov_b32 s20, s3
	s_delay_alu instid0(VALU_DEP_3) | instskip(SKIP_1) | instid1(VALU_DEP_2)
	v_dual_cndmask_b32 v21, v12, v21 :: v_dual_lshlrev_b32 v30, 2, v20
	v_cmp_gt_i32_e32 vcc_lo, 32, v22
	v_dual_cndmask_b32 v12, v12, v22 :: v_dual_lshlrev_b32 v31, 2, v21
	s_or_b32 s1, s0, s1
	v_cmp_eq_u32_e32 vcc_lo, 31, v10
	s_delay_alu instid0(VALU_DEP_2)
	v_lshlrev_b32_e32 v32, 2, v12
	s_branch .LBB356_7
.LBB356_5:                              ;   in Loop: Header=BB356_7 Depth=1
	s_wait_xcnt 0x0
	s_or_b32 exec_lo, exec_lo, s21
	global_store_b128 v[20:21], v[10:13], off
.LBB356_6:                              ;   in Loop: Header=BB356_7 Depth=1
	s_wait_xcnt 0x0
	s_or_b32 exec_lo, exec_lo, s0
	v_add_nc_u64_e32 v[14:15], s[2:3], v[14:15]
	s_delay_alu instid0(VALU_DEP_1) | instskip(SKIP_1) | instid1(SALU_CYCLE_1)
	v_cmp_le_i64_e64 s0, s[12:13], v[14:15]
	s_or_b32 s20, s0, s20
	s_and_not1_b32 exec_lo, exec_lo, s20
	s_cbranch_execz .LBB356_14
.LBB356_7:                              ; =>This Loop Header: Depth=1
                                        ;     Child Loop BB356_9 Depth 2
	v_lshlrev_b64_e32 v[10:11], 3, v[14:15]
	s_mov_b32 s21, exec_lo
	s_delay_alu instid0(VALU_DEP_1)
	v_add_nc_u64_e32 v[12:13], s[6:7], v[10:11]
	v_add_nc_u64_e32 v[10:11], s[4:5], v[10:11]
	s_wait_dscnt 0x0
	global_load_b64 v[20:21], v[12:13], off
	global_load_b64 v[22:23], v[10:11], off
	s_wait_xcnt 0x0
	v_mov_b64_e32 v[10:11], 0
	v_mov_b64_e32 v[12:13], 0
	s_wait_loadcnt 0x1
	v_sub_nc_u64_e64 v[20:21], v[20:21], s[16:17]
	s_wait_loadcnt 0x0
	v_add_nc_u64_e32 v[22:23], v[22:23], v[18:19]
	s_delay_alu instid0(VALU_DEP_1)
	v_cmpx_lt_i64_e64 v[22:23], v[20:21]
	s_cbranch_execz .LBB356_11
; %bb.8:                                ;   in Loop: Header=BB356_7 Depth=1
	v_lshlrev_b64_e32 v[12:13], 3, v[22:23]
	v_mov_b64_e32 v[10:11], 0
	s_mov_b32 s22, 0
	s_delay_alu instid0(VALU_DEP_2)
	v_add_nc_u64_e32 v[24:25], s[10:11], v[12:13]
	v_add_nc_u64_e32 v[26:27], s[8:9], v[12:13]
	v_mov_b64_e32 v[12:13], 0
.LBB356_9:                              ;   Parent Loop BB356_7 Depth=1
                                        ; =>  This Inner Loop Header: Depth=2
	global_load_b64 v[34:35], v[26:27], off
	global_load_b64 v[38:39], v[24:25], off
	v_add_nc_u64_e32 v[22:23], 32, v[22:23]
	s_wait_xcnt 0x0
	v_add_nc_u64_e32 v[24:25], 0x100, v[24:25]
	v_add_nc_u64_e32 v[26:27], 0x100, v[26:27]
	s_delay_alu instid0(VALU_DEP_3)
	v_cmp_ge_i64_e64 s0, v[22:23], v[20:21]
	s_or_b32 s22, s0, s22
	s_wait_loadcnt 0x1
	v_lshl_add_u64 v[34:35], v[34:35], 4, s[18:19]
	s_wait_loadcnt 0x0
	v_fma_f64 v[40:41], v[2:3], v[38:39], v[0:1]
	v_fma_f64 v[38:39], v[4:5], v[38:39], v[16:17]
	global_load_b128 v[34:37], v[34:35], off
	s_wait_loadcnt 0x0
	v_fmac_f64_e32 v[12:13], v[40:41], v[34:35]
	v_fmac_f64_e32 v[10:11], v[38:39], v[34:35]
	s_delay_alu instid0(VALU_DEP_2) | instskip(NEXT) | instid1(VALU_DEP_2)
	v_fma_f64 v[12:13], -v[38:39], v[36:37], v[12:13]
	v_fmac_f64_e32 v[10:11], v[40:41], v[36:37]
	s_wait_xcnt 0x0
	s_and_not1_b32 exec_lo, exec_lo, s22
	s_cbranch_execnz .LBB356_9
; %bb.10:                               ;   in Loop: Header=BB356_7 Depth=1
	s_or_b32 exec_lo, exec_lo, s22
.LBB356_11:                             ;   in Loop: Header=BB356_7 Depth=1
	s_delay_alu instid0(SALU_CYCLE_1)
	s_or_b32 exec_lo, exec_lo, s21
	ds_bpermute_b32 v20, v28, v12
	ds_bpermute_b32 v21, v28, v13
	ds_bpermute_b32 v22, v28, v10
	ds_bpermute_b32 v23, v28, v11
	s_wait_dscnt 0x2
	v_add_f64_e32 v[12:13], v[12:13], v[20:21]
	s_wait_dscnt 0x0
	v_add_f64_e32 v[10:11], v[10:11], v[22:23]
	ds_bpermute_b32 v20, v29, v12
	ds_bpermute_b32 v21, v29, v13
	ds_bpermute_b32 v22, v29, v10
	ds_bpermute_b32 v23, v29, v11
	s_wait_dscnt 0x2
	v_add_f64_e32 v[12:13], v[12:13], v[20:21]
	s_wait_dscnt 0x0
	v_add_f64_e32 v[10:11], v[10:11], v[22:23]
	;; [unrolled: 8-line block ×4, first 2 shown]
	ds_bpermute_b32 v22, v32, v10
	ds_bpermute_b32 v23, v32, v11
	ds_bpermute_b32 v20, v32, v12
	ds_bpermute_b32 v21, v32, v13
	s_and_saveexec_b32 s0, vcc_lo
	s_cbranch_execz .LBB356_6
; %bb.12:                               ;   in Loop: Header=BB356_7 Depth=1
	s_wait_dscnt 0x2
	v_add_f64_e32 v[10:11], v[10:11], v[22:23]
	s_wait_dscnt 0x0
	v_add_f64_e32 v[12:13], v[12:13], v[20:21]
	v_lshl_add_u64 v[20:21], v[14:15], 4, s[14:15]
	s_and_saveexec_b32 s21, s1
	s_cbranch_execz .LBB356_5
; %bb.13:                               ;   in Loop: Header=BB356_7 Depth=1
	global_load_b128 v[22:25], v[20:21], off
	s_wait_loadcnt 0x0
	v_fmac_f64_e32 v[10:11], v[6:7], v[22:23]
	v_fmac_f64_e32 v[12:13], v[8:9], v[22:23]
	s_delay_alu instid0(VALU_DEP_2) | instskip(NEXT) | instid1(VALU_DEP_2)
	v_fma_f64 v[10:11], -v[8:9], v[24:25], v[10:11]
	v_fmac_f64_e32 v[12:13], v[6:7], v[24:25]
	s_branch .LBB356_5
.LBB356_14:
	s_endpgm
	.section	.rodata,"a",@progbits
	.p2align	6, 0x0
	.amdhsa_kernel _ZN9rocsparseL21csrmvn_general_kernelILj256ELj32Elld21rocsparse_complex_numIdES2_S2_EEvbT2_NS_24const_host_device_scalarIT6_EEPKT1_S9_PKS3_PKT3_PKT4_S6_PT5_21rocsparse_index_base_b
		.amdhsa_group_segment_fixed_size 0
		.amdhsa_private_segment_fixed_size 0
		.amdhsa_kernarg_size 360
		.amdhsa_user_sgpr_count 2
		.amdhsa_user_sgpr_dispatch_ptr 0
		.amdhsa_user_sgpr_queue_ptr 0
		.amdhsa_user_sgpr_kernarg_segment_ptr 1
		.amdhsa_user_sgpr_dispatch_id 0
		.amdhsa_user_sgpr_kernarg_preload_length 0
		.amdhsa_user_sgpr_kernarg_preload_offset 0
		.amdhsa_user_sgpr_private_segment_size 0
		.amdhsa_wavefront_size32 1
		.amdhsa_uses_dynamic_stack 0
		.amdhsa_enable_private_segment 0
		.amdhsa_system_sgpr_workgroup_id_x 1
		.amdhsa_system_sgpr_workgroup_id_y 0
		.amdhsa_system_sgpr_workgroup_id_z 0
		.amdhsa_system_sgpr_workgroup_info 0
		.amdhsa_system_vgpr_workitem_id 0
		.amdhsa_next_free_vgpr 42
		.amdhsa_next_free_sgpr 23
		.amdhsa_named_barrier_count 0
		.amdhsa_reserve_vcc 1
		.amdhsa_float_round_mode_32 0
		.amdhsa_float_round_mode_16_64 0
		.amdhsa_float_denorm_mode_32 3
		.amdhsa_float_denorm_mode_16_64 3
		.amdhsa_fp16_overflow 0
		.amdhsa_memory_ordered 1
		.amdhsa_forward_progress 1
		.amdhsa_inst_pref_size 9
		.amdhsa_round_robin_scheduling 0
		.amdhsa_exception_fp_ieee_invalid_op 0
		.amdhsa_exception_fp_denorm_src 0
		.amdhsa_exception_fp_ieee_div_zero 0
		.amdhsa_exception_fp_ieee_overflow 0
		.amdhsa_exception_fp_ieee_underflow 0
		.amdhsa_exception_fp_ieee_inexact 0
		.amdhsa_exception_int_div_zero 0
	.end_amdhsa_kernel
	.section	.text._ZN9rocsparseL21csrmvn_general_kernelILj256ELj32Elld21rocsparse_complex_numIdES2_S2_EEvbT2_NS_24const_host_device_scalarIT6_EEPKT1_S9_PKS3_PKT3_PKT4_S6_PT5_21rocsparse_index_base_b,"axG",@progbits,_ZN9rocsparseL21csrmvn_general_kernelILj256ELj32Elld21rocsparse_complex_numIdES2_S2_EEvbT2_NS_24const_host_device_scalarIT6_EEPKT1_S9_PKS3_PKT3_PKT4_S6_PT5_21rocsparse_index_base_b,comdat
.Lfunc_end356:
	.size	_ZN9rocsparseL21csrmvn_general_kernelILj256ELj32Elld21rocsparse_complex_numIdES2_S2_EEvbT2_NS_24const_host_device_scalarIT6_EEPKT1_S9_PKS3_PKT3_PKT4_S6_PT5_21rocsparse_index_base_b, .Lfunc_end356-_ZN9rocsparseL21csrmvn_general_kernelILj256ELj32Elld21rocsparse_complex_numIdES2_S2_EEvbT2_NS_24const_host_device_scalarIT6_EEPKT1_S9_PKS3_PKT3_PKT4_S6_PT5_21rocsparse_index_base_b
                                        ; -- End function
	.set _ZN9rocsparseL21csrmvn_general_kernelILj256ELj32Elld21rocsparse_complex_numIdES2_S2_EEvbT2_NS_24const_host_device_scalarIT6_EEPKT1_S9_PKS3_PKT3_PKT4_S6_PT5_21rocsparse_index_base_b.num_vgpr, 42
	.set _ZN9rocsparseL21csrmvn_general_kernelILj256ELj32Elld21rocsparse_complex_numIdES2_S2_EEvbT2_NS_24const_host_device_scalarIT6_EEPKT1_S9_PKS3_PKT3_PKT4_S6_PT5_21rocsparse_index_base_b.num_agpr, 0
	.set _ZN9rocsparseL21csrmvn_general_kernelILj256ELj32Elld21rocsparse_complex_numIdES2_S2_EEvbT2_NS_24const_host_device_scalarIT6_EEPKT1_S9_PKS3_PKT3_PKT4_S6_PT5_21rocsparse_index_base_b.numbered_sgpr, 23
	.set _ZN9rocsparseL21csrmvn_general_kernelILj256ELj32Elld21rocsparse_complex_numIdES2_S2_EEvbT2_NS_24const_host_device_scalarIT6_EEPKT1_S9_PKS3_PKT3_PKT4_S6_PT5_21rocsparse_index_base_b.num_named_barrier, 0
	.set _ZN9rocsparseL21csrmvn_general_kernelILj256ELj32Elld21rocsparse_complex_numIdES2_S2_EEvbT2_NS_24const_host_device_scalarIT6_EEPKT1_S9_PKS3_PKT3_PKT4_S6_PT5_21rocsparse_index_base_b.private_seg_size, 0
	.set _ZN9rocsparseL21csrmvn_general_kernelILj256ELj32Elld21rocsparse_complex_numIdES2_S2_EEvbT2_NS_24const_host_device_scalarIT6_EEPKT1_S9_PKS3_PKT3_PKT4_S6_PT5_21rocsparse_index_base_b.uses_vcc, 1
	.set _ZN9rocsparseL21csrmvn_general_kernelILj256ELj32Elld21rocsparse_complex_numIdES2_S2_EEvbT2_NS_24const_host_device_scalarIT6_EEPKT1_S9_PKS3_PKT3_PKT4_S6_PT5_21rocsparse_index_base_b.uses_flat_scratch, 0
	.set _ZN9rocsparseL21csrmvn_general_kernelILj256ELj32Elld21rocsparse_complex_numIdES2_S2_EEvbT2_NS_24const_host_device_scalarIT6_EEPKT1_S9_PKS3_PKT3_PKT4_S6_PT5_21rocsparse_index_base_b.has_dyn_sized_stack, 0
	.set _ZN9rocsparseL21csrmvn_general_kernelILj256ELj32Elld21rocsparse_complex_numIdES2_S2_EEvbT2_NS_24const_host_device_scalarIT6_EEPKT1_S9_PKS3_PKT3_PKT4_S6_PT5_21rocsparse_index_base_b.has_recursion, 0
	.set _ZN9rocsparseL21csrmvn_general_kernelILj256ELj32Elld21rocsparse_complex_numIdES2_S2_EEvbT2_NS_24const_host_device_scalarIT6_EEPKT1_S9_PKS3_PKT3_PKT4_S6_PT5_21rocsparse_index_base_b.has_indirect_call, 0
	.section	.AMDGPU.csdata,"",@progbits
; Kernel info:
; codeLenInByte = 1140
; TotalNumSgprs: 25
; NumVgprs: 42
; ScratchSize: 0
; MemoryBound: 0
; FloatMode: 240
; IeeeMode: 1
; LDSByteSize: 0 bytes/workgroup (compile time only)
; SGPRBlocks: 0
; VGPRBlocks: 2
; NumSGPRsForWavesPerEU: 25
; NumVGPRsForWavesPerEU: 42
; NamedBarCnt: 0
; Occupancy: 16
; WaveLimiterHint : 1
; COMPUTE_PGM_RSRC2:SCRATCH_EN: 0
; COMPUTE_PGM_RSRC2:USER_SGPR: 2
; COMPUTE_PGM_RSRC2:TRAP_HANDLER: 0
; COMPUTE_PGM_RSRC2:TGID_X_EN: 1
; COMPUTE_PGM_RSRC2:TGID_Y_EN: 0
; COMPUTE_PGM_RSRC2:TGID_Z_EN: 0
; COMPUTE_PGM_RSRC2:TIDIG_COMP_CNT: 0
	.section	.text._ZN9rocsparseL21csrmvn_general_kernelILj256ELj64Elld21rocsparse_complex_numIdES2_S2_EEvbT2_NS_24const_host_device_scalarIT6_EEPKT1_S9_PKS3_PKT3_PKT4_S6_PT5_21rocsparse_index_base_b,"axG",@progbits,_ZN9rocsparseL21csrmvn_general_kernelILj256ELj64Elld21rocsparse_complex_numIdES2_S2_EEvbT2_NS_24const_host_device_scalarIT6_EEPKT1_S9_PKS3_PKT3_PKT4_S6_PT5_21rocsparse_index_base_b,comdat
	.globl	_ZN9rocsparseL21csrmvn_general_kernelILj256ELj64Elld21rocsparse_complex_numIdES2_S2_EEvbT2_NS_24const_host_device_scalarIT6_EEPKT1_S9_PKS3_PKT3_PKT4_S6_PT5_21rocsparse_index_base_b ; -- Begin function _ZN9rocsparseL21csrmvn_general_kernelILj256ELj64Elld21rocsparse_complex_numIdES2_S2_EEvbT2_NS_24const_host_device_scalarIT6_EEPKT1_S9_PKS3_PKT3_PKT4_S6_PT5_21rocsparse_index_base_b
	.p2align	8
	.type	_ZN9rocsparseL21csrmvn_general_kernelILj256ELj64Elld21rocsparse_complex_numIdES2_S2_EEvbT2_NS_24const_host_device_scalarIT6_EEPKT1_S9_PKS3_PKT3_PKT4_S6_PT5_21rocsparse_index_base_b,@function
_ZN9rocsparseL21csrmvn_general_kernelILj256ELj64Elld21rocsparse_complex_numIdES2_S2_EEvbT2_NS_24const_host_device_scalarIT6_EEPKT1_S9_PKS3_PKT3_PKT4_S6_PT5_21rocsparse_index_base_b: ; @_ZN9rocsparseL21csrmvn_general_kernelILj256ELj64Elld21rocsparse_complex_numIdES2_S2_EEvbT2_NS_24const_host_device_scalarIT6_EEPKT1_S9_PKS3_PKT3_PKT4_S6_PT5_21rocsparse_index_base_b
; %bb.0:
	s_clause 0x1
	s_load_b64 s[16:17], s[0:1], 0x60
	s_load_b128 s[12:15], s[0:1], 0x8
	v_mov_b32_e32 v1, 0
	s_add_nc_u64 s[2:3], s[0:1], 16
	s_load_b64 s[4:5], s[0:1], 0x48
	s_wait_kmcnt 0x0
	s_bitcmp1_b32 s17, 0
	s_cselect_b32 s3, s3, s15
	s_cselect_b32 s2, s2, s14
	flat_load_b128 v[2:5], v1, s[2:3]
	s_wait_xcnt 0x0
	s_add_nc_u64 s[2:3], s[0:1], 0x48
	s_delay_alu instid0(SALU_CYCLE_1)
	s_cselect_b32 s3, s3, s5
	s_cselect_b32 s2, s2, s4
	flat_load_b128 v[6:9], v1, s[2:3]
	s_wait_loadcnt_dscnt 0x101
	v_cmp_eq_f64_e32 vcc_lo, 0, v[2:3]
	s_wait_xcnt 0x0
	v_cmp_eq_f64_e64 s2, 0, v[4:5]
	s_and_b32 s4, vcc_lo, s2
	s_mov_b32 s2, -1
	s_and_saveexec_b32 s3, s4
	s_cbranch_execz .LBB357_2
; %bb.1:
	s_wait_loadcnt_dscnt 0x0
	v_cmp_neq_f64_e32 vcc_lo, 1.0, v[6:7]
	v_cmp_neq_f64_e64 s2, 0, v[8:9]
	s_or_b32 s2, vcc_lo, s2
	s_delay_alu instid0(SALU_CYCLE_1)
	s_or_not1_b32 s2, s2, exec_lo
.LBB357_2:
	s_or_b32 exec_lo, exec_lo, s3
	s_and_saveexec_b32 s3, s2
	s_cbranch_execz .LBB357_14
; %bb.3:
	s_bfe_u32 s2, ttmp6, 0x4000c
	s_and_b32 s3, ttmp6, 15
	s_add_co_i32 s2, s2, 1
	s_getreg_b32 s4, hwreg(HW_REG_IB_STS2, 6, 4)
	s_mul_i32 s2, ttmp9, s2
	v_mov_b32_e32 v15, 0
	s_add_co_i32 s3, s3, s2
	s_cmp_eq_u32 s4, 0
	s_cselect_b32 s2, ttmp9, s3
	s_mov_b32 s3, 0
	v_lshl_or_b32 v1, s2, 8, v0
	s_delay_alu instid0(VALU_DEP_1) | instskip(NEXT) | instid1(VALU_DEP_1)
	v_lshrrev_b32_e32 v14, 6, v1
	v_cmp_gt_i64_e32 vcc_lo, s[12:13], v[14:15]
	s_and_b32 exec_lo, exec_lo, vcc_lo
	s_cbranch_execz .LBB357_14
; %bb.4:
	v_mbcnt_lo_u32_b32 v12, -1, 0
	v_dual_mov_b32 v11, v15 :: v_dual_bitop2_b32 v10, 63, v0 bitop3:0x40
	s_mov_b32 s17, s3
	s_clause 0x3
	s_load_b32 s2, s[0:1], 0x68
	s_load_b256 s[4:11], s[0:1], 0x20
	s_load_b64 s[14:15], s[0:1], 0x58
	s_load_b64 s[18:19], s[0:1], 0x40
	v_dual_mul_f64 v[16:17], 0, v[2:3] :: v_dual_bitop2_b32 v13, 32, v12 bitop3:0x54
	v_sub_nc_u64_e64 v[18:19], v[10:11], s[16:17]
	s_wait_loadcnt_dscnt 0x0
	v_cmp_neq_f64_e64 s0, 0, v[6:7]
	v_cmp_neq_f64_e64 s1, 0, v[8:9]
	v_cmp_gt_i32_e32 vcc_lo, 32, v13
	v_mul_f64_e32 v[0:1], 0x80000000, v[4:5]
	s_ashr_i32 s21, s16, 31
	s_mov_b32 s20, s16
	v_dual_cndmask_b32 v13, v12, v13, vcc_lo :: v_dual_bitop2_b32 v20, 16, v12 bitop3:0x14
	s_lshl_b64 s[20:21], s[20:21], 4
	v_xor_b32_e32 v11, 8, v12
	s_delay_alu instid0(VALU_DEP_2) | instskip(NEXT) | instid1(VALU_DEP_3)
	v_cmp_gt_i32_e32 vcc_lo, 32, v20
	v_lshlrev_b32_e32 v28, 2, v13
	s_wait_kmcnt 0x0
	s_lshl_b32 s2, s2, 2
	s_sub_nc_u64 s[18:19], s[18:19], s[20:21]
	v_cndmask_b32_e32 v13, v12, v20, vcc_lo
	v_cmp_gt_i32_e32 vcc_lo, 32, v11
	s_mov_b32 s20, s3
	v_dual_cndmask_b32 v11, v12, v11, vcc_lo :: v_dual_bitop2_b32 v22, 1, v12 bitop3:0x14
	s_delay_alu instid0(VALU_DEP_3) | instskip(NEXT) | instid1(VALU_DEP_2)
	v_dual_lshlrev_b32 v29, 2, v13 :: v_dual_bitop2_b32 v21, 2, v12 bitop3:0x14
	v_dual_lshlrev_b32 v30, 2, v11 :: v_dual_bitop2_b32 v20, 4, v12 bitop3:0x14
	s_delay_alu instid0(VALU_DEP_1)
	v_cmp_gt_i32_e32 vcc_lo, 32, v20
	s_or_b32 s1, s0, s1
	v_cndmask_b32_e32 v20, v12, v20, vcc_lo
	v_cmp_gt_i32_e32 vcc_lo, 32, v21
	v_cndmask_b32_e32 v21, v12, v21, vcc_lo
	v_cmp_gt_i32_e32 vcc_lo, 32, v22
	s_delay_alu instid0(VALU_DEP_2) | instskip(SKIP_2) | instid1(VALU_DEP_2)
	v_dual_lshlrev_b32 v31, 2, v20 :: v_dual_lshlrev_b32 v32, 2, v21
	v_cndmask_b32_e32 v12, v12, v22, vcc_lo
	v_cmp_eq_u32_e32 vcc_lo, 63, v10
	v_lshlrev_b32_e32 v33, 2, v12
	s_branch .LBB357_7
.LBB357_5:                              ;   in Loop: Header=BB357_7 Depth=1
	s_wait_xcnt 0x0
	s_or_b32 exec_lo, exec_lo, s21
	global_store_b128 v[20:21], v[10:13], off
.LBB357_6:                              ;   in Loop: Header=BB357_7 Depth=1
	s_wait_xcnt 0x0
	s_or_b32 exec_lo, exec_lo, s0
	v_add_nc_u64_e32 v[14:15], s[2:3], v[14:15]
	s_delay_alu instid0(VALU_DEP_1) | instskip(SKIP_1) | instid1(SALU_CYCLE_1)
	v_cmp_le_i64_e64 s0, s[12:13], v[14:15]
	s_or_b32 s20, s0, s20
	s_and_not1_b32 exec_lo, exec_lo, s20
	s_cbranch_execz .LBB357_14
.LBB357_7:                              ; =>This Loop Header: Depth=1
                                        ;     Child Loop BB357_9 Depth 2
	v_lshlrev_b64_e32 v[10:11], 3, v[14:15]
	s_mov_b32 s21, exec_lo
	s_delay_alu instid0(VALU_DEP_1)
	v_add_nc_u64_e32 v[12:13], s[6:7], v[10:11]
	v_add_nc_u64_e32 v[10:11], s[4:5], v[10:11]
	s_wait_dscnt 0x0
	global_load_b64 v[20:21], v[12:13], off
	global_load_b64 v[22:23], v[10:11], off
	s_wait_xcnt 0x0
	v_mov_b64_e32 v[10:11], 0
	v_mov_b64_e32 v[12:13], 0
	s_wait_loadcnt 0x1
	v_sub_nc_u64_e64 v[20:21], v[20:21], s[16:17]
	s_wait_loadcnt 0x0
	v_add_nc_u64_e32 v[22:23], v[22:23], v[18:19]
	s_delay_alu instid0(VALU_DEP_1)
	v_cmpx_lt_i64_e64 v[22:23], v[20:21]
	s_cbranch_execz .LBB357_11
; %bb.8:                                ;   in Loop: Header=BB357_7 Depth=1
	v_lshlrev_b64_e32 v[12:13], 3, v[22:23]
	v_mov_b64_e32 v[10:11], 0
	s_mov_b32 s22, 0
	s_delay_alu instid0(VALU_DEP_2)
	v_add_nc_u64_e32 v[24:25], s[10:11], v[12:13]
	v_add_nc_u64_e32 v[26:27], s[8:9], v[12:13]
	v_mov_b64_e32 v[12:13], 0
.LBB357_9:                              ;   Parent Loop BB357_7 Depth=1
                                        ; =>  This Inner Loop Header: Depth=2
	global_load_b64 v[34:35], v[26:27], off
	global_load_b64 v[38:39], v[24:25], off
	v_add_nc_u64_e32 v[22:23], 64, v[22:23]
	s_wait_xcnt 0x0
	v_add_nc_u64_e32 v[24:25], 0x200, v[24:25]
	v_add_nc_u64_e32 v[26:27], 0x200, v[26:27]
	s_delay_alu instid0(VALU_DEP_3)
	v_cmp_ge_i64_e64 s0, v[22:23], v[20:21]
	s_or_b32 s22, s0, s22
	s_wait_loadcnt 0x1
	v_lshl_add_u64 v[34:35], v[34:35], 4, s[18:19]
	s_wait_loadcnt 0x0
	v_fma_f64 v[40:41], v[2:3], v[38:39], v[0:1]
	v_fma_f64 v[38:39], v[4:5], v[38:39], v[16:17]
	global_load_b128 v[34:37], v[34:35], off
	s_wait_loadcnt 0x0
	v_fmac_f64_e32 v[12:13], v[40:41], v[34:35]
	v_fmac_f64_e32 v[10:11], v[38:39], v[34:35]
	s_delay_alu instid0(VALU_DEP_2) | instskip(NEXT) | instid1(VALU_DEP_2)
	v_fma_f64 v[12:13], -v[38:39], v[36:37], v[12:13]
	v_fmac_f64_e32 v[10:11], v[40:41], v[36:37]
	s_wait_xcnt 0x0
	s_and_not1_b32 exec_lo, exec_lo, s22
	s_cbranch_execnz .LBB357_9
; %bb.10:                               ;   in Loop: Header=BB357_7 Depth=1
	s_or_b32 exec_lo, exec_lo, s22
.LBB357_11:                             ;   in Loop: Header=BB357_7 Depth=1
	s_delay_alu instid0(SALU_CYCLE_1)
	s_or_b32 exec_lo, exec_lo, s21
	ds_bpermute_b32 v20, v28, v12
	ds_bpermute_b32 v21, v28, v13
	ds_bpermute_b32 v22, v28, v10
	ds_bpermute_b32 v23, v28, v11
	s_wait_dscnt 0x2
	v_add_f64_e32 v[12:13], v[12:13], v[20:21]
	s_wait_dscnt 0x0
	v_add_f64_e32 v[10:11], v[10:11], v[22:23]
	ds_bpermute_b32 v20, v29, v12
	ds_bpermute_b32 v21, v29, v13
	ds_bpermute_b32 v22, v29, v10
	ds_bpermute_b32 v23, v29, v11
	s_wait_dscnt 0x2
	v_add_f64_e32 v[12:13], v[12:13], v[20:21]
	s_wait_dscnt 0x0
	v_add_f64_e32 v[10:11], v[10:11], v[22:23]
	;; [unrolled: 8-line block ×5, first 2 shown]
	ds_bpermute_b32 v22, v33, v10
	ds_bpermute_b32 v23, v33, v11
	;; [unrolled: 1-line block ×4, first 2 shown]
	s_and_saveexec_b32 s0, vcc_lo
	s_cbranch_execz .LBB357_6
; %bb.12:                               ;   in Loop: Header=BB357_7 Depth=1
	s_wait_dscnt 0x2
	v_add_f64_e32 v[10:11], v[10:11], v[22:23]
	s_wait_dscnt 0x0
	v_add_f64_e32 v[12:13], v[12:13], v[20:21]
	v_lshl_add_u64 v[20:21], v[14:15], 4, s[14:15]
	s_and_saveexec_b32 s21, s1
	s_cbranch_execz .LBB357_5
; %bb.13:                               ;   in Loop: Header=BB357_7 Depth=1
	global_load_b128 v[22:25], v[20:21], off
	s_wait_loadcnt 0x0
	v_fmac_f64_e32 v[10:11], v[6:7], v[22:23]
	v_fmac_f64_e32 v[12:13], v[8:9], v[22:23]
	s_delay_alu instid0(VALU_DEP_2) | instskip(NEXT) | instid1(VALU_DEP_2)
	v_fma_f64 v[10:11], -v[8:9], v[24:25], v[10:11]
	v_fmac_f64_e32 v[12:13], v[6:7], v[24:25]
	s_branch .LBB357_5
.LBB357_14:
	s_endpgm
	.section	.rodata,"a",@progbits
	.p2align	6, 0x0
	.amdhsa_kernel _ZN9rocsparseL21csrmvn_general_kernelILj256ELj64Elld21rocsparse_complex_numIdES2_S2_EEvbT2_NS_24const_host_device_scalarIT6_EEPKT1_S9_PKS3_PKT3_PKT4_S6_PT5_21rocsparse_index_base_b
		.amdhsa_group_segment_fixed_size 0
		.amdhsa_private_segment_fixed_size 0
		.amdhsa_kernarg_size 360
		.amdhsa_user_sgpr_count 2
		.amdhsa_user_sgpr_dispatch_ptr 0
		.amdhsa_user_sgpr_queue_ptr 0
		.amdhsa_user_sgpr_kernarg_segment_ptr 1
		.amdhsa_user_sgpr_dispatch_id 0
		.amdhsa_user_sgpr_kernarg_preload_length 0
		.amdhsa_user_sgpr_kernarg_preload_offset 0
		.amdhsa_user_sgpr_private_segment_size 0
		.amdhsa_wavefront_size32 1
		.amdhsa_uses_dynamic_stack 0
		.amdhsa_enable_private_segment 0
		.amdhsa_system_sgpr_workgroup_id_x 1
		.amdhsa_system_sgpr_workgroup_id_y 0
		.amdhsa_system_sgpr_workgroup_id_z 0
		.amdhsa_system_sgpr_workgroup_info 0
		.amdhsa_system_vgpr_workitem_id 0
		.amdhsa_next_free_vgpr 42
		.amdhsa_next_free_sgpr 23
		.amdhsa_named_barrier_count 0
		.amdhsa_reserve_vcc 1
		.amdhsa_float_round_mode_32 0
		.amdhsa_float_round_mode_16_64 0
		.amdhsa_float_denorm_mode_32 3
		.amdhsa_float_denorm_mode_16_64 3
		.amdhsa_fp16_overflow 0
		.amdhsa_memory_ordered 1
		.amdhsa_forward_progress 1
		.amdhsa_inst_pref_size 10
		.amdhsa_round_robin_scheduling 0
		.amdhsa_exception_fp_ieee_invalid_op 0
		.amdhsa_exception_fp_denorm_src 0
		.amdhsa_exception_fp_ieee_div_zero 0
		.amdhsa_exception_fp_ieee_overflow 0
		.amdhsa_exception_fp_ieee_underflow 0
		.amdhsa_exception_fp_ieee_inexact 0
		.amdhsa_exception_int_div_zero 0
	.end_amdhsa_kernel
	.section	.text._ZN9rocsparseL21csrmvn_general_kernelILj256ELj64Elld21rocsparse_complex_numIdES2_S2_EEvbT2_NS_24const_host_device_scalarIT6_EEPKT1_S9_PKS3_PKT3_PKT4_S6_PT5_21rocsparse_index_base_b,"axG",@progbits,_ZN9rocsparseL21csrmvn_general_kernelILj256ELj64Elld21rocsparse_complex_numIdES2_S2_EEvbT2_NS_24const_host_device_scalarIT6_EEPKT1_S9_PKS3_PKT3_PKT4_S6_PT5_21rocsparse_index_base_b,comdat
.Lfunc_end357:
	.size	_ZN9rocsparseL21csrmvn_general_kernelILj256ELj64Elld21rocsparse_complex_numIdES2_S2_EEvbT2_NS_24const_host_device_scalarIT6_EEPKT1_S9_PKS3_PKT3_PKT4_S6_PT5_21rocsparse_index_base_b, .Lfunc_end357-_ZN9rocsparseL21csrmvn_general_kernelILj256ELj64Elld21rocsparse_complex_numIdES2_S2_EEvbT2_NS_24const_host_device_scalarIT6_EEPKT1_S9_PKS3_PKT3_PKT4_S6_PT5_21rocsparse_index_base_b
                                        ; -- End function
	.set _ZN9rocsparseL21csrmvn_general_kernelILj256ELj64Elld21rocsparse_complex_numIdES2_S2_EEvbT2_NS_24const_host_device_scalarIT6_EEPKT1_S9_PKS3_PKT3_PKT4_S6_PT5_21rocsparse_index_base_b.num_vgpr, 42
	.set _ZN9rocsparseL21csrmvn_general_kernelILj256ELj64Elld21rocsparse_complex_numIdES2_S2_EEvbT2_NS_24const_host_device_scalarIT6_EEPKT1_S9_PKS3_PKT3_PKT4_S6_PT5_21rocsparse_index_base_b.num_agpr, 0
	.set _ZN9rocsparseL21csrmvn_general_kernelILj256ELj64Elld21rocsparse_complex_numIdES2_S2_EEvbT2_NS_24const_host_device_scalarIT6_EEPKT1_S9_PKS3_PKT3_PKT4_S6_PT5_21rocsparse_index_base_b.numbered_sgpr, 23
	.set _ZN9rocsparseL21csrmvn_general_kernelILj256ELj64Elld21rocsparse_complex_numIdES2_S2_EEvbT2_NS_24const_host_device_scalarIT6_EEPKT1_S9_PKS3_PKT3_PKT4_S6_PT5_21rocsparse_index_base_b.num_named_barrier, 0
	.set _ZN9rocsparseL21csrmvn_general_kernelILj256ELj64Elld21rocsparse_complex_numIdES2_S2_EEvbT2_NS_24const_host_device_scalarIT6_EEPKT1_S9_PKS3_PKT3_PKT4_S6_PT5_21rocsparse_index_base_b.private_seg_size, 0
	.set _ZN9rocsparseL21csrmvn_general_kernelILj256ELj64Elld21rocsparse_complex_numIdES2_S2_EEvbT2_NS_24const_host_device_scalarIT6_EEPKT1_S9_PKS3_PKT3_PKT4_S6_PT5_21rocsparse_index_base_b.uses_vcc, 1
	.set _ZN9rocsparseL21csrmvn_general_kernelILj256ELj64Elld21rocsparse_complex_numIdES2_S2_EEvbT2_NS_24const_host_device_scalarIT6_EEPKT1_S9_PKS3_PKT3_PKT4_S6_PT5_21rocsparse_index_base_b.uses_flat_scratch, 0
	.set _ZN9rocsparseL21csrmvn_general_kernelILj256ELj64Elld21rocsparse_complex_numIdES2_S2_EEvbT2_NS_24const_host_device_scalarIT6_EEPKT1_S9_PKS3_PKT3_PKT4_S6_PT5_21rocsparse_index_base_b.has_dyn_sized_stack, 0
	.set _ZN9rocsparseL21csrmvn_general_kernelILj256ELj64Elld21rocsparse_complex_numIdES2_S2_EEvbT2_NS_24const_host_device_scalarIT6_EEPKT1_S9_PKS3_PKT3_PKT4_S6_PT5_21rocsparse_index_base_b.has_recursion, 0
	.set _ZN9rocsparseL21csrmvn_general_kernelILj256ELj64Elld21rocsparse_complex_numIdES2_S2_EEvbT2_NS_24const_host_device_scalarIT6_EEPKT1_S9_PKS3_PKT3_PKT4_S6_PT5_21rocsparse_index_base_b.has_indirect_call, 0
	.section	.AMDGPU.csdata,"",@progbits
; Kernel info:
; codeLenInByte = 1224
; TotalNumSgprs: 25
; NumVgprs: 42
; ScratchSize: 0
; MemoryBound: 0
; FloatMode: 240
; IeeeMode: 1
; LDSByteSize: 0 bytes/workgroup (compile time only)
; SGPRBlocks: 0
; VGPRBlocks: 2
; NumSGPRsForWavesPerEU: 25
; NumVGPRsForWavesPerEU: 42
; NamedBarCnt: 0
; Occupancy: 16
; WaveLimiterHint : 1
; COMPUTE_PGM_RSRC2:SCRATCH_EN: 0
; COMPUTE_PGM_RSRC2:USER_SGPR: 2
; COMPUTE_PGM_RSRC2:TRAP_HANDLER: 0
; COMPUTE_PGM_RSRC2:TGID_X_EN: 1
; COMPUTE_PGM_RSRC2:TGID_Y_EN: 0
; COMPUTE_PGM_RSRC2:TGID_Z_EN: 0
; COMPUTE_PGM_RSRC2:TIDIG_COMP_CNT: 0
	.section	.text._ZN9rocsparseL21csrmvt_general_kernelILj256ELj4Elld21rocsparse_complex_numIdES2_S2_EEvbbT2_NS_24const_host_device_scalarIT6_EEPKT1_S9_PKS3_PKT3_PKT4_PT5_21rocsparse_index_base_b,"axG",@progbits,_ZN9rocsparseL21csrmvt_general_kernelILj256ELj4Elld21rocsparse_complex_numIdES2_S2_EEvbbT2_NS_24const_host_device_scalarIT6_EEPKT1_S9_PKS3_PKT3_PKT4_PT5_21rocsparse_index_base_b,comdat
	.globl	_ZN9rocsparseL21csrmvt_general_kernelILj256ELj4Elld21rocsparse_complex_numIdES2_S2_EEvbbT2_NS_24const_host_device_scalarIT6_EEPKT1_S9_PKS3_PKT3_PKT4_PT5_21rocsparse_index_base_b ; -- Begin function _ZN9rocsparseL21csrmvt_general_kernelILj256ELj4Elld21rocsparse_complex_numIdES2_S2_EEvbbT2_NS_24const_host_device_scalarIT6_EEPKT1_S9_PKS3_PKT3_PKT4_PT5_21rocsparse_index_base_b
	.p2align	8
	.type	_ZN9rocsparseL21csrmvt_general_kernelILj256ELj4Elld21rocsparse_complex_numIdES2_S2_EEvbbT2_NS_24const_host_device_scalarIT6_EEPKT1_S9_PKS3_PKT3_PKT4_PT5_21rocsparse_index_base_b,@function
_ZN9rocsparseL21csrmvt_general_kernelILj256ELj4Elld21rocsparse_complex_numIdES2_S2_EEvbbT2_NS_24const_host_device_scalarIT6_EEPKT1_S9_PKS3_PKT3_PKT4_PT5_21rocsparse_index_base_b: ; @_ZN9rocsparseL21csrmvt_general_kernelILj256ELj4Elld21rocsparse_complex_numIdES2_S2_EEvbbT2_NS_24const_host_device_scalarIT6_EEPKT1_S9_PKS3_PKT3_PKT4_PT5_21rocsparse_index_base_b
; %bb.0:
	s_clause 0x1
	s_load_b64 s[20:21], s[0:1], 0x50
	s_load_b128 s[12:15], s[0:1], 0x8
	v_mov_b32_e32 v7, 0
	s_add_nc_u64 s[2:3], s[0:1], 16
	s_wait_kmcnt 0x0
	s_bitcmp1_b32 s21, 0
	s_cselect_b32 s3, s3, s15
	s_cselect_b32 s2, s2, s14
	flat_load_b128 v[2:5], v7, s[2:3]
	s_wait_loadcnt_dscnt 0x0
	v_cmp_neq_f64_e32 vcc_lo, 0, v[2:3]
	v_cmp_neq_f64_e64 s2, 0, v[4:5]
	s_or_b32 s2, vcc_lo, s2
	s_delay_alu instid0(SALU_CYCLE_1)
	s_and_saveexec_b32 s3, s2
	s_cbranch_execz .LBB358_18
; %bb.1:
	s_clause 0x2
	s_load_b32 s2, s[0:1], 0x0
	s_load_b32 s3, s[0:1], 0x58
	s_load_b128 s[16:19], s[0:1], 0x40
	s_bfe_u32 s4, ttmp6, 0x4000c
	s_and_b32 s5, ttmp6, 15
	s_add_co_i32 s4, s4, 1
	s_getreg_b32 s6, hwreg(HW_REG_IB_STS2, 6, 4)
	s_mul_i32 s4, ttmp9, s4
	s_wait_kmcnt 0x0
	s_and_b32 s14, s2, 1
	s_lshl_b32 s2, s3, 6
	s_add_co_i32 s3, s5, s4
	s_cmp_eq_u32 s6, 0
	s_load_b256 s[4:11], s[0:1], 0x20
	s_wait_xcnt 0x0
	s_cselect_b32 s0, ttmp9, s3
	s_mov_b32 s3, 0
	v_lshl_or_b32 v1, s0, 8, v0
	s_cmp_eq_u32 s14, 0
	s_mov_b32 s1, -1
	s_delay_alu instid0(VALU_DEP_1) | instskip(NEXT) | instid1(VALU_DEP_1)
	v_dual_lshrrev_b32 v6, 2, v1 :: v_dual_bitop2_b32 v0, 3, v0 bitop3:0x40
	v_cmp_gt_i64_e64 s0, s[12:13], v[6:7]
	s_cbranch_scc0 .LBB358_9
; %bb.2:
	s_and_saveexec_b32 s1, s0
	s_cbranch_execz .LBB358_8
; %bb.3:
	v_mov_b32_e32 v1, 0
	s_mov_b32 s21, 0
	v_mov_b64_e32 v[10:11], v[6:7]
	s_mov_b32 s14, s21
	s_delay_alu instid0(VALU_DEP_2)
	v_sub_nc_u64_e64 v[8:9], v[0:1], s[20:21]
	s_branch .LBB358_5
.LBB358_4:                              ;   in Loop: Header=BB358_5 Depth=1
	s_or_b32 exec_lo, exec_lo, s15
	v_add_nc_u64_e32 v[10:11], s[2:3], v[10:11]
	s_delay_alu instid0(VALU_DEP_1) | instskip(SKIP_1) | instid1(SALU_CYCLE_1)
	v_cmp_le_i64_e32 vcc_lo, s[12:13], v[10:11]
	s_or_b32 s14, vcc_lo, s14
	s_and_not1_b32 exec_lo, exec_lo, s14
	s_cbranch_execz .LBB358_8
.LBB358_5:                              ; =>This Loop Header: Depth=1
                                        ;     Child Loop BB358_7 Depth 2
	s_delay_alu instid0(VALU_DEP_2) | instskip(SKIP_2) | instid1(VALU_DEP_1)
	v_lshlrev_b64_e32 v[12:13], 3, v[10:11]
	s_mov_b32 s15, exec_lo
	s_wait_kmcnt 0x0
	v_add_nc_u64_e32 v[14:15], s[6:7], v[12:13]
	v_add_nc_u64_e32 v[12:13], s[4:5], v[12:13]
	global_load_b64 v[16:17], v[14:15], off
	global_load_b64 v[18:19], v[12:13], off
	s_wait_loadcnt 0x1
	s_wait_xcnt 0x0
	v_sub_nc_u64_e64 v[12:13], v[16:17], s[20:21]
	s_wait_loadcnt 0x0
	v_add_nc_u64_e32 v[14:15], v[18:19], v[8:9]
	s_delay_alu instid0(VALU_DEP_1)
	v_cmpx_lt_i64_e64 v[14:15], v[12:13]
	s_cbranch_execz .LBB358_4
; %bb.6:                                ;   in Loop: Header=BB358_5 Depth=1
	v_lshl_add_u64 v[16:17], v[10:11], 4, s[16:17]
	v_lshlrev_b64_e32 v[26:27], 3, v[14:15]
	s_mov_b32 s22, 0
	global_load_b128 v[20:23], v[16:17], off
	v_add_nc_u64_e32 v[24:25], s[8:9], v[26:27]
	v_add_nc_u64_e32 v[26:27], s[10:11], v[26:27]
	s_wait_loadcnt 0x0
	s_wait_xcnt 0x0
	v_mul_f64_e32 v[16:17], v[2:3], v[22:23]
	v_mul_f64_e64 v[18:19], v[22:23], -v[4:5]
	s_delay_alu instid0(VALU_DEP_2) | instskip(NEXT) | instid1(VALU_DEP_2)
	v_fmac_f64_e32 v[16:17], v[4:5], v[20:21]
	v_fmac_f64_e32 v[18:19], v[2:3], v[20:21]
	s_delay_alu instid0(VALU_DEP_2) | instskip(NEXT) | instid1(VALU_DEP_2)
	v_mul_f64_e32 v[20:21], 0x80000000, v[16:17]
	v_mul_f64_e32 v[22:23], 0, v[18:19]
.LBB358_7:                              ;   Parent Loop BB358_5 Depth=1
                                        ; =>  This Inner Loop Header: Depth=2
	global_load_b64 v[28:29], v[26:27], off
	global_load_b64 v[30:31], v[24:25], off
	v_add_nc_u64_e32 v[14:15], 4, v[14:15]
	s_wait_xcnt 0x0
	v_add_nc_u64_e32 v[24:25], 32, v[24:25]
	v_add_nc_u64_e32 v[26:27], 32, v[26:27]
	s_delay_alu instid0(VALU_DEP_3)
	v_cmp_ge_i64_e32 vcc_lo, v[14:15], v[12:13]
	s_or_b32 s22, vcc_lo, s22
	s_wait_loadcnt 0x1
	v_fma_f64 v[32:33], v[18:19], v[28:29], v[20:21]
	v_fma_f64 v[28:29], v[16:17], v[28:29], v[22:23]
	s_wait_loadcnt 0x0
	v_sub_nc_u64_e64 v[30:31], v[30:31], s[20:21]
	s_delay_alu instid0(VALU_DEP_1)
	v_lshl_add_u64 v[30:31], v[30:31], 4, s[18:19]
	global_atomic_add_f64 v[30:31], v[32:33], off scope:SCOPE_DEV
	s_wait_xcnt 0x0
	global_atomic_add_f64 v[30:31], v[28:29], off offset:8 scope:SCOPE_DEV
	s_wait_xcnt 0x0
	s_and_not1_b32 exec_lo, exec_lo, s22
	s_cbranch_execnz .LBB358_7
	s_branch .LBB358_4
.LBB358_8:
	s_or_b32 exec_lo, exec_lo, s1
	s_mov_b32 s1, 0
.LBB358_9:
	s_delay_alu instid0(SALU_CYCLE_1)
	s_and_not1_b32 vcc_lo, exec_lo, s1
	s_cbranch_vccnz .LBB358_18
; %bb.10:
	s_and_b32 exec_lo, exec_lo, s0
	s_cbranch_execz .LBB358_18
; %bb.11:
	v_mov_b32_e32 v1, 0
	s_mov_b32 s21, 0
	s_delay_alu instid0(SALU_CYCLE_1) | instskip(NEXT) | instid1(VALU_DEP_1)
	s_mov_b32 s0, s21
	v_sub_nc_u64_e64 v[0:1], v[0:1], s[20:21]
	s_branch .LBB358_13
.LBB358_12:                             ;   in Loop: Header=BB358_13 Depth=1
	s_or_b32 exec_lo, exec_lo, s1
	v_add_nc_u64_e32 v[6:7], s[2:3], v[6:7]
	s_delay_alu instid0(VALU_DEP_1) | instskip(SKIP_1) | instid1(SALU_CYCLE_1)
	v_cmp_le_i64_e32 vcc_lo, s[12:13], v[6:7]
	s_or_b32 s0, vcc_lo, s0
	s_and_not1_b32 exec_lo, exec_lo, s0
	s_cbranch_execz .LBB358_18
.LBB358_13:                             ; =>This Loop Header: Depth=1
                                        ;     Child Loop BB358_16 Depth 2
	v_lshlrev_b64_e32 v[8:9], 3, v[6:7]
	s_mov_b32 s1, exec_lo
	s_wait_kmcnt 0x0
	s_delay_alu instid0(VALU_DEP_1)
	v_add_nc_u64_e32 v[10:11], s[6:7], v[8:9]
	v_add_nc_u64_e32 v[8:9], s[4:5], v[8:9]
	global_load_b64 v[12:13], v[10:11], off
	global_load_b64 v[14:15], v[8:9], off
	s_wait_loadcnt 0x1
	s_wait_xcnt 0x0
	v_sub_nc_u64_e64 v[8:9], v[12:13], s[20:21]
	s_wait_loadcnt 0x0
	v_add_nc_u64_e32 v[10:11], v[14:15], v[0:1]
	s_delay_alu instid0(VALU_DEP_1)
	v_cmpx_lt_i64_e64 v[10:11], v[8:9]
	s_cbranch_execz .LBB358_12
; %bb.14:                               ;   in Loop: Header=BB358_13 Depth=1
	v_lshl_add_u64 v[12:13], v[6:7], 4, s[16:17]
	v_lshlrev_b64_e32 v[22:23], 3, v[10:11]
	s_mov_b32 s14, 0
	global_load_b128 v[16:19], v[12:13], off
	v_add_nc_u64_e32 v[20:21], s[8:9], v[22:23]
	v_add_nc_u64_e32 v[22:23], s[10:11], v[22:23]
	s_wait_loadcnt 0x0
	v_mul_f64_e32 v[12:13], v[2:3], v[18:19]
	v_mul_f64_e64 v[14:15], v[18:19], -v[4:5]
	s_delay_alu instid0(VALU_DEP_2) | instskip(NEXT) | instid1(VALU_DEP_2)
	v_fmac_f64_e32 v[12:13], v[4:5], v[16:17]
	v_fmac_f64_e32 v[14:15], v[2:3], v[16:17]
	s_delay_alu instid0(VALU_DEP_2) | instskip(NEXT) | instid1(VALU_DEP_2)
	v_mul_f64_e32 v[16:17], 0x80000000, v[12:13]
	v_mul_f64_e32 v[18:19], 0, v[14:15]
	s_branch .LBB358_16
.LBB358_15:                             ;   in Loop: Header=BB358_16 Depth=2
	s_wait_xcnt 0x0
	s_or_b32 exec_lo, exec_lo, s15
	v_add_nc_u64_e32 v[10:11], 4, v[10:11]
	v_add_nc_u64_e32 v[20:21], 32, v[20:21]
	;; [unrolled: 1-line block ×3, first 2 shown]
	s_delay_alu instid0(VALU_DEP_3) | instskip(SKIP_1) | instid1(SALU_CYCLE_1)
	v_cmp_ge_i64_e32 vcc_lo, v[10:11], v[8:9]
	s_or_b32 s14, vcc_lo, s14
	s_and_not1_b32 exec_lo, exec_lo, s14
	s_cbranch_execz .LBB358_12
.LBB358_16:                             ;   Parent Loop BB358_13 Depth=1
                                        ; =>  This Inner Loop Header: Depth=2
	global_load_b64 v[24:25], v[20:21], off
	s_mov_b32 s15, exec_lo
	s_wait_loadcnt 0x0
	v_sub_nc_u64_e64 v[24:25], v[24:25], s[20:21]
	s_wait_xcnt 0x0
	s_delay_alu instid0(VALU_DEP_1)
	v_cmpx_ne_u64_e64 v[24:25], v[6:7]
	s_cbranch_execz .LBB358_15
; %bb.17:                               ;   in Loop: Header=BB358_16 Depth=2
	global_load_b64 v[26:27], v[22:23], off
	v_lshl_add_u64 v[24:25], v[24:25], 4, s[18:19]
	s_wait_loadcnt 0x0
	v_fma_f64 v[28:29], v[14:15], v[26:27], v[16:17]
	v_fma_f64 v[26:27], v[12:13], v[26:27], v[18:19]
	s_wait_xcnt 0x0
	global_atomic_add_f64 v[24:25], v[28:29], off scope:SCOPE_DEV
	s_wait_xcnt 0x0
	global_atomic_add_f64 v[24:25], v[26:27], off offset:8 scope:SCOPE_DEV
	s_branch .LBB358_15
.LBB358_18:
	s_endpgm
	.section	.rodata,"a",@progbits
	.p2align	6, 0x0
	.amdhsa_kernel _ZN9rocsparseL21csrmvt_general_kernelILj256ELj4Elld21rocsparse_complex_numIdES2_S2_EEvbbT2_NS_24const_host_device_scalarIT6_EEPKT1_S9_PKS3_PKT3_PKT4_PT5_21rocsparse_index_base_b
		.amdhsa_group_segment_fixed_size 0
		.amdhsa_private_segment_fixed_size 0
		.amdhsa_kernarg_size 344
		.amdhsa_user_sgpr_count 2
		.amdhsa_user_sgpr_dispatch_ptr 0
		.amdhsa_user_sgpr_queue_ptr 0
		.amdhsa_user_sgpr_kernarg_segment_ptr 1
		.amdhsa_user_sgpr_dispatch_id 0
		.amdhsa_user_sgpr_kernarg_preload_length 0
		.amdhsa_user_sgpr_kernarg_preload_offset 0
		.amdhsa_user_sgpr_private_segment_size 0
		.amdhsa_wavefront_size32 1
		.amdhsa_uses_dynamic_stack 0
		.amdhsa_enable_private_segment 0
		.amdhsa_system_sgpr_workgroup_id_x 1
		.amdhsa_system_sgpr_workgroup_id_y 0
		.amdhsa_system_sgpr_workgroup_id_z 0
		.amdhsa_system_sgpr_workgroup_info 0
		.amdhsa_system_vgpr_workitem_id 0
		.amdhsa_next_free_vgpr 34
		.amdhsa_next_free_sgpr 23
		.amdhsa_named_barrier_count 0
		.amdhsa_reserve_vcc 1
		.amdhsa_float_round_mode_32 0
		.amdhsa_float_round_mode_16_64 0
		.amdhsa_float_denorm_mode_32 3
		.amdhsa_float_denorm_mode_16_64 3
		.amdhsa_fp16_overflow 0
		.amdhsa_memory_ordered 1
		.amdhsa_forward_progress 1
		.amdhsa_inst_pref_size 9
		.amdhsa_round_robin_scheduling 0
		.amdhsa_exception_fp_ieee_invalid_op 0
		.amdhsa_exception_fp_denorm_src 0
		.amdhsa_exception_fp_ieee_div_zero 0
		.amdhsa_exception_fp_ieee_overflow 0
		.amdhsa_exception_fp_ieee_underflow 0
		.amdhsa_exception_fp_ieee_inexact 0
		.amdhsa_exception_int_div_zero 0
	.end_amdhsa_kernel
	.section	.text._ZN9rocsparseL21csrmvt_general_kernelILj256ELj4Elld21rocsparse_complex_numIdES2_S2_EEvbbT2_NS_24const_host_device_scalarIT6_EEPKT1_S9_PKS3_PKT3_PKT4_PT5_21rocsparse_index_base_b,"axG",@progbits,_ZN9rocsparseL21csrmvt_general_kernelILj256ELj4Elld21rocsparse_complex_numIdES2_S2_EEvbbT2_NS_24const_host_device_scalarIT6_EEPKT1_S9_PKS3_PKT3_PKT4_PT5_21rocsparse_index_base_b,comdat
.Lfunc_end358:
	.size	_ZN9rocsparseL21csrmvt_general_kernelILj256ELj4Elld21rocsparse_complex_numIdES2_S2_EEvbbT2_NS_24const_host_device_scalarIT6_EEPKT1_S9_PKS3_PKT3_PKT4_PT5_21rocsparse_index_base_b, .Lfunc_end358-_ZN9rocsparseL21csrmvt_general_kernelILj256ELj4Elld21rocsparse_complex_numIdES2_S2_EEvbbT2_NS_24const_host_device_scalarIT6_EEPKT1_S9_PKS3_PKT3_PKT4_PT5_21rocsparse_index_base_b
                                        ; -- End function
	.set _ZN9rocsparseL21csrmvt_general_kernelILj256ELj4Elld21rocsparse_complex_numIdES2_S2_EEvbbT2_NS_24const_host_device_scalarIT6_EEPKT1_S9_PKS3_PKT3_PKT4_PT5_21rocsparse_index_base_b.num_vgpr, 34
	.set _ZN9rocsparseL21csrmvt_general_kernelILj256ELj4Elld21rocsparse_complex_numIdES2_S2_EEvbbT2_NS_24const_host_device_scalarIT6_EEPKT1_S9_PKS3_PKT3_PKT4_PT5_21rocsparse_index_base_b.num_agpr, 0
	.set _ZN9rocsparseL21csrmvt_general_kernelILj256ELj4Elld21rocsparse_complex_numIdES2_S2_EEvbbT2_NS_24const_host_device_scalarIT6_EEPKT1_S9_PKS3_PKT3_PKT4_PT5_21rocsparse_index_base_b.numbered_sgpr, 23
	.set _ZN9rocsparseL21csrmvt_general_kernelILj256ELj4Elld21rocsparse_complex_numIdES2_S2_EEvbbT2_NS_24const_host_device_scalarIT6_EEPKT1_S9_PKS3_PKT3_PKT4_PT5_21rocsparse_index_base_b.num_named_barrier, 0
	.set _ZN9rocsparseL21csrmvt_general_kernelILj256ELj4Elld21rocsparse_complex_numIdES2_S2_EEvbbT2_NS_24const_host_device_scalarIT6_EEPKT1_S9_PKS3_PKT3_PKT4_PT5_21rocsparse_index_base_b.private_seg_size, 0
	.set _ZN9rocsparseL21csrmvt_general_kernelILj256ELj4Elld21rocsparse_complex_numIdES2_S2_EEvbbT2_NS_24const_host_device_scalarIT6_EEPKT1_S9_PKS3_PKT3_PKT4_PT5_21rocsparse_index_base_b.uses_vcc, 1
	.set _ZN9rocsparseL21csrmvt_general_kernelILj256ELj4Elld21rocsparse_complex_numIdES2_S2_EEvbbT2_NS_24const_host_device_scalarIT6_EEPKT1_S9_PKS3_PKT3_PKT4_PT5_21rocsparse_index_base_b.uses_flat_scratch, 0
	.set _ZN9rocsparseL21csrmvt_general_kernelILj256ELj4Elld21rocsparse_complex_numIdES2_S2_EEvbbT2_NS_24const_host_device_scalarIT6_EEPKT1_S9_PKS3_PKT3_PKT4_PT5_21rocsparse_index_base_b.has_dyn_sized_stack, 0
	.set _ZN9rocsparseL21csrmvt_general_kernelILj256ELj4Elld21rocsparse_complex_numIdES2_S2_EEvbbT2_NS_24const_host_device_scalarIT6_EEPKT1_S9_PKS3_PKT3_PKT4_PT5_21rocsparse_index_base_b.has_recursion, 0
	.set _ZN9rocsparseL21csrmvt_general_kernelILj256ELj4Elld21rocsparse_complex_numIdES2_S2_EEvbbT2_NS_24const_host_device_scalarIT6_EEPKT1_S9_PKS3_PKT3_PKT4_PT5_21rocsparse_index_base_b.has_indirect_call, 0
	.section	.AMDGPU.csdata,"",@progbits
; Kernel info:
; codeLenInByte = 1028
; TotalNumSgprs: 25
; NumVgprs: 34
; ScratchSize: 0
; MemoryBound: 0
; FloatMode: 240
; IeeeMode: 1
; LDSByteSize: 0 bytes/workgroup (compile time only)
; SGPRBlocks: 0
; VGPRBlocks: 2
; NumSGPRsForWavesPerEU: 25
; NumVGPRsForWavesPerEU: 34
; NamedBarCnt: 0
; Occupancy: 16
; WaveLimiterHint : 1
; COMPUTE_PGM_RSRC2:SCRATCH_EN: 0
; COMPUTE_PGM_RSRC2:USER_SGPR: 2
; COMPUTE_PGM_RSRC2:TRAP_HANDLER: 0
; COMPUTE_PGM_RSRC2:TGID_X_EN: 1
; COMPUTE_PGM_RSRC2:TGID_Y_EN: 0
; COMPUTE_PGM_RSRC2:TGID_Z_EN: 0
; COMPUTE_PGM_RSRC2:TIDIG_COMP_CNT: 0
	.section	.text._ZN9rocsparseL21csrmvt_general_kernelILj256ELj8Elld21rocsparse_complex_numIdES2_S2_EEvbbT2_NS_24const_host_device_scalarIT6_EEPKT1_S9_PKS3_PKT3_PKT4_PT5_21rocsparse_index_base_b,"axG",@progbits,_ZN9rocsparseL21csrmvt_general_kernelILj256ELj8Elld21rocsparse_complex_numIdES2_S2_EEvbbT2_NS_24const_host_device_scalarIT6_EEPKT1_S9_PKS3_PKT3_PKT4_PT5_21rocsparse_index_base_b,comdat
	.globl	_ZN9rocsparseL21csrmvt_general_kernelILj256ELj8Elld21rocsparse_complex_numIdES2_S2_EEvbbT2_NS_24const_host_device_scalarIT6_EEPKT1_S9_PKS3_PKT3_PKT4_PT5_21rocsparse_index_base_b ; -- Begin function _ZN9rocsparseL21csrmvt_general_kernelILj256ELj8Elld21rocsparse_complex_numIdES2_S2_EEvbbT2_NS_24const_host_device_scalarIT6_EEPKT1_S9_PKS3_PKT3_PKT4_PT5_21rocsparse_index_base_b
	.p2align	8
	.type	_ZN9rocsparseL21csrmvt_general_kernelILj256ELj8Elld21rocsparse_complex_numIdES2_S2_EEvbbT2_NS_24const_host_device_scalarIT6_EEPKT1_S9_PKS3_PKT3_PKT4_PT5_21rocsparse_index_base_b,@function
_ZN9rocsparseL21csrmvt_general_kernelILj256ELj8Elld21rocsparse_complex_numIdES2_S2_EEvbbT2_NS_24const_host_device_scalarIT6_EEPKT1_S9_PKS3_PKT3_PKT4_PT5_21rocsparse_index_base_b: ; @_ZN9rocsparseL21csrmvt_general_kernelILj256ELj8Elld21rocsparse_complex_numIdES2_S2_EEvbbT2_NS_24const_host_device_scalarIT6_EEPKT1_S9_PKS3_PKT3_PKT4_PT5_21rocsparse_index_base_b
; %bb.0:
	s_clause 0x1
	s_load_b64 s[20:21], s[0:1], 0x50
	s_load_b128 s[12:15], s[0:1], 0x8
	v_mov_b32_e32 v7, 0
	s_add_nc_u64 s[2:3], s[0:1], 16
	s_wait_kmcnt 0x0
	s_bitcmp1_b32 s21, 0
	s_cselect_b32 s3, s3, s15
	s_cselect_b32 s2, s2, s14
	flat_load_b128 v[2:5], v7, s[2:3]
	s_wait_loadcnt_dscnt 0x0
	v_cmp_neq_f64_e32 vcc_lo, 0, v[2:3]
	v_cmp_neq_f64_e64 s2, 0, v[4:5]
	s_or_b32 s2, vcc_lo, s2
	s_delay_alu instid0(SALU_CYCLE_1)
	s_and_saveexec_b32 s3, s2
	s_cbranch_execz .LBB359_18
; %bb.1:
	s_clause 0x2
	s_load_b32 s2, s[0:1], 0x0
	s_load_b32 s3, s[0:1], 0x58
	s_load_b128 s[16:19], s[0:1], 0x40
	s_bfe_u32 s4, ttmp6, 0x4000c
	s_and_b32 s5, ttmp6, 15
	s_add_co_i32 s4, s4, 1
	s_getreg_b32 s6, hwreg(HW_REG_IB_STS2, 6, 4)
	s_mul_i32 s4, ttmp9, s4
	s_wait_kmcnt 0x0
	s_and_b32 s14, s2, 1
	s_lshl_b32 s2, s3, 5
	s_add_co_i32 s3, s5, s4
	s_cmp_eq_u32 s6, 0
	s_load_b256 s[4:11], s[0:1], 0x20
	s_wait_xcnt 0x0
	s_cselect_b32 s0, ttmp9, s3
	s_mov_b32 s3, 0
	v_lshl_or_b32 v1, s0, 8, v0
	s_cmp_eq_u32 s14, 0
	s_mov_b32 s1, -1
	s_delay_alu instid0(VALU_DEP_1) | instskip(NEXT) | instid1(VALU_DEP_1)
	v_dual_lshrrev_b32 v6, 3, v1 :: v_dual_bitop2_b32 v0, 7, v0 bitop3:0x40
	v_cmp_gt_i64_e64 s0, s[12:13], v[6:7]
	s_cbranch_scc0 .LBB359_9
; %bb.2:
	s_and_saveexec_b32 s1, s0
	s_cbranch_execz .LBB359_8
; %bb.3:
	v_mov_b32_e32 v1, 0
	s_mov_b32 s21, 0
	v_mov_b64_e32 v[10:11], v[6:7]
	s_mov_b32 s14, s21
	s_delay_alu instid0(VALU_DEP_2)
	v_sub_nc_u64_e64 v[8:9], v[0:1], s[20:21]
	s_branch .LBB359_5
.LBB359_4:                              ;   in Loop: Header=BB359_5 Depth=1
	s_or_b32 exec_lo, exec_lo, s15
	v_add_nc_u64_e32 v[10:11], s[2:3], v[10:11]
	s_delay_alu instid0(VALU_DEP_1) | instskip(SKIP_1) | instid1(SALU_CYCLE_1)
	v_cmp_le_i64_e32 vcc_lo, s[12:13], v[10:11]
	s_or_b32 s14, vcc_lo, s14
	s_and_not1_b32 exec_lo, exec_lo, s14
	s_cbranch_execz .LBB359_8
.LBB359_5:                              ; =>This Loop Header: Depth=1
                                        ;     Child Loop BB359_7 Depth 2
	s_delay_alu instid0(VALU_DEP_2) | instskip(SKIP_2) | instid1(VALU_DEP_1)
	v_lshlrev_b64_e32 v[12:13], 3, v[10:11]
	s_mov_b32 s15, exec_lo
	s_wait_kmcnt 0x0
	v_add_nc_u64_e32 v[14:15], s[6:7], v[12:13]
	v_add_nc_u64_e32 v[12:13], s[4:5], v[12:13]
	global_load_b64 v[16:17], v[14:15], off
	global_load_b64 v[18:19], v[12:13], off
	s_wait_loadcnt 0x1
	s_wait_xcnt 0x0
	v_sub_nc_u64_e64 v[12:13], v[16:17], s[20:21]
	s_wait_loadcnt 0x0
	v_add_nc_u64_e32 v[14:15], v[18:19], v[8:9]
	s_delay_alu instid0(VALU_DEP_1)
	v_cmpx_lt_i64_e64 v[14:15], v[12:13]
	s_cbranch_execz .LBB359_4
; %bb.6:                                ;   in Loop: Header=BB359_5 Depth=1
	v_lshl_add_u64 v[16:17], v[10:11], 4, s[16:17]
	v_lshlrev_b64_e32 v[26:27], 3, v[14:15]
	s_mov_b32 s22, 0
	global_load_b128 v[20:23], v[16:17], off
	v_add_nc_u64_e32 v[24:25], s[8:9], v[26:27]
	v_add_nc_u64_e32 v[26:27], s[10:11], v[26:27]
	s_wait_loadcnt 0x0
	s_wait_xcnt 0x0
	v_mul_f64_e32 v[16:17], v[2:3], v[22:23]
	v_mul_f64_e64 v[18:19], v[22:23], -v[4:5]
	s_delay_alu instid0(VALU_DEP_2) | instskip(NEXT) | instid1(VALU_DEP_2)
	v_fmac_f64_e32 v[16:17], v[4:5], v[20:21]
	v_fmac_f64_e32 v[18:19], v[2:3], v[20:21]
	s_delay_alu instid0(VALU_DEP_2) | instskip(NEXT) | instid1(VALU_DEP_2)
	v_mul_f64_e32 v[20:21], 0x80000000, v[16:17]
	v_mul_f64_e32 v[22:23], 0, v[18:19]
.LBB359_7:                              ;   Parent Loop BB359_5 Depth=1
                                        ; =>  This Inner Loop Header: Depth=2
	global_load_b64 v[28:29], v[26:27], off
	global_load_b64 v[30:31], v[24:25], off
	v_add_nc_u64_e32 v[14:15], 8, v[14:15]
	s_wait_xcnt 0x0
	v_add_nc_u64_e32 v[24:25], 64, v[24:25]
	v_add_nc_u64_e32 v[26:27], 64, v[26:27]
	s_delay_alu instid0(VALU_DEP_3)
	v_cmp_ge_i64_e32 vcc_lo, v[14:15], v[12:13]
	s_or_b32 s22, vcc_lo, s22
	s_wait_loadcnt 0x1
	v_fma_f64 v[32:33], v[18:19], v[28:29], v[20:21]
	v_fma_f64 v[28:29], v[16:17], v[28:29], v[22:23]
	s_wait_loadcnt 0x0
	v_sub_nc_u64_e64 v[30:31], v[30:31], s[20:21]
	s_delay_alu instid0(VALU_DEP_1)
	v_lshl_add_u64 v[30:31], v[30:31], 4, s[18:19]
	global_atomic_add_f64 v[30:31], v[32:33], off scope:SCOPE_DEV
	s_wait_xcnt 0x0
	global_atomic_add_f64 v[30:31], v[28:29], off offset:8 scope:SCOPE_DEV
	s_wait_xcnt 0x0
	s_and_not1_b32 exec_lo, exec_lo, s22
	s_cbranch_execnz .LBB359_7
	s_branch .LBB359_4
.LBB359_8:
	s_or_b32 exec_lo, exec_lo, s1
	s_mov_b32 s1, 0
.LBB359_9:
	s_delay_alu instid0(SALU_CYCLE_1)
	s_and_not1_b32 vcc_lo, exec_lo, s1
	s_cbranch_vccnz .LBB359_18
; %bb.10:
	s_and_b32 exec_lo, exec_lo, s0
	s_cbranch_execz .LBB359_18
; %bb.11:
	v_mov_b32_e32 v1, 0
	s_mov_b32 s21, 0
	s_delay_alu instid0(SALU_CYCLE_1) | instskip(NEXT) | instid1(VALU_DEP_1)
	s_mov_b32 s0, s21
	v_sub_nc_u64_e64 v[0:1], v[0:1], s[20:21]
	s_branch .LBB359_13
.LBB359_12:                             ;   in Loop: Header=BB359_13 Depth=1
	s_or_b32 exec_lo, exec_lo, s1
	v_add_nc_u64_e32 v[6:7], s[2:3], v[6:7]
	s_delay_alu instid0(VALU_DEP_1) | instskip(SKIP_1) | instid1(SALU_CYCLE_1)
	v_cmp_le_i64_e32 vcc_lo, s[12:13], v[6:7]
	s_or_b32 s0, vcc_lo, s0
	s_and_not1_b32 exec_lo, exec_lo, s0
	s_cbranch_execz .LBB359_18
.LBB359_13:                             ; =>This Loop Header: Depth=1
                                        ;     Child Loop BB359_16 Depth 2
	v_lshlrev_b64_e32 v[8:9], 3, v[6:7]
	s_mov_b32 s1, exec_lo
	s_wait_kmcnt 0x0
	s_delay_alu instid0(VALU_DEP_1)
	v_add_nc_u64_e32 v[10:11], s[6:7], v[8:9]
	v_add_nc_u64_e32 v[8:9], s[4:5], v[8:9]
	global_load_b64 v[12:13], v[10:11], off
	global_load_b64 v[14:15], v[8:9], off
	s_wait_loadcnt 0x1
	s_wait_xcnt 0x0
	v_sub_nc_u64_e64 v[8:9], v[12:13], s[20:21]
	s_wait_loadcnt 0x0
	v_add_nc_u64_e32 v[10:11], v[14:15], v[0:1]
	s_delay_alu instid0(VALU_DEP_1)
	v_cmpx_lt_i64_e64 v[10:11], v[8:9]
	s_cbranch_execz .LBB359_12
; %bb.14:                               ;   in Loop: Header=BB359_13 Depth=1
	v_lshl_add_u64 v[12:13], v[6:7], 4, s[16:17]
	v_lshlrev_b64_e32 v[22:23], 3, v[10:11]
	s_mov_b32 s14, 0
	global_load_b128 v[16:19], v[12:13], off
	v_add_nc_u64_e32 v[20:21], s[8:9], v[22:23]
	v_add_nc_u64_e32 v[22:23], s[10:11], v[22:23]
	s_wait_loadcnt 0x0
	v_mul_f64_e32 v[12:13], v[2:3], v[18:19]
	v_mul_f64_e64 v[14:15], v[18:19], -v[4:5]
	s_delay_alu instid0(VALU_DEP_2) | instskip(NEXT) | instid1(VALU_DEP_2)
	v_fmac_f64_e32 v[12:13], v[4:5], v[16:17]
	v_fmac_f64_e32 v[14:15], v[2:3], v[16:17]
	s_delay_alu instid0(VALU_DEP_2) | instskip(NEXT) | instid1(VALU_DEP_2)
	v_mul_f64_e32 v[16:17], 0x80000000, v[12:13]
	v_mul_f64_e32 v[18:19], 0, v[14:15]
	s_branch .LBB359_16
.LBB359_15:                             ;   in Loop: Header=BB359_16 Depth=2
	s_wait_xcnt 0x0
	s_or_b32 exec_lo, exec_lo, s15
	v_add_nc_u64_e32 v[10:11], 8, v[10:11]
	v_add_nc_u64_e32 v[20:21], 64, v[20:21]
	v_add_nc_u64_e32 v[22:23], 64, v[22:23]
	s_delay_alu instid0(VALU_DEP_3) | instskip(SKIP_1) | instid1(SALU_CYCLE_1)
	v_cmp_ge_i64_e32 vcc_lo, v[10:11], v[8:9]
	s_or_b32 s14, vcc_lo, s14
	s_and_not1_b32 exec_lo, exec_lo, s14
	s_cbranch_execz .LBB359_12
.LBB359_16:                             ;   Parent Loop BB359_13 Depth=1
                                        ; =>  This Inner Loop Header: Depth=2
	global_load_b64 v[24:25], v[20:21], off
	s_mov_b32 s15, exec_lo
	s_wait_loadcnt 0x0
	v_sub_nc_u64_e64 v[24:25], v[24:25], s[20:21]
	s_wait_xcnt 0x0
	s_delay_alu instid0(VALU_DEP_1)
	v_cmpx_ne_u64_e64 v[24:25], v[6:7]
	s_cbranch_execz .LBB359_15
; %bb.17:                               ;   in Loop: Header=BB359_16 Depth=2
	global_load_b64 v[26:27], v[22:23], off
	v_lshl_add_u64 v[24:25], v[24:25], 4, s[18:19]
	s_wait_loadcnt 0x0
	v_fma_f64 v[28:29], v[14:15], v[26:27], v[16:17]
	v_fma_f64 v[26:27], v[12:13], v[26:27], v[18:19]
	s_wait_xcnt 0x0
	global_atomic_add_f64 v[24:25], v[28:29], off scope:SCOPE_DEV
	s_wait_xcnt 0x0
	global_atomic_add_f64 v[24:25], v[26:27], off offset:8 scope:SCOPE_DEV
	s_branch .LBB359_15
.LBB359_18:
	s_endpgm
	.section	.rodata,"a",@progbits
	.p2align	6, 0x0
	.amdhsa_kernel _ZN9rocsparseL21csrmvt_general_kernelILj256ELj8Elld21rocsparse_complex_numIdES2_S2_EEvbbT2_NS_24const_host_device_scalarIT6_EEPKT1_S9_PKS3_PKT3_PKT4_PT5_21rocsparse_index_base_b
		.amdhsa_group_segment_fixed_size 0
		.amdhsa_private_segment_fixed_size 0
		.amdhsa_kernarg_size 344
		.amdhsa_user_sgpr_count 2
		.amdhsa_user_sgpr_dispatch_ptr 0
		.amdhsa_user_sgpr_queue_ptr 0
		.amdhsa_user_sgpr_kernarg_segment_ptr 1
		.amdhsa_user_sgpr_dispatch_id 0
		.amdhsa_user_sgpr_kernarg_preload_length 0
		.amdhsa_user_sgpr_kernarg_preload_offset 0
		.amdhsa_user_sgpr_private_segment_size 0
		.amdhsa_wavefront_size32 1
		.amdhsa_uses_dynamic_stack 0
		.amdhsa_enable_private_segment 0
		.amdhsa_system_sgpr_workgroup_id_x 1
		.amdhsa_system_sgpr_workgroup_id_y 0
		.amdhsa_system_sgpr_workgroup_id_z 0
		.amdhsa_system_sgpr_workgroup_info 0
		.amdhsa_system_vgpr_workitem_id 0
		.amdhsa_next_free_vgpr 34
		.amdhsa_next_free_sgpr 23
		.amdhsa_named_barrier_count 0
		.amdhsa_reserve_vcc 1
		.amdhsa_float_round_mode_32 0
		.amdhsa_float_round_mode_16_64 0
		.amdhsa_float_denorm_mode_32 3
		.amdhsa_float_denorm_mode_16_64 3
		.amdhsa_fp16_overflow 0
		.amdhsa_memory_ordered 1
		.amdhsa_forward_progress 1
		.amdhsa_inst_pref_size 9
		.amdhsa_round_robin_scheduling 0
		.amdhsa_exception_fp_ieee_invalid_op 0
		.amdhsa_exception_fp_denorm_src 0
		.amdhsa_exception_fp_ieee_div_zero 0
		.amdhsa_exception_fp_ieee_overflow 0
		.amdhsa_exception_fp_ieee_underflow 0
		.amdhsa_exception_fp_ieee_inexact 0
		.amdhsa_exception_int_div_zero 0
	.end_amdhsa_kernel
	.section	.text._ZN9rocsparseL21csrmvt_general_kernelILj256ELj8Elld21rocsparse_complex_numIdES2_S2_EEvbbT2_NS_24const_host_device_scalarIT6_EEPKT1_S9_PKS3_PKT3_PKT4_PT5_21rocsparse_index_base_b,"axG",@progbits,_ZN9rocsparseL21csrmvt_general_kernelILj256ELj8Elld21rocsparse_complex_numIdES2_S2_EEvbbT2_NS_24const_host_device_scalarIT6_EEPKT1_S9_PKS3_PKT3_PKT4_PT5_21rocsparse_index_base_b,comdat
.Lfunc_end359:
	.size	_ZN9rocsparseL21csrmvt_general_kernelILj256ELj8Elld21rocsparse_complex_numIdES2_S2_EEvbbT2_NS_24const_host_device_scalarIT6_EEPKT1_S9_PKS3_PKT3_PKT4_PT5_21rocsparse_index_base_b, .Lfunc_end359-_ZN9rocsparseL21csrmvt_general_kernelILj256ELj8Elld21rocsparse_complex_numIdES2_S2_EEvbbT2_NS_24const_host_device_scalarIT6_EEPKT1_S9_PKS3_PKT3_PKT4_PT5_21rocsparse_index_base_b
                                        ; -- End function
	.set _ZN9rocsparseL21csrmvt_general_kernelILj256ELj8Elld21rocsparse_complex_numIdES2_S2_EEvbbT2_NS_24const_host_device_scalarIT6_EEPKT1_S9_PKS3_PKT3_PKT4_PT5_21rocsparse_index_base_b.num_vgpr, 34
	.set _ZN9rocsparseL21csrmvt_general_kernelILj256ELj8Elld21rocsparse_complex_numIdES2_S2_EEvbbT2_NS_24const_host_device_scalarIT6_EEPKT1_S9_PKS3_PKT3_PKT4_PT5_21rocsparse_index_base_b.num_agpr, 0
	.set _ZN9rocsparseL21csrmvt_general_kernelILj256ELj8Elld21rocsparse_complex_numIdES2_S2_EEvbbT2_NS_24const_host_device_scalarIT6_EEPKT1_S9_PKS3_PKT3_PKT4_PT5_21rocsparse_index_base_b.numbered_sgpr, 23
	.set _ZN9rocsparseL21csrmvt_general_kernelILj256ELj8Elld21rocsparse_complex_numIdES2_S2_EEvbbT2_NS_24const_host_device_scalarIT6_EEPKT1_S9_PKS3_PKT3_PKT4_PT5_21rocsparse_index_base_b.num_named_barrier, 0
	.set _ZN9rocsparseL21csrmvt_general_kernelILj256ELj8Elld21rocsparse_complex_numIdES2_S2_EEvbbT2_NS_24const_host_device_scalarIT6_EEPKT1_S9_PKS3_PKT3_PKT4_PT5_21rocsparse_index_base_b.private_seg_size, 0
	.set _ZN9rocsparseL21csrmvt_general_kernelILj256ELj8Elld21rocsparse_complex_numIdES2_S2_EEvbbT2_NS_24const_host_device_scalarIT6_EEPKT1_S9_PKS3_PKT3_PKT4_PT5_21rocsparse_index_base_b.uses_vcc, 1
	.set _ZN9rocsparseL21csrmvt_general_kernelILj256ELj8Elld21rocsparse_complex_numIdES2_S2_EEvbbT2_NS_24const_host_device_scalarIT6_EEPKT1_S9_PKS3_PKT3_PKT4_PT5_21rocsparse_index_base_b.uses_flat_scratch, 0
	.set _ZN9rocsparseL21csrmvt_general_kernelILj256ELj8Elld21rocsparse_complex_numIdES2_S2_EEvbbT2_NS_24const_host_device_scalarIT6_EEPKT1_S9_PKS3_PKT3_PKT4_PT5_21rocsparse_index_base_b.has_dyn_sized_stack, 0
	.set _ZN9rocsparseL21csrmvt_general_kernelILj256ELj8Elld21rocsparse_complex_numIdES2_S2_EEvbbT2_NS_24const_host_device_scalarIT6_EEPKT1_S9_PKS3_PKT3_PKT4_PT5_21rocsparse_index_base_b.has_recursion, 0
	.set _ZN9rocsparseL21csrmvt_general_kernelILj256ELj8Elld21rocsparse_complex_numIdES2_S2_EEvbbT2_NS_24const_host_device_scalarIT6_EEPKT1_S9_PKS3_PKT3_PKT4_PT5_21rocsparse_index_base_b.has_indirect_call, 0
	.section	.AMDGPU.csdata,"",@progbits
; Kernel info:
; codeLenInByte = 1028
; TotalNumSgprs: 25
; NumVgprs: 34
; ScratchSize: 0
; MemoryBound: 0
; FloatMode: 240
; IeeeMode: 1
; LDSByteSize: 0 bytes/workgroup (compile time only)
; SGPRBlocks: 0
; VGPRBlocks: 2
; NumSGPRsForWavesPerEU: 25
; NumVGPRsForWavesPerEU: 34
; NamedBarCnt: 0
; Occupancy: 16
; WaveLimiterHint : 1
; COMPUTE_PGM_RSRC2:SCRATCH_EN: 0
; COMPUTE_PGM_RSRC2:USER_SGPR: 2
; COMPUTE_PGM_RSRC2:TRAP_HANDLER: 0
; COMPUTE_PGM_RSRC2:TGID_X_EN: 1
; COMPUTE_PGM_RSRC2:TGID_Y_EN: 0
; COMPUTE_PGM_RSRC2:TGID_Z_EN: 0
; COMPUTE_PGM_RSRC2:TIDIG_COMP_CNT: 0
	.section	.text._ZN9rocsparseL21csrmvt_general_kernelILj256ELj16Elld21rocsparse_complex_numIdES2_S2_EEvbbT2_NS_24const_host_device_scalarIT6_EEPKT1_S9_PKS3_PKT3_PKT4_PT5_21rocsparse_index_base_b,"axG",@progbits,_ZN9rocsparseL21csrmvt_general_kernelILj256ELj16Elld21rocsparse_complex_numIdES2_S2_EEvbbT2_NS_24const_host_device_scalarIT6_EEPKT1_S9_PKS3_PKT3_PKT4_PT5_21rocsparse_index_base_b,comdat
	.globl	_ZN9rocsparseL21csrmvt_general_kernelILj256ELj16Elld21rocsparse_complex_numIdES2_S2_EEvbbT2_NS_24const_host_device_scalarIT6_EEPKT1_S9_PKS3_PKT3_PKT4_PT5_21rocsparse_index_base_b ; -- Begin function _ZN9rocsparseL21csrmvt_general_kernelILj256ELj16Elld21rocsparse_complex_numIdES2_S2_EEvbbT2_NS_24const_host_device_scalarIT6_EEPKT1_S9_PKS3_PKT3_PKT4_PT5_21rocsparse_index_base_b
	.p2align	8
	.type	_ZN9rocsparseL21csrmvt_general_kernelILj256ELj16Elld21rocsparse_complex_numIdES2_S2_EEvbbT2_NS_24const_host_device_scalarIT6_EEPKT1_S9_PKS3_PKT3_PKT4_PT5_21rocsparse_index_base_b,@function
_ZN9rocsparseL21csrmvt_general_kernelILj256ELj16Elld21rocsparse_complex_numIdES2_S2_EEvbbT2_NS_24const_host_device_scalarIT6_EEPKT1_S9_PKS3_PKT3_PKT4_PT5_21rocsparse_index_base_b: ; @_ZN9rocsparseL21csrmvt_general_kernelILj256ELj16Elld21rocsparse_complex_numIdES2_S2_EEvbbT2_NS_24const_host_device_scalarIT6_EEPKT1_S9_PKS3_PKT3_PKT4_PT5_21rocsparse_index_base_b
; %bb.0:
	s_clause 0x1
	s_load_b64 s[20:21], s[0:1], 0x50
	s_load_b128 s[12:15], s[0:1], 0x8
	v_mov_b32_e32 v7, 0
	s_add_nc_u64 s[2:3], s[0:1], 16
	s_wait_kmcnt 0x0
	s_bitcmp1_b32 s21, 0
	s_cselect_b32 s3, s3, s15
	s_cselect_b32 s2, s2, s14
	flat_load_b128 v[2:5], v7, s[2:3]
	s_wait_loadcnt_dscnt 0x0
	v_cmp_neq_f64_e32 vcc_lo, 0, v[2:3]
	v_cmp_neq_f64_e64 s2, 0, v[4:5]
	s_or_b32 s2, vcc_lo, s2
	s_delay_alu instid0(SALU_CYCLE_1)
	s_and_saveexec_b32 s3, s2
	s_cbranch_execz .LBB360_18
; %bb.1:
	s_clause 0x2
	s_load_b32 s2, s[0:1], 0x0
	s_load_b32 s3, s[0:1], 0x58
	s_load_b128 s[16:19], s[0:1], 0x40
	s_bfe_u32 s4, ttmp6, 0x4000c
	s_and_b32 s5, ttmp6, 15
	s_add_co_i32 s4, s4, 1
	s_getreg_b32 s6, hwreg(HW_REG_IB_STS2, 6, 4)
	s_mul_i32 s4, ttmp9, s4
	s_wait_kmcnt 0x0
	s_and_b32 s14, s2, 1
	s_lshl_b32 s2, s3, 4
	s_add_co_i32 s3, s5, s4
	s_cmp_eq_u32 s6, 0
	s_load_b256 s[4:11], s[0:1], 0x20
	s_wait_xcnt 0x0
	s_cselect_b32 s0, ttmp9, s3
	s_mov_b32 s3, 0
	v_lshl_or_b32 v1, s0, 8, v0
	s_cmp_eq_u32 s14, 0
	s_mov_b32 s1, -1
	s_delay_alu instid0(VALU_DEP_1) | instskip(NEXT) | instid1(VALU_DEP_1)
	v_dual_lshrrev_b32 v6, 4, v1 :: v_dual_bitop2_b32 v0, 15, v0 bitop3:0x40
	v_cmp_gt_i64_e64 s0, s[12:13], v[6:7]
	s_cbranch_scc0 .LBB360_9
; %bb.2:
	s_and_saveexec_b32 s1, s0
	s_cbranch_execz .LBB360_8
; %bb.3:
	v_mov_b32_e32 v1, 0
	s_mov_b32 s21, 0
	v_mov_b64_e32 v[10:11], v[6:7]
	s_mov_b32 s14, s21
	s_delay_alu instid0(VALU_DEP_2)
	v_sub_nc_u64_e64 v[8:9], v[0:1], s[20:21]
	s_branch .LBB360_5
.LBB360_4:                              ;   in Loop: Header=BB360_5 Depth=1
	s_or_b32 exec_lo, exec_lo, s15
	v_add_nc_u64_e32 v[10:11], s[2:3], v[10:11]
	s_delay_alu instid0(VALU_DEP_1) | instskip(SKIP_1) | instid1(SALU_CYCLE_1)
	v_cmp_le_i64_e32 vcc_lo, s[12:13], v[10:11]
	s_or_b32 s14, vcc_lo, s14
	s_and_not1_b32 exec_lo, exec_lo, s14
	s_cbranch_execz .LBB360_8
.LBB360_5:                              ; =>This Loop Header: Depth=1
                                        ;     Child Loop BB360_7 Depth 2
	s_delay_alu instid0(VALU_DEP_2) | instskip(SKIP_2) | instid1(VALU_DEP_1)
	v_lshlrev_b64_e32 v[12:13], 3, v[10:11]
	s_mov_b32 s15, exec_lo
	s_wait_kmcnt 0x0
	v_add_nc_u64_e32 v[14:15], s[6:7], v[12:13]
	v_add_nc_u64_e32 v[12:13], s[4:5], v[12:13]
	global_load_b64 v[16:17], v[14:15], off
	global_load_b64 v[18:19], v[12:13], off
	s_wait_loadcnt 0x1
	s_wait_xcnt 0x0
	v_sub_nc_u64_e64 v[12:13], v[16:17], s[20:21]
	s_wait_loadcnt 0x0
	v_add_nc_u64_e32 v[14:15], v[18:19], v[8:9]
	s_delay_alu instid0(VALU_DEP_1)
	v_cmpx_lt_i64_e64 v[14:15], v[12:13]
	s_cbranch_execz .LBB360_4
; %bb.6:                                ;   in Loop: Header=BB360_5 Depth=1
	v_lshl_add_u64 v[16:17], v[10:11], 4, s[16:17]
	v_lshlrev_b64_e32 v[26:27], 3, v[14:15]
	s_mov_b32 s22, 0
	global_load_b128 v[20:23], v[16:17], off
	v_add_nc_u64_e32 v[24:25], s[8:9], v[26:27]
	v_add_nc_u64_e32 v[26:27], s[10:11], v[26:27]
	s_wait_loadcnt 0x0
	s_wait_xcnt 0x0
	v_mul_f64_e32 v[16:17], v[2:3], v[22:23]
	v_mul_f64_e64 v[18:19], v[22:23], -v[4:5]
	s_delay_alu instid0(VALU_DEP_2) | instskip(NEXT) | instid1(VALU_DEP_2)
	v_fmac_f64_e32 v[16:17], v[4:5], v[20:21]
	v_fmac_f64_e32 v[18:19], v[2:3], v[20:21]
	s_delay_alu instid0(VALU_DEP_2) | instskip(NEXT) | instid1(VALU_DEP_2)
	v_mul_f64_e32 v[20:21], 0x80000000, v[16:17]
	v_mul_f64_e32 v[22:23], 0, v[18:19]
.LBB360_7:                              ;   Parent Loop BB360_5 Depth=1
                                        ; =>  This Inner Loop Header: Depth=2
	global_load_b64 v[28:29], v[26:27], off
	global_load_b64 v[30:31], v[24:25], off
	v_add_nc_u64_e32 v[14:15], 16, v[14:15]
	s_wait_xcnt 0x0
	v_add_nc_u64_e32 v[24:25], 0x80, v[24:25]
	v_add_nc_u64_e32 v[26:27], 0x80, v[26:27]
	s_delay_alu instid0(VALU_DEP_3)
	v_cmp_ge_i64_e32 vcc_lo, v[14:15], v[12:13]
	s_or_b32 s22, vcc_lo, s22
	s_wait_loadcnt 0x1
	v_fma_f64 v[32:33], v[18:19], v[28:29], v[20:21]
	v_fma_f64 v[28:29], v[16:17], v[28:29], v[22:23]
	s_wait_loadcnt 0x0
	v_sub_nc_u64_e64 v[30:31], v[30:31], s[20:21]
	s_delay_alu instid0(VALU_DEP_1)
	v_lshl_add_u64 v[30:31], v[30:31], 4, s[18:19]
	global_atomic_add_f64 v[30:31], v[32:33], off scope:SCOPE_DEV
	s_wait_xcnt 0x0
	global_atomic_add_f64 v[30:31], v[28:29], off offset:8 scope:SCOPE_DEV
	s_wait_xcnt 0x0
	s_and_not1_b32 exec_lo, exec_lo, s22
	s_cbranch_execnz .LBB360_7
	s_branch .LBB360_4
.LBB360_8:
	s_or_b32 exec_lo, exec_lo, s1
	s_mov_b32 s1, 0
.LBB360_9:
	s_delay_alu instid0(SALU_CYCLE_1)
	s_and_not1_b32 vcc_lo, exec_lo, s1
	s_cbranch_vccnz .LBB360_18
; %bb.10:
	s_and_b32 exec_lo, exec_lo, s0
	s_cbranch_execz .LBB360_18
; %bb.11:
	v_mov_b32_e32 v1, 0
	s_mov_b32 s21, 0
	s_delay_alu instid0(SALU_CYCLE_1) | instskip(NEXT) | instid1(VALU_DEP_1)
	s_mov_b32 s0, s21
	v_sub_nc_u64_e64 v[0:1], v[0:1], s[20:21]
	s_branch .LBB360_13
.LBB360_12:                             ;   in Loop: Header=BB360_13 Depth=1
	s_or_b32 exec_lo, exec_lo, s1
	v_add_nc_u64_e32 v[6:7], s[2:3], v[6:7]
	s_delay_alu instid0(VALU_DEP_1) | instskip(SKIP_1) | instid1(SALU_CYCLE_1)
	v_cmp_le_i64_e32 vcc_lo, s[12:13], v[6:7]
	s_or_b32 s0, vcc_lo, s0
	s_and_not1_b32 exec_lo, exec_lo, s0
	s_cbranch_execz .LBB360_18
.LBB360_13:                             ; =>This Loop Header: Depth=1
                                        ;     Child Loop BB360_16 Depth 2
	v_lshlrev_b64_e32 v[8:9], 3, v[6:7]
	s_mov_b32 s1, exec_lo
	s_wait_kmcnt 0x0
	s_delay_alu instid0(VALU_DEP_1)
	v_add_nc_u64_e32 v[10:11], s[6:7], v[8:9]
	v_add_nc_u64_e32 v[8:9], s[4:5], v[8:9]
	global_load_b64 v[12:13], v[10:11], off
	global_load_b64 v[14:15], v[8:9], off
	s_wait_loadcnt 0x1
	s_wait_xcnt 0x0
	v_sub_nc_u64_e64 v[8:9], v[12:13], s[20:21]
	s_wait_loadcnt 0x0
	v_add_nc_u64_e32 v[10:11], v[14:15], v[0:1]
	s_delay_alu instid0(VALU_DEP_1)
	v_cmpx_lt_i64_e64 v[10:11], v[8:9]
	s_cbranch_execz .LBB360_12
; %bb.14:                               ;   in Loop: Header=BB360_13 Depth=1
	v_lshl_add_u64 v[12:13], v[6:7], 4, s[16:17]
	v_lshlrev_b64_e32 v[22:23], 3, v[10:11]
	s_mov_b32 s14, 0
	global_load_b128 v[16:19], v[12:13], off
	v_add_nc_u64_e32 v[20:21], s[8:9], v[22:23]
	v_add_nc_u64_e32 v[22:23], s[10:11], v[22:23]
	s_wait_loadcnt 0x0
	v_mul_f64_e32 v[12:13], v[2:3], v[18:19]
	v_mul_f64_e64 v[14:15], v[18:19], -v[4:5]
	s_delay_alu instid0(VALU_DEP_2) | instskip(NEXT) | instid1(VALU_DEP_2)
	v_fmac_f64_e32 v[12:13], v[4:5], v[16:17]
	v_fmac_f64_e32 v[14:15], v[2:3], v[16:17]
	s_delay_alu instid0(VALU_DEP_2) | instskip(NEXT) | instid1(VALU_DEP_2)
	v_mul_f64_e32 v[16:17], 0x80000000, v[12:13]
	v_mul_f64_e32 v[18:19], 0, v[14:15]
	s_branch .LBB360_16
.LBB360_15:                             ;   in Loop: Header=BB360_16 Depth=2
	s_wait_xcnt 0x0
	s_or_b32 exec_lo, exec_lo, s15
	v_add_nc_u64_e32 v[10:11], 16, v[10:11]
	v_add_nc_u64_e32 v[20:21], 0x80, v[20:21]
	;; [unrolled: 1-line block ×3, first 2 shown]
	s_delay_alu instid0(VALU_DEP_3) | instskip(SKIP_1) | instid1(SALU_CYCLE_1)
	v_cmp_ge_i64_e32 vcc_lo, v[10:11], v[8:9]
	s_or_b32 s14, vcc_lo, s14
	s_and_not1_b32 exec_lo, exec_lo, s14
	s_cbranch_execz .LBB360_12
.LBB360_16:                             ;   Parent Loop BB360_13 Depth=1
                                        ; =>  This Inner Loop Header: Depth=2
	global_load_b64 v[24:25], v[20:21], off
	s_mov_b32 s15, exec_lo
	s_wait_loadcnt 0x0
	v_sub_nc_u64_e64 v[24:25], v[24:25], s[20:21]
	s_wait_xcnt 0x0
	s_delay_alu instid0(VALU_DEP_1)
	v_cmpx_ne_u64_e64 v[24:25], v[6:7]
	s_cbranch_execz .LBB360_15
; %bb.17:                               ;   in Loop: Header=BB360_16 Depth=2
	global_load_b64 v[26:27], v[22:23], off
	v_lshl_add_u64 v[24:25], v[24:25], 4, s[18:19]
	s_wait_loadcnt 0x0
	v_fma_f64 v[28:29], v[14:15], v[26:27], v[16:17]
	v_fma_f64 v[26:27], v[12:13], v[26:27], v[18:19]
	s_wait_xcnt 0x0
	global_atomic_add_f64 v[24:25], v[28:29], off scope:SCOPE_DEV
	s_wait_xcnt 0x0
	global_atomic_add_f64 v[24:25], v[26:27], off offset:8 scope:SCOPE_DEV
	s_branch .LBB360_15
.LBB360_18:
	s_endpgm
	.section	.rodata,"a",@progbits
	.p2align	6, 0x0
	.amdhsa_kernel _ZN9rocsparseL21csrmvt_general_kernelILj256ELj16Elld21rocsparse_complex_numIdES2_S2_EEvbbT2_NS_24const_host_device_scalarIT6_EEPKT1_S9_PKS3_PKT3_PKT4_PT5_21rocsparse_index_base_b
		.amdhsa_group_segment_fixed_size 0
		.amdhsa_private_segment_fixed_size 0
		.amdhsa_kernarg_size 344
		.amdhsa_user_sgpr_count 2
		.amdhsa_user_sgpr_dispatch_ptr 0
		.amdhsa_user_sgpr_queue_ptr 0
		.amdhsa_user_sgpr_kernarg_segment_ptr 1
		.amdhsa_user_sgpr_dispatch_id 0
		.amdhsa_user_sgpr_kernarg_preload_length 0
		.amdhsa_user_sgpr_kernarg_preload_offset 0
		.amdhsa_user_sgpr_private_segment_size 0
		.amdhsa_wavefront_size32 1
		.amdhsa_uses_dynamic_stack 0
		.amdhsa_enable_private_segment 0
		.amdhsa_system_sgpr_workgroup_id_x 1
		.amdhsa_system_sgpr_workgroup_id_y 0
		.amdhsa_system_sgpr_workgroup_id_z 0
		.amdhsa_system_sgpr_workgroup_info 0
		.amdhsa_system_vgpr_workitem_id 0
		.amdhsa_next_free_vgpr 34
		.amdhsa_next_free_sgpr 23
		.amdhsa_named_barrier_count 0
		.amdhsa_reserve_vcc 1
		.amdhsa_float_round_mode_32 0
		.amdhsa_float_round_mode_16_64 0
		.amdhsa_float_denorm_mode_32 3
		.amdhsa_float_denorm_mode_16_64 3
		.amdhsa_fp16_overflow 0
		.amdhsa_memory_ordered 1
		.amdhsa_forward_progress 1
		.amdhsa_inst_pref_size 9
		.amdhsa_round_robin_scheduling 0
		.amdhsa_exception_fp_ieee_invalid_op 0
		.amdhsa_exception_fp_denorm_src 0
		.amdhsa_exception_fp_ieee_div_zero 0
		.amdhsa_exception_fp_ieee_overflow 0
		.amdhsa_exception_fp_ieee_underflow 0
		.amdhsa_exception_fp_ieee_inexact 0
		.amdhsa_exception_int_div_zero 0
	.end_amdhsa_kernel
	.section	.text._ZN9rocsparseL21csrmvt_general_kernelILj256ELj16Elld21rocsparse_complex_numIdES2_S2_EEvbbT2_NS_24const_host_device_scalarIT6_EEPKT1_S9_PKS3_PKT3_PKT4_PT5_21rocsparse_index_base_b,"axG",@progbits,_ZN9rocsparseL21csrmvt_general_kernelILj256ELj16Elld21rocsparse_complex_numIdES2_S2_EEvbbT2_NS_24const_host_device_scalarIT6_EEPKT1_S9_PKS3_PKT3_PKT4_PT5_21rocsparse_index_base_b,comdat
.Lfunc_end360:
	.size	_ZN9rocsparseL21csrmvt_general_kernelILj256ELj16Elld21rocsparse_complex_numIdES2_S2_EEvbbT2_NS_24const_host_device_scalarIT6_EEPKT1_S9_PKS3_PKT3_PKT4_PT5_21rocsparse_index_base_b, .Lfunc_end360-_ZN9rocsparseL21csrmvt_general_kernelILj256ELj16Elld21rocsparse_complex_numIdES2_S2_EEvbbT2_NS_24const_host_device_scalarIT6_EEPKT1_S9_PKS3_PKT3_PKT4_PT5_21rocsparse_index_base_b
                                        ; -- End function
	.set _ZN9rocsparseL21csrmvt_general_kernelILj256ELj16Elld21rocsparse_complex_numIdES2_S2_EEvbbT2_NS_24const_host_device_scalarIT6_EEPKT1_S9_PKS3_PKT3_PKT4_PT5_21rocsparse_index_base_b.num_vgpr, 34
	.set _ZN9rocsparseL21csrmvt_general_kernelILj256ELj16Elld21rocsparse_complex_numIdES2_S2_EEvbbT2_NS_24const_host_device_scalarIT6_EEPKT1_S9_PKS3_PKT3_PKT4_PT5_21rocsparse_index_base_b.num_agpr, 0
	.set _ZN9rocsparseL21csrmvt_general_kernelILj256ELj16Elld21rocsparse_complex_numIdES2_S2_EEvbbT2_NS_24const_host_device_scalarIT6_EEPKT1_S9_PKS3_PKT3_PKT4_PT5_21rocsparse_index_base_b.numbered_sgpr, 23
	.set _ZN9rocsparseL21csrmvt_general_kernelILj256ELj16Elld21rocsparse_complex_numIdES2_S2_EEvbbT2_NS_24const_host_device_scalarIT6_EEPKT1_S9_PKS3_PKT3_PKT4_PT5_21rocsparse_index_base_b.num_named_barrier, 0
	.set _ZN9rocsparseL21csrmvt_general_kernelILj256ELj16Elld21rocsparse_complex_numIdES2_S2_EEvbbT2_NS_24const_host_device_scalarIT6_EEPKT1_S9_PKS3_PKT3_PKT4_PT5_21rocsparse_index_base_b.private_seg_size, 0
	.set _ZN9rocsparseL21csrmvt_general_kernelILj256ELj16Elld21rocsparse_complex_numIdES2_S2_EEvbbT2_NS_24const_host_device_scalarIT6_EEPKT1_S9_PKS3_PKT3_PKT4_PT5_21rocsparse_index_base_b.uses_vcc, 1
	.set _ZN9rocsparseL21csrmvt_general_kernelILj256ELj16Elld21rocsparse_complex_numIdES2_S2_EEvbbT2_NS_24const_host_device_scalarIT6_EEPKT1_S9_PKS3_PKT3_PKT4_PT5_21rocsparse_index_base_b.uses_flat_scratch, 0
	.set _ZN9rocsparseL21csrmvt_general_kernelILj256ELj16Elld21rocsparse_complex_numIdES2_S2_EEvbbT2_NS_24const_host_device_scalarIT6_EEPKT1_S9_PKS3_PKT3_PKT4_PT5_21rocsparse_index_base_b.has_dyn_sized_stack, 0
	.set _ZN9rocsparseL21csrmvt_general_kernelILj256ELj16Elld21rocsparse_complex_numIdES2_S2_EEvbbT2_NS_24const_host_device_scalarIT6_EEPKT1_S9_PKS3_PKT3_PKT4_PT5_21rocsparse_index_base_b.has_recursion, 0
	.set _ZN9rocsparseL21csrmvt_general_kernelILj256ELj16Elld21rocsparse_complex_numIdES2_S2_EEvbbT2_NS_24const_host_device_scalarIT6_EEPKT1_S9_PKS3_PKT3_PKT4_PT5_21rocsparse_index_base_b.has_indirect_call, 0
	.section	.AMDGPU.csdata,"",@progbits
; Kernel info:
; codeLenInByte = 1044
; TotalNumSgprs: 25
; NumVgprs: 34
; ScratchSize: 0
; MemoryBound: 0
; FloatMode: 240
; IeeeMode: 1
; LDSByteSize: 0 bytes/workgroup (compile time only)
; SGPRBlocks: 0
; VGPRBlocks: 2
; NumSGPRsForWavesPerEU: 25
; NumVGPRsForWavesPerEU: 34
; NamedBarCnt: 0
; Occupancy: 16
; WaveLimiterHint : 1
; COMPUTE_PGM_RSRC2:SCRATCH_EN: 0
; COMPUTE_PGM_RSRC2:USER_SGPR: 2
; COMPUTE_PGM_RSRC2:TRAP_HANDLER: 0
; COMPUTE_PGM_RSRC2:TGID_X_EN: 1
; COMPUTE_PGM_RSRC2:TGID_Y_EN: 0
; COMPUTE_PGM_RSRC2:TGID_Z_EN: 0
; COMPUTE_PGM_RSRC2:TIDIG_COMP_CNT: 0
	.section	.text._ZN9rocsparseL21csrmvt_general_kernelILj256ELj32Elld21rocsparse_complex_numIdES2_S2_EEvbbT2_NS_24const_host_device_scalarIT6_EEPKT1_S9_PKS3_PKT3_PKT4_PT5_21rocsparse_index_base_b,"axG",@progbits,_ZN9rocsparseL21csrmvt_general_kernelILj256ELj32Elld21rocsparse_complex_numIdES2_S2_EEvbbT2_NS_24const_host_device_scalarIT6_EEPKT1_S9_PKS3_PKT3_PKT4_PT5_21rocsparse_index_base_b,comdat
	.globl	_ZN9rocsparseL21csrmvt_general_kernelILj256ELj32Elld21rocsparse_complex_numIdES2_S2_EEvbbT2_NS_24const_host_device_scalarIT6_EEPKT1_S9_PKS3_PKT3_PKT4_PT5_21rocsparse_index_base_b ; -- Begin function _ZN9rocsparseL21csrmvt_general_kernelILj256ELj32Elld21rocsparse_complex_numIdES2_S2_EEvbbT2_NS_24const_host_device_scalarIT6_EEPKT1_S9_PKS3_PKT3_PKT4_PT5_21rocsparse_index_base_b
	.p2align	8
	.type	_ZN9rocsparseL21csrmvt_general_kernelILj256ELj32Elld21rocsparse_complex_numIdES2_S2_EEvbbT2_NS_24const_host_device_scalarIT6_EEPKT1_S9_PKS3_PKT3_PKT4_PT5_21rocsparse_index_base_b,@function
_ZN9rocsparseL21csrmvt_general_kernelILj256ELj32Elld21rocsparse_complex_numIdES2_S2_EEvbbT2_NS_24const_host_device_scalarIT6_EEPKT1_S9_PKS3_PKT3_PKT4_PT5_21rocsparse_index_base_b: ; @_ZN9rocsparseL21csrmvt_general_kernelILj256ELj32Elld21rocsparse_complex_numIdES2_S2_EEvbbT2_NS_24const_host_device_scalarIT6_EEPKT1_S9_PKS3_PKT3_PKT4_PT5_21rocsparse_index_base_b
; %bb.0:
	s_clause 0x1
	s_load_b64 s[20:21], s[0:1], 0x50
	s_load_b128 s[12:15], s[0:1], 0x8
	v_mov_b32_e32 v7, 0
	s_add_nc_u64 s[2:3], s[0:1], 16
	s_wait_kmcnt 0x0
	s_bitcmp1_b32 s21, 0
	s_cselect_b32 s3, s3, s15
	s_cselect_b32 s2, s2, s14
	flat_load_b128 v[2:5], v7, s[2:3]
	s_wait_loadcnt_dscnt 0x0
	v_cmp_neq_f64_e32 vcc_lo, 0, v[2:3]
	v_cmp_neq_f64_e64 s2, 0, v[4:5]
	s_or_b32 s2, vcc_lo, s2
	s_delay_alu instid0(SALU_CYCLE_1)
	s_and_saveexec_b32 s3, s2
	s_cbranch_execz .LBB361_18
; %bb.1:
	s_clause 0x2
	s_load_b32 s2, s[0:1], 0x0
	s_load_b32 s3, s[0:1], 0x58
	s_load_b128 s[16:19], s[0:1], 0x40
	s_bfe_u32 s4, ttmp6, 0x4000c
	s_and_b32 s5, ttmp6, 15
	s_add_co_i32 s4, s4, 1
	s_getreg_b32 s6, hwreg(HW_REG_IB_STS2, 6, 4)
	s_mul_i32 s4, ttmp9, s4
	s_wait_kmcnt 0x0
	s_and_b32 s14, s2, 1
	s_lshl_b32 s2, s3, 3
	s_add_co_i32 s3, s5, s4
	s_cmp_eq_u32 s6, 0
	s_load_b256 s[4:11], s[0:1], 0x20
	s_wait_xcnt 0x0
	s_cselect_b32 s0, ttmp9, s3
	s_mov_b32 s3, 0
	v_lshl_or_b32 v1, s0, 8, v0
	s_cmp_eq_u32 s14, 0
	s_mov_b32 s1, -1
	s_delay_alu instid0(VALU_DEP_1) | instskip(NEXT) | instid1(VALU_DEP_1)
	v_dual_lshrrev_b32 v6, 5, v1 :: v_dual_bitop2_b32 v0, 31, v0 bitop3:0x40
	v_cmp_gt_i64_e64 s0, s[12:13], v[6:7]
	s_cbranch_scc0 .LBB361_9
; %bb.2:
	s_and_saveexec_b32 s1, s0
	s_cbranch_execz .LBB361_8
; %bb.3:
	v_mov_b32_e32 v1, 0
	s_mov_b32 s21, 0
	v_mov_b64_e32 v[10:11], v[6:7]
	s_mov_b32 s14, s21
	s_delay_alu instid0(VALU_DEP_2)
	v_sub_nc_u64_e64 v[8:9], v[0:1], s[20:21]
	s_branch .LBB361_5
.LBB361_4:                              ;   in Loop: Header=BB361_5 Depth=1
	s_or_b32 exec_lo, exec_lo, s15
	v_add_nc_u64_e32 v[10:11], s[2:3], v[10:11]
	s_delay_alu instid0(VALU_DEP_1) | instskip(SKIP_1) | instid1(SALU_CYCLE_1)
	v_cmp_le_i64_e32 vcc_lo, s[12:13], v[10:11]
	s_or_b32 s14, vcc_lo, s14
	s_and_not1_b32 exec_lo, exec_lo, s14
	s_cbranch_execz .LBB361_8
.LBB361_5:                              ; =>This Loop Header: Depth=1
                                        ;     Child Loop BB361_7 Depth 2
	s_delay_alu instid0(VALU_DEP_2) | instskip(SKIP_2) | instid1(VALU_DEP_1)
	v_lshlrev_b64_e32 v[12:13], 3, v[10:11]
	s_mov_b32 s15, exec_lo
	s_wait_kmcnt 0x0
	v_add_nc_u64_e32 v[14:15], s[6:7], v[12:13]
	v_add_nc_u64_e32 v[12:13], s[4:5], v[12:13]
	global_load_b64 v[16:17], v[14:15], off
	global_load_b64 v[18:19], v[12:13], off
	s_wait_loadcnt 0x1
	s_wait_xcnt 0x0
	v_sub_nc_u64_e64 v[12:13], v[16:17], s[20:21]
	s_wait_loadcnt 0x0
	v_add_nc_u64_e32 v[14:15], v[18:19], v[8:9]
	s_delay_alu instid0(VALU_DEP_1)
	v_cmpx_lt_i64_e64 v[14:15], v[12:13]
	s_cbranch_execz .LBB361_4
; %bb.6:                                ;   in Loop: Header=BB361_5 Depth=1
	v_lshl_add_u64 v[16:17], v[10:11], 4, s[16:17]
	v_lshlrev_b64_e32 v[26:27], 3, v[14:15]
	s_mov_b32 s22, 0
	global_load_b128 v[20:23], v[16:17], off
	v_add_nc_u64_e32 v[24:25], s[8:9], v[26:27]
	v_add_nc_u64_e32 v[26:27], s[10:11], v[26:27]
	s_wait_loadcnt 0x0
	s_wait_xcnt 0x0
	v_mul_f64_e32 v[16:17], v[2:3], v[22:23]
	v_mul_f64_e64 v[18:19], v[22:23], -v[4:5]
	s_delay_alu instid0(VALU_DEP_2) | instskip(NEXT) | instid1(VALU_DEP_2)
	v_fmac_f64_e32 v[16:17], v[4:5], v[20:21]
	v_fmac_f64_e32 v[18:19], v[2:3], v[20:21]
	s_delay_alu instid0(VALU_DEP_2) | instskip(NEXT) | instid1(VALU_DEP_2)
	v_mul_f64_e32 v[20:21], 0x80000000, v[16:17]
	v_mul_f64_e32 v[22:23], 0, v[18:19]
.LBB361_7:                              ;   Parent Loop BB361_5 Depth=1
                                        ; =>  This Inner Loop Header: Depth=2
	global_load_b64 v[28:29], v[26:27], off
	global_load_b64 v[30:31], v[24:25], off
	v_add_nc_u64_e32 v[14:15], 32, v[14:15]
	s_wait_xcnt 0x0
	v_add_nc_u64_e32 v[24:25], 0x100, v[24:25]
	v_add_nc_u64_e32 v[26:27], 0x100, v[26:27]
	s_delay_alu instid0(VALU_DEP_3)
	v_cmp_ge_i64_e32 vcc_lo, v[14:15], v[12:13]
	s_or_b32 s22, vcc_lo, s22
	s_wait_loadcnt 0x1
	v_fma_f64 v[32:33], v[18:19], v[28:29], v[20:21]
	v_fma_f64 v[28:29], v[16:17], v[28:29], v[22:23]
	s_wait_loadcnt 0x0
	v_sub_nc_u64_e64 v[30:31], v[30:31], s[20:21]
	s_delay_alu instid0(VALU_DEP_1)
	v_lshl_add_u64 v[30:31], v[30:31], 4, s[18:19]
	global_atomic_add_f64 v[30:31], v[32:33], off scope:SCOPE_DEV
	s_wait_xcnt 0x0
	global_atomic_add_f64 v[30:31], v[28:29], off offset:8 scope:SCOPE_DEV
	s_wait_xcnt 0x0
	s_and_not1_b32 exec_lo, exec_lo, s22
	s_cbranch_execnz .LBB361_7
	s_branch .LBB361_4
.LBB361_8:
	s_or_b32 exec_lo, exec_lo, s1
	s_mov_b32 s1, 0
.LBB361_9:
	s_delay_alu instid0(SALU_CYCLE_1)
	s_and_not1_b32 vcc_lo, exec_lo, s1
	s_cbranch_vccnz .LBB361_18
; %bb.10:
	s_and_b32 exec_lo, exec_lo, s0
	s_cbranch_execz .LBB361_18
; %bb.11:
	v_mov_b32_e32 v1, 0
	s_mov_b32 s21, 0
	s_delay_alu instid0(SALU_CYCLE_1) | instskip(NEXT) | instid1(VALU_DEP_1)
	s_mov_b32 s0, s21
	v_sub_nc_u64_e64 v[0:1], v[0:1], s[20:21]
	s_branch .LBB361_13
.LBB361_12:                             ;   in Loop: Header=BB361_13 Depth=1
	s_or_b32 exec_lo, exec_lo, s1
	v_add_nc_u64_e32 v[6:7], s[2:3], v[6:7]
	s_delay_alu instid0(VALU_DEP_1) | instskip(SKIP_1) | instid1(SALU_CYCLE_1)
	v_cmp_le_i64_e32 vcc_lo, s[12:13], v[6:7]
	s_or_b32 s0, vcc_lo, s0
	s_and_not1_b32 exec_lo, exec_lo, s0
	s_cbranch_execz .LBB361_18
.LBB361_13:                             ; =>This Loop Header: Depth=1
                                        ;     Child Loop BB361_16 Depth 2
	v_lshlrev_b64_e32 v[8:9], 3, v[6:7]
	s_mov_b32 s1, exec_lo
	s_wait_kmcnt 0x0
	s_delay_alu instid0(VALU_DEP_1)
	v_add_nc_u64_e32 v[10:11], s[6:7], v[8:9]
	v_add_nc_u64_e32 v[8:9], s[4:5], v[8:9]
	global_load_b64 v[12:13], v[10:11], off
	global_load_b64 v[14:15], v[8:9], off
	s_wait_loadcnt 0x1
	s_wait_xcnt 0x0
	v_sub_nc_u64_e64 v[8:9], v[12:13], s[20:21]
	s_wait_loadcnt 0x0
	v_add_nc_u64_e32 v[10:11], v[14:15], v[0:1]
	s_delay_alu instid0(VALU_DEP_1)
	v_cmpx_lt_i64_e64 v[10:11], v[8:9]
	s_cbranch_execz .LBB361_12
; %bb.14:                               ;   in Loop: Header=BB361_13 Depth=1
	v_lshl_add_u64 v[12:13], v[6:7], 4, s[16:17]
	v_lshlrev_b64_e32 v[22:23], 3, v[10:11]
	s_mov_b32 s14, 0
	global_load_b128 v[16:19], v[12:13], off
	v_add_nc_u64_e32 v[20:21], s[8:9], v[22:23]
	v_add_nc_u64_e32 v[22:23], s[10:11], v[22:23]
	s_wait_loadcnt 0x0
	v_mul_f64_e32 v[12:13], v[2:3], v[18:19]
	v_mul_f64_e64 v[14:15], v[18:19], -v[4:5]
	s_delay_alu instid0(VALU_DEP_2) | instskip(NEXT) | instid1(VALU_DEP_2)
	v_fmac_f64_e32 v[12:13], v[4:5], v[16:17]
	v_fmac_f64_e32 v[14:15], v[2:3], v[16:17]
	s_delay_alu instid0(VALU_DEP_2) | instskip(NEXT) | instid1(VALU_DEP_2)
	v_mul_f64_e32 v[16:17], 0x80000000, v[12:13]
	v_mul_f64_e32 v[18:19], 0, v[14:15]
	s_branch .LBB361_16
.LBB361_15:                             ;   in Loop: Header=BB361_16 Depth=2
	s_wait_xcnt 0x0
	s_or_b32 exec_lo, exec_lo, s15
	v_add_nc_u64_e32 v[10:11], 32, v[10:11]
	v_add_nc_u64_e32 v[20:21], 0x100, v[20:21]
	;; [unrolled: 1-line block ×3, first 2 shown]
	s_delay_alu instid0(VALU_DEP_3) | instskip(SKIP_1) | instid1(SALU_CYCLE_1)
	v_cmp_ge_i64_e32 vcc_lo, v[10:11], v[8:9]
	s_or_b32 s14, vcc_lo, s14
	s_and_not1_b32 exec_lo, exec_lo, s14
	s_cbranch_execz .LBB361_12
.LBB361_16:                             ;   Parent Loop BB361_13 Depth=1
                                        ; =>  This Inner Loop Header: Depth=2
	global_load_b64 v[24:25], v[20:21], off
	s_mov_b32 s15, exec_lo
	s_wait_loadcnt 0x0
	v_sub_nc_u64_e64 v[24:25], v[24:25], s[20:21]
	s_wait_xcnt 0x0
	s_delay_alu instid0(VALU_DEP_1)
	v_cmpx_ne_u64_e64 v[24:25], v[6:7]
	s_cbranch_execz .LBB361_15
; %bb.17:                               ;   in Loop: Header=BB361_16 Depth=2
	global_load_b64 v[26:27], v[22:23], off
	v_lshl_add_u64 v[24:25], v[24:25], 4, s[18:19]
	s_wait_loadcnt 0x0
	v_fma_f64 v[28:29], v[14:15], v[26:27], v[16:17]
	v_fma_f64 v[26:27], v[12:13], v[26:27], v[18:19]
	s_wait_xcnt 0x0
	global_atomic_add_f64 v[24:25], v[28:29], off scope:SCOPE_DEV
	s_wait_xcnt 0x0
	global_atomic_add_f64 v[24:25], v[26:27], off offset:8 scope:SCOPE_DEV
	s_branch .LBB361_15
.LBB361_18:
	s_endpgm
	.section	.rodata,"a",@progbits
	.p2align	6, 0x0
	.amdhsa_kernel _ZN9rocsparseL21csrmvt_general_kernelILj256ELj32Elld21rocsparse_complex_numIdES2_S2_EEvbbT2_NS_24const_host_device_scalarIT6_EEPKT1_S9_PKS3_PKT3_PKT4_PT5_21rocsparse_index_base_b
		.amdhsa_group_segment_fixed_size 0
		.amdhsa_private_segment_fixed_size 0
		.amdhsa_kernarg_size 344
		.amdhsa_user_sgpr_count 2
		.amdhsa_user_sgpr_dispatch_ptr 0
		.amdhsa_user_sgpr_queue_ptr 0
		.amdhsa_user_sgpr_kernarg_segment_ptr 1
		.amdhsa_user_sgpr_dispatch_id 0
		.amdhsa_user_sgpr_kernarg_preload_length 0
		.amdhsa_user_sgpr_kernarg_preload_offset 0
		.amdhsa_user_sgpr_private_segment_size 0
		.amdhsa_wavefront_size32 1
		.amdhsa_uses_dynamic_stack 0
		.amdhsa_enable_private_segment 0
		.amdhsa_system_sgpr_workgroup_id_x 1
		.amdhsa_system_sgpr_workgroup_id_y 0
		.amdhsa_system_sgpr_workgroup_id_z 0
		.amdhsa_system_sgpr_workgroup_info 0
		.amdhsa_system_vgpr_workitem_id 0
		.amdhsa_next_free_vgpr 34
		.amdhsa_next_free_sgpr 23
		.amdhsa_named_barrier_count 0
		.amdhsa_reserve_vcc 1
		.amdhsa_float_round_mode_32 0
		.amdhsa_float_round_mode_16_64 0
		.amdhsa_float_denorm_mode_32 3
		.amdhsa_float_denorm_mode_16_64 3
		.amdhsa_fp16_overflow 0
		.amdhsa_memory_ordered 1
		.amdhsa_forward_progress 1
		.amdhsa_inst_pref_size 9
		.amdhsa_round_robin_scheduling 0
		.amdhsa_exception_fp_ieee_invalid_op 0
		.amdhsa_exception_fp_denorm_src 0
		.amdhsa_exception_fp_ieee_div_zero 0
		.amdhsa_exception_fp_ieee_overflow 0
		.amdhsa_exception_fp_ieee_underflow 0
		.amdhsa_exception_fp_ieee_inexact 0
		.amdhsa_exception_int_div_zero 0
	.end_amdhsa_kernel
	.section	.text._ZN9rocsparseL21csrmvt_general_kernelILj256ELj32Elld21rocsparse_complex_numIdES2_S2_EEvbbT2_NS_24const_host_device_scalarIT6_EEPKT1_S9_PKS3_PKT3_PKT4_PT5_21rocsparse_index_base_b,"axG",@progbits,_ZN9rocsparseL21csrmvt_general_kernelILj256ELj32Elld21rocsparse_complex_numIdES2_S2_EEvbbT2_NS_24const_host_device_scalarIT6_EEPKT1_S9_PKS3_PKT3_PKT4_PT5_21rocsparse_index_base_b,comdat
.Lfunc_end361:
	.size	_ZN9rocsparseL21csrmvt_general_kernelILj256ELj32Elld21rocsparse_complex_numIdES2_S2_EEvbbT2_NS_24const_host_device_scalarIT6_EEPKT1_S9_PKS3_PKT3_PKT4_PT5_21rocsparse_index_base_b, .Lfunc_end361-_ZN9rocsparseL21csrmvt_general_kernelILj256ELj32Elld21rocsparse_complex_numIdES2_S2_EEvbbT2_NS_24const_host_device_scalarIT6_EEPKT1_S9_PKS3_PKT3_PKT4_PT5_21rocsparse_index_base_b
                                        ; -- End function
	.set _ZN9rocsparseL21csrmvt_general_kernelILj256ELj32Elld21rocsparse_complex_numIdES2_S2_EEvbbT2_NS_24const_host_device_scalarIT6_EEPKT1_S9_PKS3_PKT3_PKT4_PT5_21rocsparse_index_base_b.num_vgpr, 34
	.set _ZN9rocsparseL21csrmvt_general_kernelILj256ELj32Elld21rocsparse_complex_numIdES2_S2_EEvbbT2_NS_24const_host_device_scalarIT6_EEPKT1_S9_PKS3_PKT3_PKT4_PT5_21rocsparse_index_base_b.num_agpr, 0
	.set _ZN9rocsparseL21csrmvt_general_kernelILj256ELj32Elld21rocsparse_complex_numIdES2_S2_EEvbbT2_NS_24const_host_device_scalarIT6_EEPKT1_S9_PKS3_PKT3_PKT4_PT5_21rocsparse_index_base_b.numbered_sgpr, 23
	.set _ZN9rocsparseL21csrmvt_general_kernelILj256ELj32Elld21rocsparse_complex_numIdES2_S2_EEvbbT2_NS_24const_host_device_scalarIT6_EEPKT1_S9_PKS3_PKT3_PKT4_PT5_21rocsparse_index_base_b.num_named_barrier, 0
	.set _ZN9rocsparseL21csrmvt_general_kernelILj256ELj32Elld21rocsparse_complex_numIdES2_S2_EEvbbT2_NS_24const_host_device_scalarIT6_EEPKT1_S9_PKS3_PKT3_PKT4_PT5_21rocsparse_index_base_b.private_seg_size, 0
	.set _ZN9rocsparseL21csrmvt_general_kernelILj256ELj32Elld21rocsparse_complex_numIdES2_S2_EEvbbT2_NS_24const_host_device_scalarIT6_EEPKT1_S9_PKS3_PKT3_PKT4_PT5_21rocsparse_index_base_b.uses_vcc, 1
	.set _ZN9rocsparseL21csrmvt_general_kernelILj256ELj32Elld21rocsparse_complex_numIdES2_S2_EEvbbT2_NS_24const_host_device_scalarIT6_EEPKT1_S9_PKS3_PKT3_PKT4_PT5_21rocsparse_index_base_b.uses_flat_scratch, 0
	.set _ZN9rocsparseL21csrmvt_general_kernelILj256ELj32Elld21rocsparse_complex_numIdES2_S2_EEvbbT2_NS_24const_host_device_scalarIT6_EEPKT1_S9_PKS3_PKT3_PKT4_PT5_21rocsparse_index_base_b.has_dyn_sized_stack, 0
	.set _ZN9rocsparseL21csrmvt_general_kernelILj256ELj32Elld21rocsparse_complex_numIdES2_S2_EEvbbT2_NS_24const_host_device_scalarIT6_EEPKT1_S9_PKS3_PKT3_PKT4_PT5_21rocsparse_index_base_b.has_recursion, 0
	.set _ZN9rocsparseL21csrmvt_general_kernelILj256ELj32Elld21rocsparse_complex_numIdES2_S2_EEvbbT2_NS_24const_host_device_scalarIT6_EEPKT1_S9_PKS3_PKT3_PKT4_PT5_21rocsparse_index_base_b.has_indirect_call, 0
	.section	.AMDGPU.csdata,"",@progbits
; Kernel info:
; codeLenInByte = 1044
; TotalNumSgprs: 25
; NumVgprs: 34
; ScratchSize: 0
; MemoryBound: 0
; FloatMode: 240
; IeeeMode: 1
; LDSByteSize: 0 bytes/workgroup (compile time only)
; SGPRBlocks: 0
; VGPRBlocks: 2
; NumSGPRsForWavesPerEU: 25
; NumVGPRsForWavesPerEU: 34
; NamedBarCnt: 0
; Occupancy: 16
; WaveLimiterHint : 1
; COMPUTE_PGM_RSRC2:SCRATCH_EN: 0
; COMPUTE_PGM_RSRC2:USER_SGPR: 2
; COMPUTE_PGM_RSRC2:TRAP_HANDLER: 0
; COMPUTE_PGM_RSRC2:TGID_X_EN: 1
; COMPUTE_PGM_RSRC2:TGID_Y_EN: 0
; COMPUTE_PGM_RSRC2:TGID_Z_EN: 0
; COMPUTE_PGM_RSRC2:TIDIG_COMP_CNT: 0
	.section	.text._ZN9rocsparseL21csrmvt_general_kernelILj256ELj64Elld21rocsparse_complex_numIdES2_S2_EEvbbT2_NS_24const_host_device_scalarIT6_EEPKT1_S9_PKS3_PKT3_PKT4_PT5_21rocsparse_index_base_b,"axG",@progbits,_ZN9rocsparseL21csrmvt_general_kernelILj256ELj64Elld21rocsparse_complex_numIdES2_S2_EEvbbT2_NS_24const_host_device_scalarIT6_EEPKT1_S9_PKS3_PKT3_PKT4_PT5_21rocsparse_index_base_b,comdat
	.globl	_ZN9rocsparseL21csrmvt_general_kernelILj256ELj64Elld21rocsparse_complex_numIdES2_S2_EEvbbT2_NS_24const_host_device_scalarIT6_EEPKT1_S9_PKS3_PKT3_PKT4_PT5_21rocsparse_index_base_b ; -- Begin function _ZN9rocsparseL21csrmvt_general_kernelILj256ELj64Elld21rocsparse_complex_numIdES2_S2_EEvbbT2_NS_24const_host_device_scalarIT6_EEPKT1_S9_PKS3_PKT3_PKT4_PT5_21rocsparse_index_base_b
	.p2align	8
	.type	_ZN9rocsparseL21csrmvt_general_kernelILj256ELj64Elld21rocsparse_complex_numIdES2_S2_EEvbbT2_NS_24const_host_device_scalarIT6_EEPKT1_S9_PKS3_PKT3_PKT4_PT5_21rocsparse_index_base_b,@function
_ZN9rocsparseL21csrmvt_general_kernelILj256ELj64Elld21rocsparse_complex_numIdES2_S2_EEvbbT2_NS_24const_host_device_scalarIT6_EEPKT1_S9_PKS3_PKT3_PKT4_PT5_21rocsparse_index_base_b: ; @_ZN9rocsparseL21csrmvt_general_kernelILj256ELj64Elld21rocsparse_complex_numIdES2_S2_EEvbbT2_NS_24const_host_device_scalarIT6_EEPKT1_S9_PKS3_PKT3_PKT4_PT5_21rocsparse_index_base_b
; %bb.0:
	s_clause 0x1
	s_load_b64 s[20:21], s[0:1], 0x50
	s_load_b128 s[12:15], s[0:1], 0x8
	v_mov_b32_e32 v7, 0
	s_add_nc_u64 s[2:3], s[0:1], 16
	s_wait_kmcnt 0x0
	s_bitcmp1_b32 s21, 0
	s_cselect_b32 s3, s3, s15
	s_cselect_b32 s2, s2, s14
	flat_load_b128 v[2:5], v7, s[2:3]
	s_wait_loadcnt_dscnt 0x0
	v_cmp_neq_f64_e32 vcc_lo, 0, v[2:3]
	v_cmp_neq_f64_e64 s2, 0, v[4:5]
	s_or_b32 s2, vcc_lo, s2
	s_delay_alu instid0(SALU_CYCLE_1)
	s_and_saveexec_b32 s3, s2
	s_cbranch_execz .LBB362_18
; %bb.1:
	s_clause 0x2
	s_load_b32 s2, s[0:1], 0x0
	s_load_b32 s3, s[0:1], 0x58
	s_load_b128 s[16:19], s[0:1], 0x40
	s_bfe_u32 s4, ttmp6, 0x4000c
	s_and_b32 s5, ttmp6, 15
	s_add_co_i32 s4, s4, 1
	s_getreg_b32 s6, hwreg(HW_REG_IB_STS2, 6, 4)
	s_mul_i32 s4, ttmp9, s4
	s_wait_kmcnt 0x0
	s_and_b32 s14, s2, 1
	s_lshl_b32 s2, s3, 2
	s_add_co_i32 s3, s5, s4
	s_cmp_eq_u32 s6, 0
	s_load_b256 s[4:11], s[0:1], 0x20
	s_wait_xcnt 0x0
	s_cselect_b32 s0, ttmp9, s3
	s_mov_b32 s3, 0
	v_lshl_or_b32 v1, s0, 8, v0
	s_cmp_eq_u32 s14, 0
	s_mov_b32 s1, -1
	s_delay_alu instid0(VALU_DEP_1) | instskip(NEXT) | instid1(VALU_DEP_1)
	v_dual_lshrrev_b32 v6, 6, v1 :: v_dual_bitop2_b32 v0, 63, v0 bitop3:0x40
	v_cmp_gt_i64_e64 s0, s[12:13], v[6:7]
	s_cbranch_scc0 .LBB362_9
; %bb.2:
	s_and_saveexec_b32 s1, s0
	s_cbranch_execz .LBB362_8
; %bb.3:
	v_mov_b32_e32 v1, 0
	s_mov_b32 s21, 0
	v_mov_b64_e32 v[10:11], v[6:7]
	s_mov_b32 s14, s21
	s_delay_alu instid0(VALU_DEP_2)
	v_sub_nc_u64_e64 v[8:9], v[0:1], s[20:21]
	s_branch .LBB362_5
.LBB362_4:                              ;   in Loop: Header=BB362_5 Depth=1
	s_or_b32 exec_lo, exec_lo, s15
	v_add_nc_u64_e32 v[10:11], s[2:3], v[10:11]
	s_delay_alu instid0(VALU_DEP_1) | instskip(SKIP_1) | instid1(SALU_CYCLE_1)
	v_cmp_le_i64_e32 vcc_lo, s[12:13], v[10:11]
	s_or_b32 s14, vcc_lo, s14
	s_and_not1_b32 exec_lo, exec_lo, s14
	s_cbranch_execz .LBB362_8
.LBB362_5:                              ; =>This Loop Header: Depth=1
                                        ;     Child Loop BB362_7 Depth 2
	s_delay_alu instid0(VALU_DEP_2) | instskip(SKIP_2) | instid1(VALU_DEP_1)
	v_lshlrev_b64_e32 v[12:13], 3, v[10:11]
	s_mov_b32 s15, exec_lo
	s_wait_kmcnt 0x0
	v_add_nc_u64_e32 v[14:15], s[6:7], v[12:13]
	v_add_nc_u64_e32 v[12:13], s[4:5], v[12:13]
	global_load_b64 v[16:17], v[14:15], off
	global_load_b64 v[18:19], v[12:13], off
	s_wait_loadcnt 0x1
	s_wait_xcnt 0x0
	v_sub_nc_u64_e64 v[12:13], v[16:17], s[20:21]
	s_wait_loadcnt 0x0
	v_add_nc_u64_e32 v[14:15], v[18:19], v[8:9]
	s_delay_alu instid0(VALU_DEP_1)
	v_cmpx_lt_i64_e64 v[14:15], v[12:13]
	s_cbranch_execz .LBB362_4
; %bb.6:                                ;   in Loop: Header=BB362_5 Depth=1
	v_lshl_add_u64 v[16:17], v[10:11], 4, s[16:17]
	v_lshlrev_b64_e32 v[26:27], 3, v[14:15]
	s_mov_b32 s22, 0
	global_load_b128 v[20:23], v[16:17], off
	v_add_nc_u64_e32 v[24:25], s[8:9], v[26:27]
	v_add_nc_u64_e32 v[26:27], s[10:11], v[26:27]
	s_wait_loadcnt 0x0
	s_wait_xcnt 0x0
	v_mul_f64_e32 v[16:17], v[2:3], v[22:23]
	v_mul_f64_e64 v[18:19], v[22:23], -v[4:5]
	s_delay_alu instid0(VALU_DEP_2) | instskip(NEXT) | instid1(VALU_DEP_2)
	v_fmac_f64_e32 v[16:17], v[4:5], v[20:21]
	v_fmac_f64_e32 v[18:19], v[2:3], v[20:21]
	s_delay_alu instid0(VALU_DEP_2) | instskip(NEXT) | instid1(VALU_DEP_2)
	v_mul_f64_e32 v[20:21], 0x80000000, v[16:17]
	v_mul_f64_e32 v[22:23], 0, v[18:19]
.LBB362_7:                              ;   Parent Loop BB362_5 Depth=1
                                        ; =>  This Inner Loop Header: Depth=2
	global_load_b64 v[28:29], v[26:27], off
	global_load_b64 v[30:31], v[24:25], off
	v_add_nc_u64_e32 v[14:15], 64, v[14:15]
	s_wait_xcnt 0x0
	v_add_nc_u64_e32 v[24:25], 0x200, v[24:25]
	v_add_nc_u64_e32 v[26:27], 0x200, v[26:27]
	s_delay_alu instid0(VALU_DEP_3)
	v_cmp_ge_i64_e32 vcc_lo, v[14:15], v[12:13]
	s_or_b32 s22, vcc_lo, s22
	s_wait_loadcnt 0x1
	v_fma_f64 v[32:33], v[18:19], v[28:29], v[20:21]
	v_fma_f64 v[28:29], v[16:17], v[28:29], v[22:23]
	s_wait_loadcnt 0x0
	v_sub_nc_u64_e64 v[30:31], v[30:31], s[20:21]
	s_delay_alu instid0(VALU_DEP_1)
	v_lshl_add_u64 v[30:31], v[30:31], 4, s[18:19]
	global_atomic_add_f64 v[30:31], v[32:33], off scope:SCOPE_DEV
	s_wait_xcnt 0x0
	global_atomic_add_f64 v[30:31], v[28:29], off offset:8 scope:SCOPE_DEV
	s_wait_xcnt 0x0
	s_and_not1_b32 exec_lo, exec_lo, s22
	s_cbranch_execnz .LBB362_7
	s_branch .LBB362_4
.LBB362_8:
	s_or_b32 exec_lo, exec_lo, s1
	s_mov_b32 s1, 0
.LBB362_9:
	s_delay_alu instid0(SALU_CYCLE_1)
	s_and_not1_b32 vcc_lo, exec_lo, s1
	s_cbranch_vccnz .LBB362_18
; %bb.10:
	s_and_b32 exec_lo, exec_lo, s0
	s_cbranch_execz .LBB362_18
; %bb.11:
	v_mov_b32_e32 v1, 0
	s_mov_b32 s21, 0
	s_delay_alu instid0(SALU_CYCLE_1) | instskip(NEXT) | instid1(VALU_DEP_1)
	s_mov_b32 s0, s21
	v_sub_nc_u64_e64 v[0:1], v[0:1], s[20:21]
	s_branch .LBB362_13
.LBB362_12:                             ;   in Loop: Header=BB362_13 Depth=1
	s_or_b32 exec_lo, exec_lo, s1
	v_add_nc_u64_e32 v[6:7], s[2:3], v[6:7]
	s_delay_alu instid0(VALU_DEP_1) | instskip(SKIP_1) | instid1(SALU_CYCLE_1)
	v_cmp_le_i64_e32 vcc_lo, s[12:13], v[6:7]
	s_or_b32 s0, vcc_lo, s0
	s_and_not1_b32 exec_lo, exec_lo, s0
	s_cbranch_execz .LBB362_18
.LBB362_13:                             ; =>This Loop Header: Depth=1
                                        ;     Child Loop BB362_16 Depth 2
	v_lshlrev_b64_e32 v[8:9], 3, v[6:7]
	s_mov_b32 s1, exec_lo
	s_wait_kmcnt 0x0
	s_delay_alu instid0(VALU_DEP_1)
	v_add_nc_u64_e32 v[10:11], s[6:7], v[8:9]
	v_add_nc_u64_e32 v[8:9], s[4:5], v[8:9]
	global_load_b64 v[12:13], v[10:11], off
	global_load_b64 v[14:15], v[8:9], off
	s_wait_loadcnt 0x1
	s_wait_xcnt 0x0
	v_sub_nc_u64_e64 v[8:9], v[12:13], s[20:21]
	s_wait_loadcnt 0x0
	v_add_nc_u64_e32 v[10:11], v[14:15], v[0:1]
	s_delay_alu instid0(VALU_DEP_1)
	v_cmpx_lt_i64_e64 v[10:11], v[8:9]
	s_cbranch_execz .LBB362_12
; %bb.14:                               ;   in Loop: Header=BB362_13 Depth=1
	v_lshl_add_u64 v[12:13], v[6:7], 4, s[16:17]
	v_lshlrev_b64_e32 v[22:23], 3, v[10:11]
	s_mov_b32 s14, 0
	global_load_b128 v[16:19], v[12:13], off
	v_add_nc_u64_e32 v[20:21], s[8:9], v[22:23]
	v_add_nc_u64_e32 v[22:23], s[10:11], v[22:23]
	s_wait_loadcnt 0x0
	v_mul_f64_e32 v[12:13], v[2:3], v[18:19]
	v_mul_f64_e64 v[14:15], v[18:19], -v[4:5]
	s_delay_alu instid0(VALU_DEP_2) | instskip(NEXT) | instid1(VALU_DEP_2)
	v_fmac_f64_e32 v[12:13], v[4:5], v[16:17]
	v_fmac_f64_e32 v[14:15], v[2:3], v[16:17]
	s_delay_alu instid0(VALU_DEP_2) | instskip(NEXT) | instid1(VALU_DEP_2)
	v_mul_f64_e32 v[16:17], 0x80000000, v[12:13]
	v_mul_f64_e32 v[18:19], 0, v[14:15]
	s_branch .LBB362_16
.LBB362_15:                             ;   in Loop: Header=BB362_16 Depth=2
	s_wait_xcnt 0x0
	s_or_b32 exec_lo, exec_lo, s15
	v_add_nc_u64_e32 v[10:11], 64, v[10:11]
	v_add_nc_u64_e32 v[20:21], 0x200, v[20:21]
	;; [unrolled: 1-line block ×3, first 2 shown]
	s_delay_alu instid0(VALU_DEP_3) | instskip(SKIP_1) | instid1(SALU_CYCLE_1)
	v_cmp_ge_i64_e32 vcc_lo, v[10:11], v[8:9]
	s_or_b32 s14, vcc_lo, s14
	s_and_not1_b32 exec_lo, exec_lo, s14
	s_cbranch_execz .LBB362_12
.LBB362_16:                             ;   Parent Loop BB362_13 Depth=1
                                        ; =>  This Inner Loop Header: Depth=2
	global_load_b64 v[24:25], v[20:21], off
	s_mov_b32 s15, exec_lo
	s_wait_loadcnt 0x0
	v_sub_nc_u64_e64 v[24:25], v[24:25], s[20:21]
	s_wait_xcnt 0x0
	s_delay_alu instid0(VALU_DEP_1)
	v_cmpx_ne_u64_e64 v[24:25], v[6:7]
	s_cbranch_execz .LBB362_15
; %bb.17:                               ;   in Loop: Header=BB362_16 Depth=2
	global_load_b64 v[26:27], v[22:23], off
	v_lshl_add_u64 v[24:25], v[24:25], 4, s[18:19]
	s_wait_loadcnt 0x0
	v_fma_f64 v[28:29], v[14:15], v[26:27], v[16:17]
	v_fma_f64 v[26:27], v[12:13], v[26:27], v[18:19]
	s_wait_xcnt 0x0
	global_atomic_add_f64 v[24:25], v[28:29], off scope:SCOPE_DEV
	s_wait_xcnt 0x0
	global_atomic_add_f64 v[24:25], v[26:27], off offset:8 scope:SCOPE_DEV
	s_branch .LBB362_15
.LBB362_18:
	s_endpgm
	.section	.rodata,"a",@progbits
	.p2align	6, 0x0
	.amdhsa_kernel _ZN9rocsparseL21csrmvt_general_kernelILj256ELj64Elld21rocsparse_complex_numIdES2_S2_EEvbbT2_NS_24const_host_device_scalarIT6_EEPKT1_S9_PKS3_PKT3_PKT4_PT5_21rocsparse_index_base_b
		.amdhsa_group_segment_fixed_size 0
		.amdhsa_private_segment_fixed_size 0
		.amdhsa_kernarg_size 344
		.amdhsa_user_sgpr_count 2
		.amdhsa_user_sgpr_dispatch_ptr 0
		.amdhsa_user_sgpr_queue_ptr 0
		.amdhsa_user_sgpr_kernarg_segment_ptr 1
		.amdhsa_user_sgpr_dispatch_id 0
		.amdhsa_user_sgpr_kernarg_preload_length 0
		.amdhsa_user_sgpr_kernarg_preload_offset 0
		.amdhsa_user_sgpr_private_segment_size 0
		.amdhsa_wavefront_size32 1
		.amdhsa_uses_dynamic_stack 0
		.amdhsa_enable_private_segment 0
		.amdhsa_system_sgpr_workgroup_id_x 1
		.amdhsa_system_sgpr_workgroup_id_y 0
		.amdhsa_system_sgpr_workgroup_id_z 0
		.amdhsa_system_sgpr_workgroup_info 0
		.amdhsa_system_vgpr_workitem_id 0
		.amdhsa_next_free_vgpr 34
		.amdhsa_next_free_sgpr 23
		.amdhsa_named_barrier_count 0
		.amdhsa_reserve_vcc 1
		.amdhsa_float_round_mode_32 0
		.amdhsa_float_round_mode_16_64 0
		.amdhsa_float_denorm_mode_32 3
		.amdhsa_float_denorm_mode_16_64 3
		.amdhsa_fp16_overflow 0
		.amdhsa_memory_ordered 1
		.amdhsa_forward_progress 1
		.amdhsa_inst_pref_size 9
		.amdhsa_round_robin_scheduling 0
		.amdhsa_exception_fp_ieee_invalid_op 0
		.amdhsa_exception_fp_denorm_src 0
		.amdhsa_exception_fp_ieee_div_zero 0
		.amdhsa_exception_fp_ieee_overflow 0
		.amdhsa_exception_fp_ieee_underflow 0
		.amdhsa_exception_fp_ieee_inexact 0
		.amdhsa_exception_int_div_zero 0
	.end_amdhsa_kernel
	.section	.text._ZN9rocsparseL21csrmvt_general_kernelILj256ELj64Elld21rocsparse_complex_numIdES2_S2_EEvbbT2_NS_24const_host_device_scalarIT6_EEPKT1_S9_PKS3_PKT3_PKT4_PT5_21rocsparse_index_base_b,"axG",@progbits,_ZN9rocsparseL21csrmvt_general_kernelILj256ELj64Elld21rocsparse_complex_numIdES2_S2_EEvbbT2_NS_24const_host_device_scalarIT6_EEPKT1_S9_PKS3_PKT3_PKT4_PT5_21rocsparse_index_base_b,comdat
.Lfunc_end362:
	.size	_ZN9rocsparseL21csrmvt_general_kernelILj256ELj64Elld21rocsparse_complex_numIdES2_S2_EEvbbT2_NS_24const_host_device_scalarIT6_EEPKT1_S9_PKS3_PKT3_PKT4_PT5_21rocsparse_index_base_b, .Lfunc_end362-_ZN9rocsparseL21csrmvt_general_kernelILj256ELj64Elld21rocsparse_complex_numIdES2_S2_EEvbbT2_NS_24const_host_device_scalarIT6_EEPKT1_S9_PKS3_PKT3_PKT4_PT5_21rocsparse_index_base_b
                                        ; -- End function
	.set _ZN9rocsparseL21csrmvt_general_kernelILj256ELj64Elld21rocsparse_complex_numIdES2_S2_EEvbbT2_NS_24const_host_device_scalarIT6_EEPKT1_S9_PKS3_PKT3_PKT4_PT5_21rocsparse_index_base_b.num_vgpr, 34
	.set _ZN9rocsparseL21csrmvt_general_kernelILj256ELj64Elld21rocsparse_complex_numIdES2_S2_EEvbbT2_NS_24const_host_device_scalarIT6_EEPKT1_S9_PKS3_PKT3_PKT4_PT5_21rocsparse_index_base_b.num_agpr, 0
	.set _ZN9rocsparseL21csrmvt_general_kernelILj256ELj64Elld21rocsparse_complex_numIdES2_S2_EEvbbT2_NS_24const_host_device_scalarIT6_EEPKT1_S9_PKS3_PKT3_PKT4_PT5_21rocsparse_index_base_b.numbered_sgpr, 23
	.set _ZN9rocsparseL21csrmvt_general_kernelILj256ELj64Elld21rocsparse_complex_numIdES2_S2_EEvbbT2_NS_24const_host_device_scalarIT6_EEPKT1_S9_PKS3_PKT3_PKT4_PT5_21rocsparse_index_base_b.num_named_barrier, 0
	.set _ZN9rocsparseL21csrmvt_general_kernelILj256ELj64Elld21rocsparse_complex_numIdES2_S2_EEvbbT2_NS_24const_host_device_scalarIT6_EEPKT1_S9_PKS3_PKT3_PKT4_PT5_21rocsparse_index_base_b.private_seg_size, 0
	.set _ZN9rocsparseL21csrmvt_general_kernelILj256ELj64Elld21rocsparse_complex_numIdES2_S2_EEvbbT2_NS_24const_host_device_scalarIT6_EEPKT1_S9_PKS3_PKT3_PKT4_PT5_21rocsparse_index_base_b.uses_vcc, 1
	.set _ZN9rocsparseL21csrmvt_general_kernelILj256ELj64Elld21rocsparse_complex_numIdES2_S2_EEvbbT2_NS_24const_host_device_scalarIT6_EEPKT1_S9_PKS3_PKT3_PKT4_PT5_21rocsparse_index_base_b.uses_flat_scratch, 0
	.set _ZN9rocsparseL21csrmvt_general_kernelILj256ELj64Elld21rocsparse_complex_numIdES2_S2_EEvbbT2_NS_24const_host_device_scalarIT6_EEPKT1_S9_PKS3_PKT3_PKT4_PT5_21rocsparse_index_base_b.has_dyn_sized_stack, 0
	.set _ZN9rocsparseL21csrmvt_general_kernelILj256ELj64Elld21rocsparse_complex_numIdES2_S2_EEvbbT2_NS_24const_host_device_scalarIT6_EEPKT1_S9_PKS3_PKT3_PKT4_PT5_21rocsparse_index_base_b.has_recursion, 0
	.set _ZN9rocsparseL21csrmvt_general_kernelILj256ELj64Elld21rocsparse_complex_numIdES2_S2_EEvbbT2_NS_24const_host_device_scalarIT6_EEPKT1_S9_PKS3_PKT3_PKT4_PT5_21rocsparse_index_base_b.has_indirect_call, 0
	.section	.AMDGPU.csdata,"",@progbits
; Kernel info:
; codeLenInByte = 1044
; TotalNumSgprs: 25
; NumVgprs: 34
; ScratchSize: 0
; MemoryBound: 0
; FloatMode: 240
; IeeeMode: 1
; LDSByteSize: 0 bytes/workgroup (compile time only)
; SGPRBlocks: 0
; VGPRBlocks: 2
; NumSGPRsForWavesPerEU: 25
; NumVGPRsForWavesPerEU: 34
; NamedBarCnt: 0
; Occupancy: 16
; WaveLimiterHint : 1
; COMPUTE_PGM_RSRC2:SCRATCH_EN: 0
; COMPUTE_PGM_RSRC2:USER_SGPR: 2
; COMPUTE_PGM_RSRC2:TRAP_HANDLER: 0
; COMPUTE_PGM_RSRC2:TGID_X_EN: 1
; COMPUTE_PGM_RSRC2:TGID_Y_EN: 0
; COMPUTE_PGM_RSRC2:TGID_Z_EN: 0
; COMPUTE_PGM_RSRC2:TIDIG_COMP_CNT: 0
	.section	.text._ZN9rocsparseL21csrmvn_general_kernelILj256ELj2Eii21rocsparse_complex_numIfES1_IdES3_S3_EEvbT2_NS_24const_host_device_scalarIT6_EEPKT1_SA_PKS4_PKT3_PKT4_S7_PT5_21rocsparse_index_base_b,"axG",@progbits,_ZN9rocsparseL21csrmvn_general_kernelILj256ELj2Eii21rocsparse_complex_numIfES1_IdES3_S3_EEvbT2_NS_24const_host_device_scalarIT6_EEPKT1_SA_PKS4_PKT3_PKT4_S7_PT5_21rocsparse_index_base_b,comdat
	.globl	_ZN9rocsparseL21csrmvn_general_kernelILj256ELj2Eii21rocsparse_complex_numIfES1_IdES3_S3_EEvbT2_NS_24const_host_device_scalarIT6_EEPKT1_SA_PKS4_PKT3_PKT4_S7_PT5_21rocsparse_index_base_b ; -- Begin function _ZN9rocsparseL21csrmvn_general_kernelILj256ELj2Eii21rocsparse_complex_numIfES1_IdES3_S3_EEvbT2_NS_24const_host_device_scalarIT6_EEPKT1_SA_PKS4_PKT3_PKT4_S7_PT5_21rocsparse_index_base_b
	.p2align	8
	.type	_ZN9rocsparseL21csrmvn_general_kernelILj256ELj2Eii21rocsparse_complex_numIfES1_IdES3_S3_EEvbT2_NS_24const_host_device_scalarIT6_EEPKT1_SA_PKS4_PKT3_PKT4_S7_PT5_21rocsparse_index_base_b,@function
_ZN9rocsparseL21csrmvn_general_kernelILj256ELj2Eii21rocsparse_complex_numIfES1_IdES3_S3_EEvbT2_NS_24const_host_device_scalarIT6_EEPKT1_SA_PKS4_PKT3_PKT4_S7_PT5_21rocsparse_index_base_b: ; @_ZN9rocsparseL21csrmvn_general_kernelILj256ELj2Eii21rocsparse_complex_numIfES1_IdES3_S3_EEvbT2_NS_24const_host_device_scalarIT6_EEPKT1_SA_PKS4_PKT3_PKT4_S7_PT5_21rocsparse_index_base_b
; %bb.0:
	s_clause 0x1
	s_load_b64 s[12:13], s[0:1], 0x58
	s_load_b64 s[2:3], s[0:1], 0x8
	v_mov_b32_e32 v1, 0
	s_add_nc_u64 s[4:5], s[0:1], 8
	s_load_b64 s[6:7], s[0:1], 0x40
	s_wait_kmcnt 0x0
	s_bitcmp1_b32 s13, 0
	s_cselect_b32 s3, s5, s3
	s_cselect_b32 s2, s4, s2
	flat_load_b128 v[2:5], v1, s[2:3]
	s_wait_xcnt 0x0
	s_add_nc_u64 s[2:3], s[0:1], 64
	s_delay_alu instid0(SALU_CYCLE_1)
	s_cselect_b32 s3, s3, s7
	s_cselect_b32 s2, s2, s6
	flat_load_b128 v[6:9], v1, s[2:3]
	s_wait_loadcnt_dscnt 0x101
	v_cmp_eq_f64_e32 vcc_lo, 0, v[2:3]
	s_wait_xcnt 0x0
	v_cmp_eq_f64_e64 s2, 0, v[4:5]
	s_and_b32 s4, vcc_lo, s2
	s_mov_b32 s2, -1
	s_and_saveexec_b32 s3, s4
	s_cbranch_execz .LBB363_2
; %bb.1:
	s_wait_loadcnt_dscnt 0x0
	v_cmp_neq_f64_e32 vcc_lo, 1.0, v[6:7]
	v_cmp_neq_f64_e64 s2, 0, v[8:9]
	s_or_b32 s2, vcc_lo, s2
	s_delay_alu instid0(SALU_CYCLE_1)
	s_or_not1_b32 s2, s2, exec_lo
.LBB363_2:
	s_or_b32 exec_lo, exec_lo, s3
	s_and_saveexec_b32 s3, s2
	s_cbranch_execz .LBB363_14
; %bb.3:
	s_bfe_u32 s2, ttmp6, 0x4000c
	s_load_b64 s[14:15], s[0:1], 0x0
	s_add_co_i32 s2, s2, 1
	s_and_b32 s3, ttmp6, 15
	s_mul_i32 s2, ttmp9, s2
	s_getreg_b32 s4, hwreg(HW_REG_IB_STS2, 6, 4)
	s_add_co_i32 s3, s3, s2
	s_cmp_eq_u32 s4, 0
	s_mov_b32 s20, 0
	s_cselect_b32 s2, ttmp9, s3
	s_delay_alu instid0(SALU_CYCLE_1) | instskip(NEXT) | instid1(VALU_DEP_1)
	v_lshl_or_b32 v1, s2, 8, v0
	v_lshrrev_b32_e32 v14, 1, v1
	s_wait_kmcnt 0x0
	s_delay_alu instid0(VALU_DEP_1)
	v_cmp_gt_i32_e32 vcc_lo, s15, v14
	s_and_b32 exec_lo, exec_lo, vcc_lo
	s_cbranch_execz .LBB363_14
; %bb.4:
	s_wait_loadcnt_dscnt 0x0
	v_cmp_neq_f64_e64 s2, 0, v[6:7]
	v_cmp_neq_f64_e64 s3, 0, v[8:9]
	s_clause 0x1
	s_load_b32 s13, s[0:1], 0x60
	s_load_b64 s[18:19], s[0:1], 0x38
	v_mbcnt_lo_u32_b32 v1, -1, 0
	s_clause 0x1
	s_load_b64 s[16:17], s[0:1], 0x50
	s_load_b256 s[4:11], s[0:1], 0x18
	s_delay_alu instid0(VALU_DEP_1) | instskip(NEXT) | instid1(VALU_DEP_1)
	v_xor_b32_e32 v10, 1, v1
	v_cmp_gt_i32_e32 vcc_lo, 32, v10
	v_dual_cndmask_b32 v1, v1, v10, vcc_lo :: v_dual_bitop2_b32 v0, 1, v0 bitop3:0x40
	s_delay_alu instid0(VALU_DEP_1)
	v_subrev_nc_u32_e32 v18, s12, v0
	v_cmp_eq_u32_e32 vcc_lo, 1, v0
	s_wait_kmcnt 0x0
	s_lshl_b32 s1, s13, 7
	s_bitcmp1_b32 s14, 0
	v_lshlrev_b32_e32 v19, 2, v1
	s_cselect_b32 s14, -1, 0
	s_ashr_i32 s13, s12, 31
	s_delay_alu instid0(SALU_CYCLE_1) | instskip(NEXT) | instid1(SALU_CYCLE_1)
	s_lshl_b64 s[22:23], s[12:13], 4
	s_sub_nc_u64 s[18:19], s[18:19], s[22:23]
	s_or_b32 s2, s2, s3
	s_branch .LBB363_7
.LBB363_5:                              ;   in Loop: Header=BB363_7 Depth=1
	s_wait_xcnt 0x0
	s_or_b32 exec_lo, exec_lo, s3
	global_store_b128 v[0:1], v[10:13], off
.LBB363_6:                              ;   in Loop: Header=BB363_7 Depth=1
	s_wait_xcnt 0x0
	s_or_b32 exec_lo, exec_lo, s0
	v_add_nc_u32_e32 v14, s1, v14
	s_delay_alu instid0(VALU_DEP_1) | instskip(SKIP_1) | instid1(SALU_CYCLE_1)
	v_cmp_le_i32_e64 s0, s15, v14
	s_or_b32 s20, s0, s20
	s_and_not1_b32 exec_lo, exec_lo, s20
	s_cbranch_execz .LBB363_14
.LBB363_7:                              ; =>This Loop Header: Depth=1
                                        ;     Child Loop BB363_9 Depth 2
	s_clause 0x1
	global_load_b32 v0, v14, s[6:7] scale_offset
	global_load_b32 v1, v14, s[4:5] scale_offset
	v_mov_b64_e32 v[10:11], 0
	s_mov_b32 s3, exec_lo
	s_wait_loadcnt_dscnt 0x101
	v_subrev_nc_u32_e32 v12, s12, v0
	s_wait_loadcnt_dscnt 0x0
	v_add_nc_u32_e32 v13, v1, v18
	v_mov_b64_e32 v[0:1], 0
	s_wait_xcnt 0x0
	s_delay_alu instid0(VALU_DEP_2)
	v_cmpx_lt_i32_e64 v13, v12
	s_cbranch_execz .LBB363_11
; %bb.8:                                ;   in Loop: Header=BB363_7 Depth=1
	v_mov_b64_e32 v[0:1], 0
	v_mov_b64_e32 v[10:11], 0
	s_mov_b32 s13, 0
.LBB363_9:                              ;   Parent Loop BB363_7 Depth=1
                                        ; =>  This Inner Loop Header: Depth=2
	s_clause 0x1
	global_load_b32 v15, v13, s[8:9] scale_offset
	global_load_b64 v[16:17], v13, s[10:11] scale_offset
	s_wait_xcnt 0x0
	v_add_nc_u32_e32 v13, 2, v13
	s_delay_alu instid0(VALU_DEP_1)
	v_cmp_ge_i32_e64 s0, v13, v12
	s_or_b32 s13, s0, s13
	s_wait_loadcnt 0x1
	global_load_b128 v[20:23], v15, s[18:19] scale_offset
	s_wait_loadcnt 0x1
	s_wait_xcnt 0x0
	v_cndmask_b32_e64 v15, v17, -v17, s14
	v_cvt_f64_f32_e32 v[16:17], v16
	s_delay_alu instid0(VALU_DEP_2) | instskip(NEXT) | instid1(VALU_DEP_1)
	v_cvt_f64_f32_e32 v[24:25], v15
	v_mul_f64_e64 v[26:27], -v[4:5], v[24:25]
	v_mul_f64_e32 v[24:25], v[2:3], v[24:25]
	s_delay_alu instid0(VALU_DEP_2) | instskip(NEXT) | instid1(VALU_DEP_2)
	v_fmac_f64_e32 v[26:27], v[2:3], v[16:17]
	v_fmac_f64_e32 v[24:25], v[4:5], v[16:17]
	s_wait_loadcnt 0x0
	s_delay_alu instid0(VALU_DEP_2) | instskip(NEXT) | instid1(VALU_DEP_2)
	v_fmac_f64_e32 v[10:11], v[26:27], v[20:21]
	v_fmac_f64_e32 v[0:1], v[24:25], v[20:21]
	s_delay_alu instid0(VALU_DEP_2) | instskip(NEXT) | instid1(VALU_DEP_2)
	v_fma_f64 v[10:11], -v[24:25], v[22:23], v[10:11]
	v_fmac_f64_e32 v[0:1], v[26:27], v[22:23]
	s_and_not1_b32 exec_lo, exec_lo, s13
	s_cbranch_execnz .LBB363_9
; %bb.10:                               ;   in Loop: Header=BB363_7 Depth=1
	s_or_b32 exec_lo, exec_lo, s13
.LBB363_11:                             ;   in Loop: Header=BB363_7 Depth=1
	s_delay_alu instid0(SALU_CYCLE_1)
	s_or_b32 exec_lo, exec_lo, s3
	ds_bpermute_b32 v16, v19, v10
	ds_bpermute_b32 v17, v19, v11
	;; [unrolled: 1-line block ×4, first 2 shown]
	v_ashrrev_i32_e32 v15, 31, v14
	s_and_saveexec_b32 s0, vcc_lo
	s_cbranch_execz .LBB363_6
; %bb.12:                               ;   in Loop: Header=BB363_7 Depth=1
	s_wait_dscnt 0x2
	v_add_f64_e32 v[10:11], v[10:11], v[16:17]
	s_wait_dscnt 0x0
	v_add_f64_e32 v[12:13], v[0:1], v[12:13]
	v_lshl_add_u64 v[0:1], v[14:15], 4, s[16:17]
	s_and_saveexec_b32 s3, s2
	s_cbranch_execz .LBB363_5
; %bb.13:                               ;   in Loop: Header=BB363_7 Depth=1
	global_load_b128 v[20:23], v[0:1], off
	s_wait_loadcnt 0x0
	v_fmac_f64_e32 v[10:11], v[6:7], v[20:21]
	v_fmac_f64_e32 v[12:13], v[8:9], v[20:21]
	s_delay_alu instid0(VALU_DEP_2) | instskip(NEXT) | instid1(VALU_DEP_2)
	v_fma_f64 v[10:11], -v[8:9], v[22:23], v[10:11]
	v_fmac_f64_e32 v[12:13], v[6:7], v[22:23]
	s_branch .LBB363_5
.LBB363_14:
	s_endpgm
	.section	.rodata,"a",@progbits
	.p2align	6, 0x0
	.amdhsa_kernel _ZN9rocsparseL21csrmvn_general_kernelILj256ELj2Eii21rocsparse_complex_numIfES1_IdES3_S3_EEvbT2_NS_24const_host_device_scalarIT6_EEPKT1_SA_PKS4_PKT3_PKT4_S7_PT5_21rocsparse_index_base_b
		.amdhsa_group_segment_fixed_size 0
		.amdhsa_private_segment_fixed_size 0
		.amdhsa_kernarg_size 352
		.amdhsa_user_sgpr_count 2
		.amdhsa_user_sgpr_dispatch_ptr 0
		.amdhsa_user_sgpr_queue_ptr 0
		.amdhsa_user_sgpr_kernarg_segment_ptr 1
		.amdhsa_user_sgpr_dispatch_id 0
		.amdhsa_user_sgpr_kernarg_preload_length 0
		.amdhsa_user_sgpr_kernarg_preload_offset 0
		.amdhsa_user_sgpr_private_segment_size 0
		.amdhsa_wavefront_size32 1
		.amdhsa_uses_dynamic_stack 0
		.amdhsa_enable_private_segment 0
		.amdhsa_system_sgpr_workgroup_id_x 1
		.amdhsa_system_sgpr_workgroup_id_y 0
		.amdhsa_system_sgpr_workgroup_id_z 0
		.amdhsa_system_sgpr_workgroup_info 0
		.amdhsa_system_vgpr_workitem_id 0
		.amdhsa_next_free_vgpr 28
		.amdhsa_next_free_sgpr 24
		.amdhsa_named_barrier_count 0
		.amdhsa_reserve_vcc 1
		.amdhsa_float_round_mode_32 0
		.amdhsa_float_round_mode_16_64 0
		.amdhsa_float_denorm_mode_32 3
		.amdhsa_float_denorm_mode_16_64 3
		.amdhsa_fp16_overflow 0
		.amdhsa_memory_ordered 1
		.amdhsa_forward_progress 1
		.amdhsa_inst_pref_size 7
		.amdhsa_round_robin_scheduling 0
		.amdhsa_exception_fp_ieee_invalid_op 0
		.amdhsa_exception_fp_denorm_src 0
		.amdhsa_exception_fp_ieee_div_zero 0
		.amdhsa_exception_fp_ieee_overflow 0
		.amdhsa_exception_fp_ieee_underflow 0
		.amdhsa_exception_fp_ieee_inexact 0
		.amdhsa_exception_int_div_zero 0
	.end_amdhsa_kernel
	.section	.text._ZN9rocsparseL21csrmvn_general_kernelILj256ELj2Eii21rocsparse_complex_numIfES1_IdES3_S3_EEvbT2_NS_24const_host_device_scalarIT6_EEPKT1_SA_PKS4_PKT3_PKT4_S7_PT5_21rocsparse_index_base_b,"axG",@progbits,_ZN9rocsparseL21csrmvn_general_kernelILj256ELj2Eii21rocsparse_complex_numIfES1_IdES3_S3_EEvbT2_NS_24const_host_device_scalarIT6_EEPKT1_SA_PKS4_PKT3_PKT4_S7_PT5_21rocsparse_index_base_b,comdat
.Lfunc_end363:
	.size	_ZN9rocsparseL21csrmvn_general_kernelILj256ELj2Eii21rocsparse_complex_numIfES1_IdES3_S3_EEvbT2_NS_24const_host_device_scalarIT6_EEPKT1_SA_PKS4_PKT3_PKT4_S7_PT5_21rocsparse_index_base_b, .Lfunc_end363-_ZN9rocsparseL21csrmvn_general_kernelILj256ELj2Eii21rocsparse_complex_numIfES1_IdES3_S3_EEvbT2_NS_24const_host_device_scalarIT6_EEPKT1_SA_PKS4_PKT3_PKT4_S7_PT5_21rocsparse_index_base_b
                                        ; -- End function
	.set _ZN9rocsparseL21csrmvn_general_kernelILj256ELj2Eii21rocsparse_complex_numIfES1_IdES3_S3_EEvbT2_NS_24const_host_device_scalarIT6_EEPKT1_SA_PKS4_PKT3_PKT4_S7_PT5_21rocsparse_index_base_b.num_vgpr, 28
	.set _ZN9rocsparseL21csrmvn_general_kernelILj256ELj2Eii21rocsparse_complex_numIfES1_IdES3_S3_EEvbT2_NS_24const_host_device_scalarIT6_EEPKT1_SA_PKS4_PKT3_PKT4_S7_PT5_21rocsparse_index_base_b.num_agpr, 0
	.set _ZN9rocsparseL21csrmvn_general_kernelILj256ELj2Eii21rocsparse_complex_numIfES1_IdES3_S3_EEvbT2_NS_24const_host_device_scalarIT6_EEPKT1_SA_PKS4_PKT3_PKT4_S7_PT5_21rocsparse_index_base_b.numbered_sgpr, 24
	.set _ZN9rocsparseL21csrmvn_general_kernelILj256ELj2Eii21rocsparse_complex_numIfES1_IdES3_S3_EEvbT2_NS_24const_host_device_scalarIT6_EEPKT1_SA_PKS4_PKT3_PKT4_S7_PT5_21rocsparse_index_base_b.num_named_barrier, 0
	.set _ZN9rocsparseL21csrmvn_general_kernelILj256ELj2Eii21rocsparse_complex_numIfES1_IdES3_S3_EEvbT2_NS_24const_host_device_scalarIT6_EEPKT1_SA_PKS4_PKT3_PKT4_S7_PT5_21rocsparse_index_base_b.private_seg_size, 0
	.set _ZN9rocsparseL21csrmvn_general_kernelILj256ELj2Eii21rocsparse_complex_numIfES1_IdES3_S3_EEvbT2_NS_24const_host_device_scalarIT6_EEPKT1_SA_PKS4_PKT3_PKT4_S7_PT5_21rocsparse_index_base_b.uses_vcc, 1
	.set _ZN9rocsparseL21csrmvn_general_kernelILj256ELj2Eii21rocsparse_complex_numIfES1_IdES3_S3_EEvbT2_NS_24const_host_device_scalarIT6_EEPKT1_SA_PKS4_PKT3_PKT4_S7_PT5_21rocsparse_index_base_b.uses_flat_scratch, 0
	.set _ZN9rocsparseL21csrmvn_general_kernelILj256ELj2Eii21rocsparse_complex_numIfES1_IdES3_S3_EEvbT2_NS_24const_host_device_scalarIT6_EEPKT1_SA_PKS4_PKT3_PKT4_S7_PT5_21rocsparse_index_base_b.has_dyn_sized_stack, 0
	.set _ZN9rocsparseL21csrmvn_general_kernelILj256ELj2Eii21rocsparse_complex_numIfES1_IdES3_S3_EEvbT2_NS_24const_host_device_scalarIT6_EEPKT1_SA_PKS4_PKT3_PKT4_S7_PT5_21rocsparse_index_base_b.has_recursion, 0
	.set _ZN9rocsparseL21csrmvn_general_kernelILj256ELj2Eii21rocsparse_complex_numIfES1_IdES3_S3_EEvbT2_NS_24const_host_device_scalarIT6_EEPKT1_SA_PKS4_PKT3_PKT4_S7_PT5_21rocsparse_index_base_b.has_indirect_call, 0
	.section	.AMDGPU.csdata,"",@progbits
; Kernel info:
; codeLenInByte = 844
; TotalNumSgprs: 26
; NumVgprs: 28
; ScratchSize: 0
; MemoryBound: 0
; FloatMode: 240
; IeeeMode: 1
; LDSByteSize: 0 bytes/workgroup (compile time only)
; SGPRBlocks: 0
; VGPRBlocks: 1
; NumSGPRsForWavesPerEU: 26
; NumVGPRsForWavesPerEU: 28
; NamedBarCnt: 0
; Occupancy: 16
; WaveLimiterHint : 1
; COMPUTE_PGM_RSRC2:SCRATCH_EN: 0
; COMPUTE_PGM_RSRC2:USER_SGPR: 2
; COMPUTE_PGM_RSRC2:TRAP_HANDLER: 0
; COMPUTE_PGM_RSRC2:TGID_X_EN: 1
; COMPUTE_PGM_RSRC2:TGID_Y_EN: 0
; COMPUTE_PGM_RSRC2:TGID_Z_EN: 0
; COMPUTE_PGM_RSRC2:TIDIG_COMP_CNT: 0
	.section	.text._ZN9rocsparseL21csrmvn_general_kernelILj256ELj4Eii21rocsparse_complex_numIfES1_IdES3_S3_EEvbT2_NS_24const_host_device_scalarIT6_EEPKT1_SA_PKS4_PKT3_PKT4_S7_PT5_21rocsparse_index_base_b,"axG",@progbits,_ZN9rocsparseL21csrmvn_general_kernelILj256ELj4Eii21rocsparse_complex_numIfES1_IdES3_S3_EEvbT2_NS_24const_host_device_scalarIT6_EEPKT1_SA_PKS4_PKT3_PKT4_S7_PT5_21rocsparse_index_base_b,comdat
	.globl	_ZN9rocsparseL21csrmvn_general_kernelILj256ELj4Eii21rocsparse_complex_numIfES1_IdES3_S3_EEvbT2_NS_24const_host_device_scalarIT6_EEPKT1_SA_PKS4_PKT3_PKT4_S7_PT5_21rocsparse_index_base_b ; -- Begin function _ZN9rocsparseL21csrmvn_general_kernelILj256ELj4Eii21rocsparse_complex_numIfES1_IdES3_S3_EEvbT2_NS_24const_host_device_scalarIT6_EEPKT1_SA_PKS4_PKT3_PKT4_S7_PT5_21rocsparse_index_base_b
	.p2align	8
	.type	_ZN9rocsparseL21csrmvn_general_kernelILj256ELj4Eii21rocsparse_complex_numIfES1_IdES3_S3_EEvbT2_NS_24const_host_device_scalarIT6_EEPKT1_SA_PKS4_PKT3_PKT4_S7_PT5_21rocsparse_index_base_b,@function
_ZN9rocsparseL21csrmvn_general_kernelILj256ELj4Eii21rocsparse_complex_numIfES1_IdES3_S3_EEvbT2_NS_24const_host_device_scalarIT6_EEPKT1_SA_PKS4_PKT3_PKT4_S7_PT5_21rocsparse_index_base_b: ; @_ZN9rocsparseL21csrmvn_general_kernelILj256ELj4Eii21rocsparse_complex_numIfES1_IdES3_S3_EEvbT2_NS_24const_host_device_scalarIT6_EEPKT1_SA_PKS4_PKT3_PKT4_S7_PT5_21rocsparse_index_base_b
; %bb.0:
	s_clause 0x1
	s_load_b64 s[12:13], s[0:1], 0x58
	s_load_b64 s[2:3], s[0:1], 0x8
	v_mov_b32_e32 v1, 0
	s_add_nc_u64 s[4:5], s[0:1], 8
	s_load_b64 s[6:7], s[0:1], 0x40
	s_wait_kmcnt 0x0
	s_bitcmp1_b32 s13, 0
	s_cselect_b32 s3, s5, s3
	s_cselect_b32 s2, s4, s2
	flat_load_b128 v[2:5], v1, s[2:3]
	s_wait_xcnt 0x0
	s_add_nc_u64 s[2:3], s[0:1], 64
	s_delay_alu instid0(SALU_CYCLE_1)
	s_cselect_b32 s3, s3, s7
	s_cselect_b32 s2, s2, s6
	flat_load_b128 v[6:9], v1, s[2:3]
	s_wait_loadcnt_dscnt 0x101
	v_cmp_eq_f64_e32 vcc_lo, 0, v[2:3]
	s_wait_xcnt 0x0
	v_cmp_eq_f64_e64 s2, 0, v[4:5]
	s_and_b32 s4, vcc_lo, s2
	s_mov_b32 s2, -1
	s_and_saveexec_b32 s3, s4
	s_cbranch_execz .LBB364_2
; %bb.1:
	s_wait_loadcnt_dscnt 0x0
	v_cmp_neq_f64_e32 vcc_lo, 1.0, v[6:7]
	v_cmp_neq_f64_e64 s2, 0, v[8:9]
	s_or_b32 s2, vcc_lo, s2
	s_delay_alu instid0(SALU_CYCLE_1)
	s_or_not1_b32 s2, s2, exec_lo
.LBB364_2:
	s_or_b32 exec_lo, exec_lo, s3
	s_and_saveexec_b32 s3, s2
	s_cbranch_execz .LBB364_14
; %bb.3:
	s_bfe_u32 s2, ttmp6, 0x4000c
	s_load_b64 s[14:15], s[0:1], 0x0
	s_add_co_i32 s2, s2, 1
	s_and_b32 s3, ttmp6, 15
	s_mul_i32 s2, ttmp9, s2
	s_getreg_b32 s4, hwreg(HW_REG_IB_STS2, 6, 4)
	s_add_co_i32 s3, s3, s2
	s_cmp_eq_u32 s4, 0
	s_mov_b32 s20, 0
	s_cselect_b32 s2, ttmp9, s3
	s_delay_alu instid0(SALU_CYCLE_1) | instskip(NEXT) | instid1(VALU_DEP_1)
	v_lshl_or_b32 v1, s2, 8, v0
	v_lshrrev_b32_e32 v14, 2, v1
	s_wait_kmcnt 0x0
	s_delay_alu instid0(VALU_DEP_1)
	v_cmp_gt_i32_e32 vcc_lo, s15, v14
	s_and_b32 exec_lo, exec_lo, vcc_lo
	s_cbranch_execz .LBB364_14
; %bb.4:
	v_mbcnt_lo_u32_b32 v1, -1, 0
	s_wait_loadcnt_dscnt 0x0
	v_cmp_neq_f64_e64 s2, 0, v[6:7]
	v_cmp_neq_f64_e64 s3, 0, v[8:9]
	s_clause 0x3
	s_load_b32 s13, s[0:1], 0x60
	s_load_b64 s[18:19], s[0:1], 0x38
	s_load_b64 s[16:17], s[0:1], 0x50
	s_load_b256 s[4:11], s[0:1], 0x18
	v_xor_b32_e32 v11, 1, v1
	v_xor_b32_e32 v10, 2, v1
	s_delay_alu instid0(VALU_DEP_1) | instskip(SKIP_1) | instid1(VALU_DEP_1)
	v_cmp_gt_i32_e32 vcc_lo, 32, v10
	v_dual_cndmask_b32 v10, v1, v10, vcc_lo :: v_dual_bitop2_b32 v0, 3, v0 bitop3:0x40
	v_subrev_nc_u32_e32 v18, s12, v0
	s_delay_alu instid0(VALU_DEP_2)
	v_lshlrev_b32_e32 v19, 2, v10
	v_cmp_gt_i32_e32 vcc_lo, 32, v11
	s_wait_kmcnt 0x0
	s_lshl_b32 s1, s13, 6
	s_bitcmp1_b32 s14, 0
	s_cselect_b32 s14, -1, 0
	v_cndmask_b32_e32 v1, v1, v11, vcc_lo
	s_ashr_i32 s13, s12, 31
	v_cmp_eq_u32_e32 vcc_lo, 3, v0
	s_lshl_b64 s[22:23], s[12:13], 4
	s_delay_alu instid0(VALU_DEP_2)
	v_lshlrev_b32_e32 v20, 2, v1
	s_sub_nc_u64 s[18:19], s[18:19], s[22:23]
	s_or_b32 s2, s2, s3
	s_branch .LBB364_7
.LBB364_5:                              ;   in Loop: Header=BB364_7 Depth=1
	s_wait_xcnt 0x0
	s_or_b32 exec_lo, exec_lo, s3
	global_store_b128 v[0:1], v[10:13], off
.LBB364_6:                              ;   in Loop: Header=BB364_7 Depth=1
	s_wait_xcnt 0x0
	s_or_b32 exec_lo, exec_lo, s0
	v_add_nc_u32_e32 v14, s1, v14
	s_delay_alu instid0(VALU_DEP_1) | instskip(SKIP_1) | instid1(SALU_CYCLE_1)
	v_cmp_le_i32_e64 s0, s15, v14
	s_or_b32 s20, s0, s20
	s_and_not1_b32 exec_lo, exec_lo, s20
	s_cbranch_execz .LBB364_14
.LBB364_7:                              ; =>This Loop Header: Depth=1
                                        ;     Child Loop BB364_9 Depth 2
	s_clause 0x1
	global_load_b32 v0, v14, s[6:7] scale_offset
	global_load_b32 v1, v14, s[4:5] scale_offset
	v_mov_b64_e32 v[10:11], 0
	s_mov_b32 s3, exec_lo
	s_wait_loadcnt_dscnt 0x101
	v_subrev_nc_u32_e32 v12, s12, v0
	s_wait_loadcnt_dscnt 0x0
	v_add_nc_u32_e32 v13, v1, v18
	v_mov_b64_e32 v[0:1], 0
	s_wait_xcnt 0x0
	s_delay_alu instid0(VALU_DEP_2)
	v_cmpx_lt_i32_e64 v13, v12
	s_cbranch_execz .LBB364_11
; %bb.8:                                ;   in Loop: Header=BB364_7 Depth=1
	v_mov_b64_e32 v[0:1], 0
	v_mov_b64_e32 v[10:11], 0
	s_mov_b32 s13, 0
.LBB364_9:                              ;   Parent Loop BB364_7 Depth=1
                                        ; =>  This Inner Loop Header: Depth=2
	s_clause 0x1
	global_load_b32 v15, v13, s[8:9] scale_offset
	global_load_b64 v[16:17], v13, s[10:11] scale_offset
	s_wait_xcnt 0x0
	v_add_nc_u32_e32 v13, 4, v13
	s_delay_alu instid0(VALU_DEP_1)
	v_cmp_ge_i32_e64 s0, v13, v12
	s_or_b32 s13, s0, s13
	s_wait_loadcnt 0x1
	global_load_b128 v[22:25], v15, s[18:19] scale_offset
	s_wait_loadcnt 0x1
	s_wait_xcnt 0x0
	v_cndmask_b32_e64 v15, v17, -v17, s14
	v_cvt_f64_f32_e32 v[16:17], v16
	s_delay_alu instid0(VALU_DEP_2) | instskip(NEXT) | instid1(VALU_DEP_1)
	v_cvt_f64_f32_e32 v[26:27], v15
	v_mul_f64_e64 v[28:29], -v[4:5], v[26:27]
	v_mul_f64_e32 v[26:27], v[2:3], v[26:27]
	s_delay_alu instid0(VALU_DEP_2) | instskip(NEXT) | instid1(VALU_DEP_2)
	v_fmac_f64_e32 v[28:29], v[2:3], v[16:17]
	v_fmac_f64_e32 v[26:27], v[4:5], v[16:17]
	s_wait_loadcnt 0x0
	s_delay_alu instid0(VALU_DEP_2) | instskip(NEXT) | instid1(VALU_DEP_2)
	v_fmac_f64_e32 v[10:11], v[28:29], v[22:23]
	v_fmac_f64_e32 v[0:1], v[26:27], v[22:23]
	s_delay_alu instid0(VALU_DEP_2) | instskip(NEXT) | instid1(VALU_DEP_2)
	v_fma_f64 v[10:11], -v[26:27], v[24:25], v[10:11]
	v_fmac_f64_e32 v[0:1], v[28:29], v[24:25]
	s_and_not1_b32 exec_lo, exec_lo, s13
	s_cbranch_execnz .LBB364_9
; %bb.10:                               ;   in Loop: Header=BB364_7 Depth=1
	s_or_b32 exec_lo, exec_lo, s13
.LBB364_11:                             ;   in Loop: Header=BB364_7 Depth=1
	s_delay_alu instid0(SALU_CYCLE_1)
	s_or_b32 exec_lo, exec_lo, s3
	ds_bpermute_b32 v12, v19, v10
	ds_bpermute_b32 v13, v19, v11
	;; [unrolled: 1-line block ×4, first 2 shown]
	s_wait_dscnt 0x2
	v_dual_add_f64 v[10:11], v[10:11], v[12:13] :: v_dual_ashrrev_i32 v15, 31, v14
	s_wait_dscnt 0x0
	v_add_f64_e32 v[0:1], v[0:1], v[16:17]
	ds_bpermute_b32 v16, v20, v10
	ds_bpermute_b32 v17, v20, v11
	;; [unrolled: 1-line block ×4, first 2 shown]
	s_and_saveexec_b32 s0, vcc_lo
	s_cbranch_execz .LBB364_6
; %bb.12:                               ;   in Loop: Header=BB364_7 Depth=1
	s_wait_dscnt 0x2
	v_add_f64_e32 v[10:11], v[10:11], v[16:17]
	s_wait_dscnt 0x0
	v_add_f64_e32 v[12:13], v[0:1], v[12:13]
	v_lshl_add_u64 v[0:1], v[14:15], 4, s[16:17]
	s_and_saveexec_b32 s3, s2
	s_cbranch_execz .LBB364_5
; %bb.13:                               ;   in Loop: Header=BB364_7 Depth=1
	global_load_b128 v[22:25], v[0:1], off
	s_wait_loadcnt 0x0
	v_fmac_f64_e32 v[10:11], v[6:7], v[22:23]
	v_fmac_f64_e32 v[12:13], v[8:9], v[22:23]
	s_delay_alu instid0(VALU_DEP_2) | instskip(NEXT) | instid1(VALU_DEP_2)
	v_fma_f64 v[10:11], -v[8:9], v[24:25], v[10:11]
	v_fmac_f64_e32 v[12:13], v[6:7], v[24:25]
	s_branch .LBB364_5
.LBB364_14:
	s_endpgm
	.section	.rodata,"a",@progbits
	.p2align	6, 0x0
	.amdhsa_kernel _ZN9rocsparseL21csrmvn_general_kernelILj256ELj4Eii21rocsparse_complex_numIfES1_IdES3_S3_EEvbT2_NS_24const_host_device_scalarIT6_EEPKT1_SA_PKS4_PKT3_PKT4_S7_PT5_21rocsparse_index_base_b
		.amdhsa_group_segment_fixed_size 0
		.amdhsa_private_segment_fixed_size 0
		.amdhsa_kernarg_size 352
		.amdhsa_user_sgpr_count 2
		.amdhsa_user_sgpr_dispatch_ptr 0
		.amdhsa_user_sgpr_queue_ptr 0
		.amdhsa_user_sgpr_kernarg_segment_ptr 1
		.amdhsa_user_sgpr_dispatch_id 0
		.amdhsa_user_sgpr_kernarg_preload_length 0
		.amdhsa_user_sgpr_kernarg_preload_offset 0
		.amdhsa_user_sgpr_private_segment_size 0
		.amdhsa_wavefront_size32 1
		.amdhsa_uses_dynamic_stack 0
		.amdhsa_enable_private_segment 0
		.amdhsa_system_sgpr_workgroup_id_x 1
		.amdhsa_system_sgpr_workgroup_id_y 0
		.amdhsa_system_sgpr_workgroup_id_z 0
		.amdhsa_system_sgpr_workgroup_info 0
		.amdhsa_system_vgpr_workitem_id 0
		.amdhsa_next_free_vgpr 30
		.amdhsa_next_free_sgpr 24
		.amdhsa_named_barrier_count 0
		.amdhsa_reserve_vcc 1
		.amdhsa_float_round_mode_32 0
		.amdhsa_float_round_mode_16_64 0
		.amdhsa_float_denorm_mode_32 3
		.amdhsa_float_denorm_mode_16_64 3
		.amdhsa_fp16_overflow 0
		.amdhsa_memory_ordered 1
		.amdhsa_forward_progress 1
		.amdhsa_inst_pref_size 8
		.amdhsa_round_robin_scheduling 0
		.amdhsa_exception_fp_ieee_invalid_op 0
		.amdhsa_exception_fp_denorm_src 0
		.amdhsa_exception_fp_ieee_div_zero 0
		.amdhsa_exception_fp_ieee_overflow 0
		.amdhsa_exception_fp_ieee_underflow 0
		.amdhsa_exception_fp_ieee_inexact 0
		.amdhsa_exception_int_div_zero 0
	.end_amdhsa_kernel
	.section	.text._ZN9rocsparseL21csrmvn_general_kernelILj256ELj4Eii21rocsparse_complex_numIfES1_IdES3_S3_EEvbT2_NS_24const_host_device_scalarIT6_EEPKT1_SA_PKS4_PKT3_PKT4_S7_PT5_21rocsparse_index_base_b,"axG",@progbits,_ZN9rocsparseL21csrmvn_general_kernelILj256ELj4Eii21rocsparse_complex_numIfES1_IdES3_S3_EEvbT2_NS_24const_host_device_scalarIT6_EEPKT1_SA_PKS4_PKT3_PKT4_S7_PT5_21rocsparse_index_base_b,comdat
.Lfunc_end364:
	.size	_ZN9rocsparseL21csrmvn_general_kernelILj256ELj4Eii21rocsparse_complex_numIfES1_IdES3_S3_EEvbT2_NS_24const_host_device_scalarIT6_EEPKT1_SA_PKS4_PKT3_PKT4_S7_PT5_21rocsparse_index_base_b, .Lfunc_end364-_ZN9rocsparseL21csrmvn_general_kernelILj256ELj4Eii21rocsparse_complex_numIfES1_IdES3_S3_EEvbT2_NS_24const_host_device_scalarIT6_EEPKT1_SA_PKS4_PKT3_PKT4_S7_PT5_21rocsparse_index_base_b
                                        ; -- End function
	.set _ZN9rocsparseL21csrmvn_general_kernelILj256ELj4Eii21rocsparse_complex_numIfES1_IdES3_S3_EEvbT2_NS_24const_host_device_scalarIT6_EEPKT1_SA_PKS4_PKT3_PKT4_S7_PT5_21rocsparse_index_base_b.num_vgpr, 30
	.set _ZN9rocsparseL21csrmvn_general_kernelILj256ELj4Eii21rocsparse_complex_numIfES1_IdES3_S3_EEvbT2_NS_24const_host_device_scalarIT6_EEPKT1_SA_PKS4_PKT3_PKT4_S7_PT5_21rocsparse_index_base_b.num_agpr, 0
	.set _ZN9rocsparseL21csrmvn_general_kernelILj256ELj4Eii21rocsparse_complex_numIfES1_IdES3_S3_EEvbT2_NS_24const_host_device_scalarIT6_EEPKT1_SA_PKS4_PKT3_PKT4_S7_PT5_21rocsparse_index_base_b.numbered_sgpr, 24
	.set _ZN9rocsparseL21csrmvn_general_kernelILj256ELj4Eii21rocsparse_complex_numIfES1_IdES3_S3_EEvbT2_NS_24const_host_device_scalarIT6_EEPKT1_SA_PKS4_PKT3_PKT4_S7_PT5_21rocsparse_index_base_b.num_named_barrier, 0
	.set _ZN9rocsparseL21csrmvn_general_kernelILj256ELj4Eii21rocsparse_complex_numIfES1_IdES3_S3_EEvbT2_NS_24const_host_device_scalarIT6_EEPKT1_SA_PKS4_PKT3_PKT4_S7_PT5_21rocsparse_index_base_b.private_seg_size, 0
	.set _ZN9rocsparseL21csrmvn_general_kernelILj256ELj4Eii21rocsparse_complex_numIfES1_IdES3_S3_EEvbT2_NS_24const_host_device_scalarIT6_EEPKT1_SA_PKS4_PKT3_PKT4_S7_PT5_21rocsparse_index_base_b.uses_vcc, 1
	.set _ZN9rocsparseL21csrmvn_general_kernelILj256ELj4Eii21rocsparse_complex_numIfES1_IdES3_S3_EEvbT2_NS_24const_host_device_scalarIT6_EEPKT1_SA_PKS4_PKT3_PKT4_S7_PT5_21rocsparse_index_base_b.uses_flat_scratch, 0
	.set _ZN9rocsparseL21csrmvn_general_kernelILj256ELj4Eii21rocsparse_complex_numIfES1_IdES3_S3_EEvbT2_NS_24const_host_device_scalarIT6_EEPKT1_SA_PKS4_PKT3_PKT4_S7_PT5_21rocsparse_index_base_b.has_dyn_sized_stack, 0
	.set _ZN9rocsparseL21csrmvn_general_kernelILj256ELj4Eii21rocsparse_complex_numIfES1_IdES3_S3_EEvbT2_NS_24const_host_device_scalarIT6_EEPKT1_SA_PKS4_PKT3_PKT4_S7_PT5_21rocsparse_index_base_b.has_recursion, 0
	.set _ZN9rocsparseL21csrmvn_general_kernelILj256ELj4Eii21rocsparse_complex_numIfES1_IdES3_S3_EEvbT2_NS_24const_host_device_scalarIT6_EEPKT1_SA_PKS4_PKT3_PKT4_S7_PT5_21rocsparse_index_base_b.has_indirect_call, 0
	.section	.AMDGPU.csdata,"",@progbits
; Kernel info:
; codeLenInByte = 908
; TotalNumSgprs: 26
; NumVgprs: 30
; ScratchSize: 0
; MemoryBound: 0
; FloatMode: 240
; IeeeMode: 1
; LDSByteSize: 0 bytes/workgroup (compile time only)
; SGPRBlocks: 0
; VGPRBlocks: 1
; NumSGPRsForWavesPerEU: 26
; NumVGPRsForWavesPerEU: 30
; NamedBarCnt: 0
; Occupancy: 16
; WaveLimiterHint : 1
; COMPUTE_PGM_RSRC2:SCRATCH_EN: 0
; COMPUTE_PGM_RSRC2:USER_SGPR: 2
; COMPUTE_PGM_RSRC2:TRAP_HANDLER: 0
; COMPUTE_PGM_RSRC2:TGID_X_EN: 1
; COMPUTE_PGM_RSRC2:TGID_Y_EN: 0
; COMPUTE_PGM_RSRC2:TGID_Z_EN: 0
; COMPUTE_PGM_RSRC2:TIDIG_COMP_CNT: 0
	.section	.text._ZN9rocsparseL21csrmvn_general_kernelILj256ELj8Eii21rocsparse_complex_numIfES1_IdES3_S3_EEvbT2_NS_24const_host_device_scalarIT6_EEPKT1_SA_PKS4_PKT3_PKT4_S7_PT5_21rocsparse_index_base_b,"axG",@progbits,_ZN9rocsparseL21csrmvn_general_kernelILj256ELj8Eii21rocsparse_complex_numIfES1_IdES3_S3_EEvbT2_NS_24const_host_device_scalarIT6_EEPKT1_SA_PKS4_PKT3_PKT4_S7_PT5_21rocsparse_index_base_b,comdat
	.globl	_ZN9rocsparseL21csrmvn_general_kernelILj256ELj8Eii21rocsparse_complex_numIfES1_IdES3_S3_EEvbT2_NS_24const_host_device_scalarIT6_EEPKT1_SA_PKS4_PKT3_PKT4_S7_PT5_21rocsparse_index_base_b ; -- Begin function _ZN9rocsparseL21csrmvn_general_kernelILj256ELj8Eii21rocsparse_complex_numIfES1_IdES3_S3_EEvbT2_NS_24const_host_device_scalarIT6_EEPKT1_SA_PKS4_PKT3_PKT4_S7_PT5_21rocsparse_index_base_b
	.p2align	8
	.type	_ZN9rocsparseL21csrmvn_general_kernelILj256ELj8Eii21rocsparse_complex_numIfES1_IdES3_S3_EEvbT2_NS_24const_host_device_scalarIT6_EEPKT1_SA_PKS4_PKT3_PKT4_S7_PT5_21rocsparse_index_base_b,@function
_ZN9rocsparseL21csrmvn_general_kernelILj256ELj8Eii21rocsparse_complex_numIfES1_IdES3_S3_EEvbT2_NS_24const_host_device_scalarIT6_EEPKT1_SA_PKS4_PKT3_PKT4_S7_PT5_21rocsparse_index_base_b: ; @_ZN9rocsparseL21csrmvn_general_kernelILj256ELj8Eii21rocsparse_complex_numIfES1_IdES3_S3_EEvbT2_NS_24const_host_device_scalarIT6_EEPKT1_SA_PKS4_PKT3_PKT4_S7_PT5_21rocsparse_index_base_b
; %bb.0:
	s_clause 0x1
	s_load_b64 s[12:13], s[0:1], 0x58
	s_load_b64 s[2:3], s[0:1], 0x8
	v_mov_b32_e32 v1, 0
	s_add_nc_u64 s[4:5], s[0:1], 8
	s_load_b64 s[6:7], s[0:1], 0x40
	s_wait_kmcnt 0x0
	s_bitcmp1_b32 s13, 0
	s_cselect_b32 s3, s5, s3
	s_cselect_b32 s2, s4, s2
	flat_load_b128 v[2:5], v1, s[2:3]
	s_wait_xcnt 0x0
	s_add_nc_u64 s[2:3], s[0:1], 64
	s_delay_alu instid0(SALU_CYCLE_1)
	s_cselect_b32 s3, s3, s7
	s_cselect_b32 s2, s2, s6
	flat_load_b128 v[6:9], v1, s[2:3]
	s_wait_loadcnt_dscnt 0x101
	v_cmp_eq_f64_e32 vcc_lo, 0, v[2:3]
	s_wait_xcnt 0x0
	v_cmp_eq_f64_e64 s2, 0, v[4:5]
	s_and_b32 s4, vcc_lo, s2
	s_mov_b32 s2, -1
	s_and_saveexec_b32 s3, s4
	s_cbranch_execz .LBB365_2
; %bb.1:
	s_wait_loadcnt_dscnt 0x0
	v_cmp_neq_f64_e32 vcc_lo, 1.0, v[6:7]
	v_cmp_neq_f64_e64 s2, 0, v[8:9]
	s_or_b32 s2, vcc_lo, s2
	s_delay_alu instid0(SALU_CYCLE_1)
	s_or_not1_b32 s2, s2, exec_lo
.LBB365_2:
	s_or_b32 exec_lo, exec_lo, s3
	s_and_saveexec_b32 s3, s2
	s_cbranch_execz .LBB365_14
; %bb.3:
	s_bfe_u32 s2, ttmp6, 0x4000c
	s_load_b64 s[14:15], s[0:1], 0x0
	s_add_co_i32 s2, s2, 1
	s_and_b32 s3, ttmp6, 15
	s_mul_i32 s2, ttmp9, s2
	s_getreg_b32 s4, hwreg(HW_REG_IB_STS2, 6, 4)
	s_add_co_i32 s3, s3, s2
	s_cmp_eq_u32 s4, 0
	s_mov_b32 s20, 0
	s_cselect_b32 s2, ttmp9, s3
	s_delay_alu instid0(SALU_CYCLE_1) | instskip(NEXT) | instid1(VALU_DEP_1)
	v_lshl_or_b32 v1, s2, 8, v0
	v_lshrrev_b32_e32 v14, 3, v1
	s_wait_kmcnt 0x0
	s_delay_alu instid0(VALU_DEP_1)
	v_cmp_gt_i32_e32 vcc_lo, s15, v14
	s_and_b32 exec_lo, exec_lo, vcc_lo
	s_cbranch_execz .LBB365_14
; %bb.4:
	v_mbcnt_lo_u32_b32 v1, -1, 0
	s_wait_loadcnt_dscnt 0x0
	v_cmp_neq_f64_e64 s2, 0, v[6:7]
	v_cmp_neq_f64_e64 s3, 0, v[8:9]
	s_clause 0x2
	s_load_b32 s13, s[0:1], 0x60
	s_load_b64 s[16:17], s[0:1], 0x50
	s_load_b64 s[18:19], s[0:1], 0x38
	v_xor_b32_e32 v12, 1, v1
	v_xor_b32_e32 v11, 2, v1
	;; [unrolled: 1-line block ×3, first 2 shown]
	s_load_b256 s[4:11], s[0:1], 0x18
	s_delay_alu instid0(VALU_DEP_1) | instskip(SKIP_2) | instid1(VALU_DEP_2)
	v_cmp_gt_i32_e32 vcc_lo, 32, v10
	v_dual_cndmask_b32 v10, v1, v10, vcc_lo :: v_dual_bitop2_b32 v0, 7, v0 bitop3:0x40
	v_cmp_gt_i32_e32 vcc_lo, 32, v11
	v_subrev_nc_u32_e32 v18, s12, v0
	s_delay_alu instid0(VALU_DEP_3)
	v_dual_lshlrev_b32 v19, 2, v10 :: v_dual_cndmask_b32 v11, v1, v11, vcc_lo
	v_cmp_gt_i32_e32 vcc_lo, 32, v12
	s_wait_kmcnt 0x0
	s_lshl_b32 s1, s13, 5
	s_bitcmp1_b32 s14, 0
	s_cselect_b32 s14, -1, 0
	v_cndmask_b32_e32 v1, v1, v12, vcc_lo
	s_ashr_i32 s13, s12, 31
	v_lshlrev_b32_e32 v20, 2, v11
	s_lshl_b64 s[22:23], s[12:13], 4
	v_cmp_eq_u32_e32 vcc_lo, 7, v0
	v_lshlrev_b32_e32 v21, 2, v1
	s_sub_nc_u64 s[18:19], s[18:19], s[22:23]
	s_or_b32 s2, s2, s3
	s_branch .LBB365_7
.LBB365_5:                              ;   in Loop: Header=BB365_7 Depth=1
	s_wait_xcnt 0x0
	s_or_b32 exec_lo, exec_lo, s3
	global_store_b128 v[0:1], v[10:13], off
.LBB365_6:                              ;   in Loop: Header=BB365_7 Depth=1
	s_wait_xcnt 0x0
	s_or_b32 exec_lo, exec_lo, s0
	v_add_nc_u32_e32 v14, s1, v14
	s_delay_alu instid0(VALU_DEP_1) | instskip(SKIP_1) | instid1(SALU_CYCLE_1)
	v_cmp_le_i32_e64 s0, s15, v14
	s_or_b32 s20, s0, s20
	s_and_not1_b32 exec_lo, exec_lo, s20
	s_cbranch_execz .LBB365_14
.LBB365_7:                              ; =>This Loop Header: Depth=1
                                        ;     Child Loop BB365_9 Depth 2
	s_clause 0x1
	global_load_b32 v0, v14, s[6:7] scale_offset
	global_load_b32 v1, v14, s[4:5] scale_offset
	s_wait_dscnt 0x2
	v_mov_b64_e32 v[10:11], 0
	s_mov_b32 s3, exec_lo
	s_wait_loadcnt 0x1
	v_subrev_nc_u32_e32 v12, s12, v0
	s_wait_loadcnt 0x0
	v_add_nc_u32_e32 v13, v1, v18
	v_mov_b64_e32 v[0:1], 0
	s_wait_xcnt 0x0
	s_delay_alu instid0(VALU_DEP_2)
	v_cmpx_lt_i32_e64 v13, v12
	s_cbranch_execz .LBB365_11
; %bb.8:                                ;   in Loop: Header=BB365_7 Depth=1
	v_mov_b64_e32 v[0:1], 0
	v_mov_b64_e32 v[10:11], 0
	s_mov_b32 s13, 0
.LBB365_9:                              ;   Parent Loop BB365_7 Depth=1
                                        ; =>  This Inner Loop Header: Depth=2
	global_load_b32 v15, v13, s[8:9] scale_offset
	s_wait_dscnt 0x0
	global_load_b64 v[16:17], v13, s[10:11] scale_offset
	s_wait_xcnt 0x0
	v_add_nc_u32_e32 v13, 8, v13
	s_delay_alu instid0(VALU_DEP_1)
	v_cmp_ge_i32_e64 s0, v13, v12
	s_or_b32 s13, s0, s13
	s_wait_loadcnt 0x1
	global_load_b128 v[22:25], v15, s[18:19] scale_offset
	s_wait_loadcnt 0x1
	s_wait_xcnt 0x0
	v_cndmask_b32_e64 v15, v17, -v17, s14
	v_cvt_f64_f32_e32 v[16:17], v16
	s_delay_alu instid0(VALU_DEP_2) | instskip(NEXT) | instid1(VALU_DEP_1)
	v_cvt_f64_f32_e32 v[26:27], v15
	v_mul_f64_e64 v[28:29], -v[4:5], v[26:27]
	v_mul_f64_e32 v[26:27], v[2:3], v[26:27]
	s_delay_alu instid0(VALU_DEP_2) | instskip(NEXT) | instid1(VALU_DEP_2)
	v_fmac_f64_e32 v[28:29], v[2:3], v[16:17]
	v_fmac_f64_e32 v[26:27], v[4:5], v[16:17]
	s_wait_loadcnt 0x0
	s_delay_alu instid0(VALU_DEP_2) | instskip(NEXT) | instid1(VALU_DEP_2)
	v_fmac_f64_e32 v[10:11], v[28:29], v[22:23]
	v_fmac_f64_e32 v[0:1], v[26:27], v[22:23]
	s_delay_alu instid0(VALU_DEP_2) | instskip(NEXT) | instid1(VALU_DEP_2)
	v_fma_f64 v[10:11], -v[26:27], v[24:25], v[10:11]
	v_fmac_f64_e32 v[0:1], v[28:29], v[24:25]
	s_and_not1_b32 exec_lo, exec_lo, s13
	s_cbranch_execnz .LBB365_9
; %bb.10:                               ;   in Loop: Header=BB365_7 Depth=1
	s_or_b32 exec_lo, exec_lo, s13
.LBB365_11:                             ;   in Loop: Header=BB365_7 Depth=1
	s_delay_alu instid0(SALU_CYCLE_1)
	s_or_b32 exec_lo, exec_lo, s3
	ds_bpermute_b32 v12, v19, v10
	ds_bpermute_b32 v13, v19, v11
	s_wait_dscnt 0x3
	ds_bpermute_b32 v16, v19, v0
	s_wait_dscnt 0x3
	;; [unrolled: 2-line block ×3, first 2 shown]
	v_dual_add_f64 v[10:11], v[10:11], v[12:13] :: v_dual_ashrrev_i32 v15, 31, v14
	s_wait_dscnt 0x0
	v_add_f64_e32 v[12:13], v[0:1], v[16:17]
	ds_bpermute_b32 v0, v20, v10
	ds_bpermute_b32 v1, v20, v11
	;; [unrolled: 1-line block ×4, first 2 shown]
	s_wait_dscnt 0x2
	v_add_f64_e32 v[0:1], v[10:11], v[0:1]
	s_wait_dscnt 0x0
	v_add_f64_e32 v[12:13], v[12:13], v[16:17]
	ds_bpermute_b32 v10, v21, v0
	ds_bpermute_b32 v11, v21, v1
	;; [unrolled: 1-line block ×4, first 2 shown]
	s_and_saveexec_b32 s0, vcc_lo
	s_cbranch_execz .LBB365_6
; %bb.12:                               ;   in Loop: Header=BB365_7 Depth=1
	s_wait_dscnt 0x2
	v_add_f64_e32 v[10:11], v[0:1], v[10:11]
	s_wait_dscnt 0x0
	v_add_f64_e32 v[12:13], v[12:13], v[16:17]
	v_lshl_add_u64 v[0:1], v[14:15], 4, s[16:17]
	s_and_saveexec_b32 s3, s2
	s_cbranch_execz .LBB365_5
; %bb.13:                               ;   in Loop: Header=BB365_7 Depth=1
	global_load_b128 v[22:25], v[0:1], off
	s_wait_loadcnt 0x0
	v_fmac_f64_e32 v[10:11], v[6:7], v[22:23]
	v_fmac_f64_e32 v[12:13], v[8:9], v[22:23]
	s_delay_alu instid0(VALU_DEP_2) | instskip(NEXT) | instid1(VALU_DEP_2)
	v_fma_f64 v[10:11], -v[8:9], v[24:25], v[10:11]
	v_fmac_f64_e32 v[12:13], v[6:7], v[24:25]
	s_branch .LBB365_5
.LBB365_14:
	s_endpgm
	.section	.rodata,"a",@progbits
	.p2align	6, 0x0
	.amdhsa_kernel _ZN9rocsparseL21csrmvn_general_kernelILj256ELj8Eii21rocsparse_complex_numIfES1_IdES3_S3_EEvbT2_NS_24const_host_device_scalarIT6_EEPKT1_SA_PKS4_PKT3_PKT4_S7_PT5_21rocsparse_index_base_b
		.amdhsa_group_segment_fixed_size 0
		.amdhsa_private_segment_fixed_size 0
		.amdhsa_kernarg_size 352
		.amdhsa_user_sgpr_count 2
		.amdhsa_user_sgpr_dispatch_ptr 0
		.amdhsa_user_sgpr_queue_ptr 0
		.amdhsa_user_sgpr_kernarg_segment_ptr 1
		.amdhsa_user_sgpr_dispatch_id 0
		.amdhsa_user_sgpr_kernarg_preload_length 0
		.amdhsa_user_sgpr_kernarg_preload_offset 0
		.amdhsa_user_sgpr_private_segment_size 0
		.amdhsa_wavefront_size32 1
		.amdhsa_uses_dynamic_stack 0
		.amdhsa_enable_private_segment 0
		.amdhsa_system_sgpr_workgroup_id_x 1
		.amdhsa_system_sgpr_workgroup_id_y 0
		.amdhsa_system_sgpr_workgroup_id_z 0
		.amdhsa_system_sgpr_workgroup_info 0
		.amdhsa_system_vgpr_workitem_id 0
		.amdhsa_next_free_vgpr 30
		.amdhsa_next_free_sgpr 24
		.amdhsa_named_barrier_count 0
		.amdhsa_reserve_vcc 1
		.amdhsa_float_round_mode_32 0
		.amdhsa_float_round_mode_16_64 0
		.amdhsa_float_denorm_mode_32 3
		.amdhsa_float_denorm_mode_16_64 3
		.amdhsa_fp16_overflow 0
		.amdhsa_memory_ordered 1
		.amdhsa_forward_progress 1
		.amdhsa_inst_pref_size 8
		.amdhsa_round_robin_scheduling 0
		.amdhsa_exception_fp_ieee_invalid_op 0
		.amdhsa_exception_fp_denorm_src 0
		.amdhsa_exception_fp_ieee_div_zero 0
		.amdhsa_exception_fp_ieee_overflow 0
		.amdhsa_exception_fp_ieee_underflow 0
		.amdhsa_exception_fp_ieee_inexact 0
		.amdhsa_exception_int_div_zero 0
	.end_amdhsa_kernel
	.section	.text._ZN9rocsparseL21csrmvn_general_kernelILj256ELj8Eii21rocsparse_complex_numIfES1_IdES3_S3_EEvbT2_NS_24const_host_device_scalarIT6_EEPKT1_SA_PKS4_PKT3_PKT4_S7_PT5_21rocsparse_index_base_b,"axG",@progbits,_ZN9rocsparseL21csrmvn_general_kernelILj256ELj8Eii21rocsparse_complex_numIfES1_IdES3_S3_EEvbT2_NS_24const_host_device_scalarIT6_EEPKT1_SA_PKS4_PKT3_PKT4_S7_PT5_21rocsparse_index_base_b,comdat
.Lfunc_end365:
	.size	_ZN9rocsparseL21csrmvn_general_kernelILj256ELj8Eii21rocsparse_complex_numIfES1_IdES3_S3_EEvbT2_NS_24const_host_device_scalarIT6_EEPKT1_SA_PKS4_PKT3_PKT4_S7_PT5_21rocsparse_index_base_b, .Lfunc_end365-_ZN9rocsparseL21csrmvn_general_kernelILj256ELj8Eii21rocsparse_complex_numIfES1_IdES3_S3_EEvbT2_NS_24const_host_device_scalarIT6_EEPKT1_SA_PKS4_PKT3_PKT4_S7_PT5_21rocsparse_index_base_b
                                        ; -- End function
	.set _ZN9rocsparseL21csrmvn_general_kernelILj256ELj8Eii21rocsparse_complex_numIfES1_IdES3_S3_EEvbT2_NS_24const_host_device_scalarIT6_EEPKT1_SA_PKS4_PKT3_PKT4_S7_PT5_21rocsparse_index_base_b.num_vgpr, 30
	.set _ZN9rocsparseL21csrmvn_general_kernelILj256ELj8Eii21rocsparse_complex_numIfES1_IdES3_S3_EEvbT2_NS_24const_host_device_scalarIT6_EEPKT1_SA_PKS4_PKT3_PKT4_S7_PT5_21rocsparse_index_base_b.num_agpr, 0
	.set _ZN9rocsparseL21csrmvn_general_kernelILj256ELj8Eii21rocsparse_complex_numIfES1_IdES3_S3_EEvbT2_NS_24const_host_device_scalarIT6_EEPKT1_SA_PKS4_PKT3_PKT4_S7_PT5_21rocsparse_index_base_b.numbered_sgpr, 24
	.set _ZN9rocsparseL21csrmvn_general_kernelILj256ELj8Eii21rocsparse_complex_numIfES1_IdES3_S3_EEvbT2_NS_24const_host_device_scalarIT6_EEPKT1_SA_PKS4_PKT3_PKT4_S7_PT5_21rocsparse_index_base_b.num_named_barrier, 0
	.set _ZN9rocsparseL21csrmvn_general_kernelILj256ELj8Eii21rocsparse_complex_numIfES1_IdES3_S3_EEvbT2_NS_24const_host_device_scalarIT6_EEPKT1_SA_PKS4_PKT3_PKT4_S7_PT5_21rocsparse_index_base_b.private_seg_size, 0
	.set _ZN9rocsparseL21csrmvn_general_kernelILj256ELj8Eii21rocsparse_complex_numIfES1_IdES3_S3_EEvbT2_NS_24const_host_device_scalarIT6_EEPKT1_SA_PKS4_PKT3_PKT4_S7_PT5_21rocsparse_index_base_b.uses_vcc, 1
	.set _ZN9rocsparseL21csrmvn_general_kernelILj256ELj8Eii21rocsparse_complex_numIfES1_IdES3_S3_EEvbT2_NS_24const_host_device_scalarIT6_EEPKT1_SA_PKS4_PKT3_PKT4_S7_PT5_21rocsparse_index_base_b.uses_flat_scratch, 0
	.set _ZN9rocsparseL21csrmvn_general_kernelILj256ELj8Eii21rocsparse_complex_numIfES1_IdES3_S3_EEvbT2_NS_24const_host_device_scalarIT6_EEPKT1_SA_PKS4_PKT3_PKT4_S7_PT5_21rocsparse_index_base_b.has_dyn_sized_stack, 0
	.set _ZN9rocsparseL21csrmvn_general_kernelILj256ELj8Eii21rocsparse_complex_numIfES1_IdES3_S3_EEvbT2_NS_24const_host_device_scalarIT6_EEPKT1_SA_PKS4_PKT3_PKT4_S7_PT5_21rocsparse_index_base_b.has_recursion, 0
	.set _ZN9rocsparseL21csrmvn_general_kernelILj256ELj8Eii21rocsparse_complex_numIfES1_IdES3_S3_EEvbT2_NS_24const_host_device_scalarIT6_EEPKT1_SA_PKS4_PKT3_PKT4_S7_PT5_21rocsparse_index_base_b.has_indirect_call, 0
	.section	.AMDGPU.csdata,"",@progbits
; Kernel info:
; codeLenInByte = 984
; TotalNumSgprs: 26
; NumVgprs: 30
; ScratchSize: 0
; MemoryBound: 0
; FloatMode: 240
; IeeeMode: 1
; LDSByteSize: 0 bytes/workgroup (compile time only)
; SGPRBlocks: 0
; VGPRBlocks: 1
; NumSGPRsForWavesPerEU: 26
; NumVGPRsForWavesPerEU: 30
; NamedBarCnt: 0
; Occupancy: 16
; WaveLimiterHint : 1
; COMPUTE_PGM_RSRC2:SCRATCH_EN: 0
; COMPUTE_PGM_RSRC2:USER_SGPR: 2
; COMPUTE_PGM_RSRC2:TRAP_HANDLER: 0
; COMPUTE_PGM_RSRC2:TGID_X_EN: 1
; COMPUTE_PGM_RSRC2:TGID_Y_EN: 0
; COMPUTE_PGM_RSRC2:TGID_Z_EN: 0
; COMPUTE_PGM_RSRC2:TIDIG_COMP_CNT: 0
	.section	.text._ZN9rocsparseL21csrmvn_general_kernelILj256ELj16Eii21rocsparse_complex_numIfES1_IdES3_S3_EEvbT2_NS_24const_host_device_scalarIT6_EEPKT1_SA_PKS4_PKT3_PKT4_S7_PT5_21rocsparse_index_base_b,"axG",@progbits,_ZN9rocsparseL21csrmvn_general_kernelILj256ELj16Eii21rocsparse_complex_numIfES1_IdES3_S3_EEvbT2_NS_24const_host_device_scalarIT6_EEPKT1_SA_PKS4_PKT3_PKT4_S7_PT5_21rocsparse_index_base_b,comdat
	.globl	_ZN9rocsparseL21csrmvn_general_kernelILj256ELj16Eii21rocsparse_complex_numIfES1_IdES3_S3_EEvbT2_NS_24const_host_device_scalarIT6_EEPKT1_SA_PKS4_PKT3_PKT4_S7_PT5_21rocsparse_index_base_b ; -- Begin function _ZN9rocsparseL21csrmvn_general_kernelILj256ELj16Eii21rocsparse_complex_numIfES1_IdES3_S3_EEvbT2_NS_24const_host_device_scalarIT6_EEPKT1_SA_PKS4_PKT3_PKT4_S7_PT5_21rocsparse_index_base_b
	.p2align	8
	.type	_ZN9rocsparseL21csrmvn_general_kernelILj256ELj16Eii21rocsparse_complex_numIfES1_IdES3_S3_EEvbT2_NS_24const_host_device_scalarIT6_EEPKT1_SA_PKS4_PKT3_PKT4_S7_PT5_21rocsparse_index_base_b,@function
_ZN9rocsparseL21csrmvn_general_kernelILj256ELj16Eii21rocsparse_complex_numIfES1_IdES3_S3_EEvbT2_NS_24const_host_device_scalarIT6_EEPKT1_SA_PKS4_PKT3_PKT4_S7_PT5_21rocsparse_index_base_b: ; @_ZN9rocsparseL21csrmvn_general_kernelILj256ELj16Eii21rocsparse_complex_numIfES1_IdES3_S3_EEvbT2_NS_24const_host_device_scalarIT6_EEPKT1_SA_PKS4_PKT3_PKT4_S7_PT5_21rocsparse_index_base_b
; %bb.0:
	s_clause 0x1
	s_load_b64 s[12:13], s[0:1], 0x58
	s_load_b64 s[2:3], s[0:1], 0x8
	v_mov_b32_e32 v1, 0
	s_add_nc_u64 s[4:5], s[0:1], 8
	s_load_b64 s[6:7], s[0:1], 0x40
	s_wait_kmcnt 0x0
	s_bitcmp1_b32 s13, 0
	s_cselect_b32 s3, s5, s3
	s_cselect_b32 s2, s4, s2
	flat_load_b128 v[2:5], v1, s[2:3]
	s_wait_xcnt 0x0
	s_add_nc_u64 s[2:3], s[0:1], 64
	s_delay_alu instid0(SALU_CYCLE_1)
	s_cselect_b32 s3, s3, s7
	s_cselect_b32 s2, s2, s6
	flat_load_b128 v[6:9], v1, s[2:3]
	s_wait_loadcnt_dscnt 0x101
	v_cmp_eq_f64_e32 vcc_lo, 0, v[2:3]
	s_wait_xcnt 0x0
	v_cmp_eq_f64_e64 s2, 0, v[4:5]
	s_and_b32 s4, vcc_lo, s2
	s_mov_b32 s2, -1
	s_and_saveexec_b32 s3, s4
	s_cbranch_execz .LBB366_2
; %bb.1:
	s_wait_loadcnt_dscnt 0x0
	v_cmp_neq_f64_e32 vcc_lo, 1.0, v[6:7]
	v_cmp_neq_f64_e64 s2, 0, v[8:9]
	s_or_b32 s2, vcc_lo, s2
	s_delay_alu instid0(SALU_CYCLE_1)
	s_or_not1_b32 s2, s2, exec_lo
.LBB366_2:
	s_or_b32 exec_lo, exec_lo, s3
	s_and_saveexec_b32 s3, s2
	s_cbranch_execz .LBB366_14
; %bb.3:
	s_bfe_u32 s2, ttmp6, 0x4000c
	s_load_b64 s[14:15], s[0:1], 0x0
	s_add_co_i32 s2, s2, 1
	s_and_b32 s3, ttmp6, 15
	s_mul_i32 s2, ttmp9, s2
	s_getreg_b32 s4, hwreg(HW_REG_IB_STS2, 6, 4)
	s_add_co_i32 s3, s3, s2
	s_cmp_eq_u32 s4, 0
	s_mov_b32 s20, 0
	s_cselect_b32 s2, ttmp9, s3
	s_delay_alu instid0(SALU_CYCLE_1) | instskip(NEXT) | instid1(VALU_DEP_1)
	v_lshl_or_b32 v1, s2, 8, v0
	v_lshrrev_b32_e32 v14, 4, v1
	s_wait_kmcnt 0x0
	s_delay_alu instid0(VALU_DEP_1)
	v_cmp_gt_i32_e32 vcc_lo, s15, v14
	s_and_b32 exec_lo, exec_lo, vcc_lo
	s_cbranch_execz .LBB366_14
; %bb.4:
	v_mbcnt_lo_u32_b32 v1, -1, 0
	s_wait_loadcnt_dscnt 0x0
	v_cmp_neq_f64_e64 s2, 0, v[6:7]
	v_cmp_neq_f64_e64 s3, 0, v[8:9]
	s_clause 0x3
	s_load_b32 s13, s[0:1], 0x60
	s_load_b256 s[4:11], s[0:1], 0x18
	s_load_b64 s[16:17], s[0:1], 0x50
	s_load_b64 s[18:19], s[0:1], 0x38
	v_xor_b32_e32 v12, 2, v1
	v_xor_b32_e32 v11, 4, v1
	;; [unrolled: 1-line block ×3, first 2 shown]
	s_delay_alu instid0(VALU_DEP_1) | instskip(SKIP_1) | instid1(VALU_DEP_4)
	v_cmp_gt_i32_e32 vcc_lo, 32, v10
	v_dual_cndmask_b32 v10, v1, v10, vcc_lo :: v_dual_bitop2_b32 v0, 15, v0 bitop3:0x40
	v_cmp_gt_i32_e32 vcc_lo, 32, v11
	s_delay_alu instid0(VALU_DEP_2) | instskip(NEXT) | instid1(VALU_DEP_3)
	v_subrev_nc_u32_e32 v18, s12, v0
	v_dual_lshlrev_b32 v19, 2, v10 :: v_dual_cndmask_b32 v11, v1, v11, vcc_lo
	v_xor_b32_e32 v13, 1, v1
	v_cmp_gt_i32_e32 vcc_lo, 32, v12
	s_wait_kmcnt 0x0
	s_lshl_b32 s1, s13, 4
	s_bitcmp1_b32 s14, 0
	v_lshlrev_b32_e32 v20, 2, v11
	s_cselect_b32 s14, -1, 0
	v_cndmask_b32_e32 v12, v1, v12, vcc_lo
	v_cmp_gt_i32_e32 vcc_lo, 32, v13
	s_ashr_i32 s13, s12, 31
	s_delay_alu instid0(SALU_CYCLE_1) | instskip(NEXT) | instid1(VALU_DEP_2)
	s_lshl_b64 s[22:23], s[12:13], 4
	v_dual_lshlrev_b32 v21, 2, v12 :: v_dual_cndmask_b32 v1, v1, v13, vcc_lo
	s_sub_nc_u64 s[18:19], s[18:19], s[22:23]
	s_or_b32 s2, s2, s3
	v_cmp_eq_u32_e32 vcc_lo, 15, v0
	s_delay_alu instid0(VALU_DEP_2)
	v_lshlrev_b32_e32 v22, 2, v1
	s_branch .LBB366_7
.LBB366_5:                              ;   in Loop: Header=BB366_7 Depth=1
	s_wait_xcnt 0x0
	s_or_b32 exec_lo, exec_lo, s3
	global_store_b128 v[0:1], v[10:13], off
.LBB366_6:                              ;   in Loop: Header=BB366_7 Depth=1
	s_wait_xcnt 0x0
	s_or_b32 exec_lo, exec_lo, s0
	v_add_nc_u32_e32 v14, s1, v14
	s_delay_alu instid0(VALU_DEP_1) | instskip(SKIP_1) | instid1(SALU_CYCLE_1)
	v_cmp_le_i32_e64 s0, s15, v14
	s_or_b32 s20, s0, s20
	s_and_not1_b32 exec_lo, exec_lo, s20
	s_cbranch_execz .LBB366_14
.LBB366_7:                              ; =>This Loop Header: Depth=1
                                        ;     Child Loop BB366_9 Depth 2
	s_clause 0x1
	global_load_b32 v0, v14, s[6:7] scale_offset
	global_load_b32 v1, v14, s[4:5] scale_offset
	s_wait_dscnt 0x2
	v_mov_b64_e32 v[10:11], 0
	s_mov_b32 s3, exec_lo
	s_wait_loadcnt 0x1
	v_subrev_nc_u32_e32 v12, s12, v0
	s_wait_loadcnt 0x0
	v_add_nc_u32_e32 v13, v1, v18
	v_mov_b64_e32 v[0:1], 0
	s_wait_xcnt 0x0
	s_delay_alu instid0(VALU_DEP_2)
	v_cmpx_lt_i32_e64 v13, v12
	s_cbranch_execz .LBB366_11
; %bb.8:                                ;   in Loop: Header=BB366_7 Depth=1
	v_mov_b64_e32 v[0:1], 0
	v_mov_b64_e32 v[10:11], 0
	s_mov_b32 s13, 0
.LBB366_9:                              ;   Parent Loop BB366_7 Depth=1
                                        ; =>  This Inner Loop Header: Depth=2
	global_load_b32 v15, v13, s[8:9] scale_offset
	s_wait_dscnt 0x0
	global_load_b64 v[16:17], v13, s[10:11] scale_offset
	s_wait_xcnt 0x0
	v_add_nc_u32_e32 v13, 16, v13
	s_delay_alu instid0(VALU_DEP_1)
	v_cmp_ge_i32_e64 s0, v13, v12
	s_or_b32 s13, s0, s13
	s_wait_loadcnt 0x1
	global_load_b128 v[24:27], v15, s[18:19] scale_offset
	s_wait_loadcnt 0x1
	s_wait_xcnt 0x0
	v_cndmask_b32_e64 v15, v17, -v17, s14
	v_cvt_f64_f32_e32 v[16:17], v16
	s_delay_alu instid0(VALU_DEP_2) | instskip(NEXT) | instid1(VALU_DEP_1)
	v_cvt_f64_f32_e32 v[28:29], v15
	v_mul_f64_e64 v[30:31], -v[4:5], v[28:29]
	v_mul_f64_e32 v[28:29], v[2:3], v[28:29]
	s_delay_alu instid0(VALU_DEP_2) | instskip(NEXT) | instid1(VALU_DEP_2)
	v_fmac_f64_e32 v[30:31], v[2:3], v[16:17]
	v_fmac_f64_e32 v[28:29], v[4:5], v[16:17]
	s_wait_loadcnt 0x0
	s_delay_alu instid0(VALU_DEP_2) | instskip(NEXT) | instid1(VALU_DEP_2)
	v_fmac_f64_e32 v[10:11], v[30:31], v[24:25]
	v_fmac_f64_e32 v[0:1], v[28:29], v[24:25]
	s_delay_alu instid0(VALU_DEP_2) | instskip(NEXT) | instid1(VALU_DEP_2)
	v_fma_f64 v[10:11], -v[28:29], v[26:27], v[10:11]
	v_fmac_f64_e32 v[0:1], v[30:31], v[26:27]
	s_and_not1_b32 exec_lo, exec_lo, s13
	s_cbranch_execnz .LBB366_9
; %bb.10:                               ;   in Loop: Header=BB366_7 Depth=1
	s_or_b32 exec_lo, exec_lo, s13
.LBB366_11:                             ;   in Loop: Header=BB366_7 Depth=1
	s_delay_alu instid0(SALU_CYCLE_1)
	s_or_b32 exec_lo, exec_lo, s3
	ds_bpermute_b32 v12, v19, v10
	ds_bpermute_b32 v13, v19, v11
	s_wait_dscnt 0x3
	ds_bpermute_b32 v16, v19, v0
	s_wait_dscnt 0x3
	ds_bpermute_b32 v17, v19, v1
	s_wait_dscnt 0x2
	v_dual_add_f64 v[10:11], v[10:11], v[12:13] :: v_dual_ashrrev_i32 v15, 31, v14
	s_wait_dscnt 0x0
	v_add_f64_e32 v[0:1], v[0:1], v[16:17]
	ds_bpermute_b32 v12, v20, v10
	ds_bpermute_b32 v13, v20, v11
	;; [unrolled: 1-line block ×4, first 2 shown]
	s_wait_dscnt 0x2
	v_add_f64_e32 v[10:11], v[10:11], v[12:13]
	s_wait_dscnt 0x0
	v_add_f64_e32 v[12:13], v[0:1], v[16:17]
	ds_bpermute_b32 v0, v21, v10
	ds_bpermute_b32 v1, v21, v11
	;; [unrolled: 1-line block ×4, first 2 shown]
	s_wait_dscnt 0x2
	v_add_f64_e32 v[0:1], v[10:11], v[0:1]
	s_wait_dscnt 0x0
	v_add_f64_e32 v[12:13], v[12:13], v[16:17]
	ds_bpermute_b32 v10, v22, v0
	ds_bpermute_b32 v11, v22, v1
	;; [unrolled: 1-line block ×4, first 2 shown]
	s_and_saveexec_b32 s0, vcc_lo
	s_cbranch_execz .LBB366_6
; %bb.12:                               ;   in Loop: Header=BB366_7 Depth=1
	s_wait_dscnt 0x2
	v_add_f64_e32 v[10:11], v[0:1], v[10:11]
	s_wait_dscnt 0x0
	v_add_f64_e32 v[12:13], v[12:13], v[16:17]
	v_lshl_add_u64 v[0:1], v[14:15], 4, s[16:17]
	s_and_saveexec_b32 s3, s2
	s_cbranch_execz .LBB366_5
; %bb.13:                               ;   in Loop: Header=BB366_7 Depth=1
	global_load_b128 v[24:27], v[0:1], off
	s_wait_loadcnt 0x0
	v_fmac_f64_e32 v[10:11], v[6:7], v[24:25]
	v_fmac_f64_e32 v[12:13], v[8:9], v[24:25]
	s_delay_alu instid0(VALU_DEP_2) | instskip(NEXT) | instid1(VALU_DEP_2)
	v_fma_f64 v[10:11], -v[8:9], v[26:27], v[10:11]
	v_fmac_f64_e32 v[12:13], v[6:7], v[26:27]
	s_branch .LBB366_5
.LBB366_14:
	s_endpgm
	.section	.rodata,"a",@progbits
	.p2align	6, 0x0
	.amdhsa_kernel _ZN9rocsparseL21csrmvn_general_kernelILj256ELj16Eii21rocsparse_complex_numIfES1_IdES3_S3_EEvbT2_NS_24const_host_device_scalarIT6_EEPKT1_SA_PKS4_PKT3_PKT4_S7_PT5_21rocsparse_index_base_b
		.amdhsa_group_segment_fixed_size 0
		.amdhsa_private_segment_fixed_size 0
		.amdhsa_kernarg_size 352
		.amdhsa_user_sgpr_count 2
		.amdhsa_user_sgpr_dispatch_ptr 0
		.amdhsa_user_sgpr_queue_ptr 0
		.amdhsa_user_sgpr_kernarg_segment_ptr 1
		.amdhsa_user_sgpr_dispatch_id 0
		.amdhsa_user_sgpr_kernarg_preload_length 0
		.amdhsa_user_sgpr_kernarg_preload_offset 0
		.amdhsa_user_sgpr_private_segment_size 0
		.amdhsa_wavefront_size32 1
		.amdhsa_uses_dynamic_stack 0
		.amdhsa_enable_private_segment 0
		.amdhsa_system_sgpr_workgroup_id_x 1
		.amdhsa_system_sgpr_workgroup_id_y 0
		.amdhsa_system_sgpr_workgroup_id_z 0
		.amdhsa_system_sgpr_workgroup_info 0
		.amdhsa_system_vgpr_workitem_id 0
		.amdhsa_next_free_vgpr 32
		.amdhsa_next_free_sgpr 24
		.amdhsa_named_barrier_count 0
		.amdhsa_reserve_vcc 1
		.amdhsa_float_round_mode_32 0
		.amdhsa_float_round_mode_16_64 0
		.amdhsa_float_denorm_mode_32 3
		.amdhsa_float_denorm_mode_16_64 3
		.amdhsa_fp16_overflow 0
		.amdhsa_memory_ordered 1
		.amdhsa_forward_progress 1
		.amdhsa_inst_pref_size 9
		.amdhsa_round_robin_scheduling 0
		.amdhsa_exception_fp_ieee_invalid_op 0
		.amdhsa_exception_fp_denorm_src 0
		.amdhsa_exception_fp_ieee_div_zero 0
		.amdhsa_exception_fp_ieee_overflow 0
		.amdhsa_exception_fp_ieee_underflow 0
		.amdhsa_exception_fp_ieee_inexact 0
		.amdhsa_exception_int_div_zero 0
	.end_amdhsa_kernel
	.section	.text._ZN9rocsparseL21csrmvn_general_kernelILj256ELj16Eii21rocsparse_complex_numIfES1_IdES3_S3_EEvbT2_NS_24const_host_device_scalarIT6_EEPKT1_SA_PKS4_PKT3_PKT4_S7_PT5_21rocsparse_index_base_b,"axG",@progbits,_ZN9rocsparseL21csrmvn_general_kernelILj256ELj16Eii21rocsparse_complex_numIfES1_IdES3_S3_EEvbT2_NS_24const_host_device_scalarIT6_EEPKT1_SA_PKS4_PKT3_PKT4_S7_PT5_21rocsparse_index_base_b,comdat
.Lfunc_end366:
	.size	_ZN9rocsparseL21csrmvn_general_kernelILj256ELj16Eii21rocsparse_complex_numIfES1_IdES3_S3_EEvbT2_NS_24const_host_device_scalarIT6_EEPKT1_SA_PKS4_PKT3_PKT4_S7_PT5_21rocsparse_index_base_b, .Lfunc_end366-_ZN9rocsparseL21csrmvn_general_kernelILj256ELj16Eii21rocsparse_complex_numIfES1_IdES3_S3_EEvbT2_NS_24const_host_device_scalarIT6_EEPKT1_SA_PKS4_PKT3_PKT4_S7_PT5_21rocsparse_index_base_b
                                        ; -- End function
	.set _ZN9rocsparseL21csrmvn_general_kernelILj256ELj16Eii21rocsparse_complex_numIfES1_IdES3_S3_EEvbT2_NS_24const_host_device_scalarIT6_EEPKT1_SA_PKS4_PKT3_PKT4_S7_PT5_21rocsparse_index_base_b.num_vgpr, 32
	.set _ZN9rocsparseL21csrmvn_general_kernelILj256ELj16Eii21rocsparse_complex_numIfES1_IdES3_S3_EEvbT2_NS_24const_host_device_scalarIT6_EEPKT1_SA_PKS4_PKT3_PKT4_S7_PT5_21rocsparse_index_base_b.num_agpr, 0
	.set _ZN9rocsparseL21csrmvn_general_kernelILj256ELj16Eii21rocsparse_complex_numIfES1_IdES3_S3_EEvbT2_NS_24const_host_device_scalarIT6_EEPKT1_SA_PKS4_PKT3_PKT4_S7_PT5_21rocsparse_index_base_b.numbered_sgpr, 24
	.set _ZN9rocsparseL21csrmvn_general_kernelILj256ELj16Eii21rocsparse_complex_numIfES1_IdES3_S3_EEvbT2_NS_24const_host_device_scalarIT6_EEPKT1_SA_PKS4_PKT3_PKT4_S7_PT5_21rocsparse_index_base_b.num_named_barrier, 0
	.set _ZN9rocsparseL21csrmvn_general_kernelILj256ELj16Eii21rocsparse_complex_numIfES1_IdES3_S3_EEvbT2_NS_24const_host_device_scalarIT6_EEPKT1_SA_PKS4_PKT3_PKT4_S7_PT5_21rocsparse_index_base_b.private_seg_size, 0
	.set _ZN9rocsparseL21csrmvn_general_kernelILj256ELj16Eii21rocsparse_complex_numIfES1_IdES3_S3_EEvbT2_NS_24const_host_device_scalarIT6_EEPKT1_SA_PKS4_PKT3_PKT4_S7_PT5_21rocsparse_index_base_b.uses_vcc, 1
	.set _ZN9rocsparseL21csrmvn_general_kernelILj256ELj16Eii21rocsparse_complex_numIfES1_IdES3_S3_EEvbT2_NS_24const_host_device_scalarIT6_EEPKT1_SA_PKS4_PKT3_PKT4_S7_PT5_21rocsparse_index_base_b.uses_flat_scratch, 0
	.set _ZN9rocsparseL21csrmvn_general_kernelILj256ELj16Eii21rocsparse_complex_numIfES1_IdES3_S3_EEvbT2_NS_24const_host_device_scalarIT6_EEPKT1_SA_PKS4_PKT3_PKT4_S7_PT5_21rocsparse_index_base_b.has_dyn_sized_stack, 0
	.set _ZN9rocsparseL21csrmvn_general_kernelILj256ELj16Eii21rocsparse_complex_numIfES1_IdES3_S3_EEvbT2_NS_24const_host_device_scalarIT6_EEPKT1_SA_PKS4_PKT3_PKT4_S7_PT5_21rocsparse_index_base_b.has_recursion, 0
	.set _ZN9rocsparseL21csrmvn_general_kernelILj256ELj16Eii21rocsparse_complex_numIfES1_IdES3_S3_EEvbT2_NS_24const_host_device_scalarIT6_EEPKT1_SA_PKS4_PKT3_PKT4_S7_PT5_21rocsparse_index_base_b.has_indirect_call, 0
	.section	.AMDGPU.csdata,"",@progbits
; Kernel info:
; codeLenInByte = 1060
; TotalNumSgprs: 26
; NumVgprs: 32
; ScratchSize: 0
; MemoryBound: 0
; FloatMode: 240
; IeeeMode: 1
; LDSByteSize: 0 bytes/workgroup (compile time only)
; SGPRBlocks: 0
; VGPRBlocks: 1
; NumSGPRsForWavesPerEU: 26
; NumVGPRsForWavesPerEU: 32
; NamedBarCnt: 0
; Occupancy: 16
; WaveLimiterHint : 1
; COMPUTE_PGM_RSRC2:SCRATCH_EN: 0
; COMPUTE_PGM_RSRC2:USER_SGPR: 2
; COMPUTE_PGM_RSRC2:TRAP_HANDLER: 0
; COMPUTE_PGM_RSRC2:TGID_X_EN: 1
; COMPUTE_PGM_RSRC2:TGID_Y_EN: 0
; COMPUTE_PGM_RSRC2:TGID_Z_EN: 0
; COMPUTE_PGM_RSRC2:TIDIG_COMP_CNT: 0
	.section	.text._ZN9rocsparseL21csrmvn_general_kernelILj256ELj32Eii21rocsparse_complex_numIfES1_IdES3_S3_EEvbT2_NS_24const_host_device_scalarIT6_EEPKT1_SA_PKS4_PKT3_PKT4_S7_PT5_21rocsparse_index_base_b,"axG",@progbits,_ZN9rocsparseL21csrmvn_general_kernelILj256ELj32Eii21rocsparse_complex_numIfES1_IdES3_S3_EEvbT2_NS_24const_host_device_scalarIT6_EEPKT1_SA_PKS4_PKT3_PKT4_S7_PT5_21rocsparse_index_base_b,comdat
	.globl	_ZN9rocsparseL21csrmvn_general_kernelILj256ELj32Eii21rocsparse_complex_numIfES1_IdES3_S3_EEvbT2_NS_24const_host_device_scalarIT6_EEPKT1_SA_PKS4_PKT3_PKT4_S7_PT5_21rocsparse_index_base_b ; -- Begin function _ZN9rocsparseL21csrmvn_general_kernelILj256ELj32Eii21rocsparse_complex_numIfES1_IdES3_S3_EEvbT2_NS_24const_host_device_scalarIT6_EEPKT1_SA_PKS4_PKT3_PKT4_S7_PT5_21rocsparse_index_base_b
	.p2align	8
	.type	_ZN9rocsparseL21csrmvn_general_kernelILj256ELj32Eii21rocsparse_complex_numIfES1_IdES3_S3_EEvbT2_NS_24const_host_device_scalarIT6_EEPKT1_SA_PKS4_PKT3_PKT4_S7_PT5_21rocsparse_index_base_b,@function
_ZN9rocsparseL21csrmvn_general_kernelILj256ELj32Eii21rocsparse_complex_numIfES1_IdES3_S3_EEvbT2_NS_24const_host_device_scalarIT6_EEPKT1_SA_PKS4_PKT3_PKT4_S7_PT5_21rocsparse_index_base_b: ; @_ZN9rocsparseL21csrmvn_general_kernelILj256ELj32Eii21rocsparse_complex_numIfES1_IdES3_S3_EEvbT2_NS_24const_host_device_scalarIT6_EEPKT1_SA_PKS4_PKT3_PKT4_S7_PT5_21rocsparse_index_base_b
; %bb.0:
	s_clause 0x1
	s_load_b64 s[12:13], s[0:1], 0x58
	s_load_b64 s[2:3], s[0:1], 0x8
	v_mov_b32_e32 v1, 0
	s_add_nc_u64 s[4:5], s[0:1], 8
	s_load_b64 s[6:7], s[0:1], 0x40
	s_wait_kmcnt 0x0
	s_bitcmp1_b32 s13, 0
	s_cselect_b32 s3, s5, s3
	s_cselect_b32 s2, s4, s2
	flat_load_b128 v[2:5], v1, s[2:3]
	s_wait_xcnt 0x0
	s_add_nc_u64 s[2:3], s[0:1], 64
	s_delay_alu instid0(SALU_CYCLE_1)
	s_cselect_b32 s3, s3, s7
	s_cselect_b32 s2, s2, s6
	flat_load_b128 v[6:9], v1, s[2:3]
	s_wait_loadcnt_dscnt 0x101
	v_cmp_eq_f64_e32 vcc_lo, 0, v[2:3]
	s_wait_xcnt 0x0
	v_cmp_eq_f64_e64 s2, 0, v[4:5]
	s_and_b32 s4, vcc_lo, s2
	s_mov_b32 s2, -1
	s_and_saveexec_b32 s3, s4
	s_cbranch_execz .LBB367_2
; %bb.1:
	s_wait_loadcnt_dscnt 0x0
	v_cmp_neq_f64_e32 vcc_lo, 1.0, v[6:7]
	v_cmp_neq_f64_e64 s2, 0, v[8:9]
	s_or_b32 s2, vcc_lo, s2
	s_delay_alu instid0(SALU_CYCLE_1)
	s_or_not1_b32 s2, s2, exec_lo
.LBB367_2:
	s_or_b32 exec_lo, exec_lo, s3
	s_and_saveexec_b32 s3, s2
	s_cbranch_execz .LBB367_14
; %bb.3:
	s_bfe_u32 s2, ttmp6, 0x4000c
	s_load_b64 s[14:15], s[0:1], 0x0
	s_add_co_i32 s2, s2, 1
	s_and_b32 s3, ttmp6, 15
	s_mul_i32 s2, ttmp9, s2
	s_getreg_b32 s4, hwreg(HW_REG_IB_STS2, 6, 4)
	s_add_co_i32 s3, s3, s2
	s_cmp_eq_u32 s4, 0
	s_mov_b32 s20, 0
	s_cselect_b32 s2, ttmp9, s3
	s_delay_alu instid0(SALU_CYCLE_1) | instskip(NEXT) | instid1(VALU_DEP_1)
	v_lshl_or_b32 v1, s2, 8, v0
	v_lshrrev_b32_e32 v14, 5, v1
	s_wait_kmcnt 0x0
	s_delay_alu instid0(VALU_DEP_1)
	v_cmp_gt_i32_e32 vcc_lo, s15, v14
	s_and_b32 exec_lo, exec_lo, vcc_lo
	s_cbranch_execz .LBB367_14
; %bb.4:
	v_mbcnt_lo_u32_b32 v1, -1, 0
	s_wait_loadcnt_dscnt 0x0
	v_cmp_neq_f64_e64 s2, 0, v[6:7]
	v_cmp_neq_f64_e64 s3, 0, v[8:9]
	s_clause 0x3
	s_load_b32 s13, s[0:1], 0x60
	s_load_b256 s[4:11], s[0:1], 0x18
	s_load_b64 s[16:17], s[0:1], 0x50
	s_load_b64 s[18:19], s[0:1], 0x38
	v_xor_b32_e32 v15, 1, v1
	v_xor_b32_e32 v12, 4, v1
	;; [unrolled: 1-line block ×4, first 2 shown]
	s_delay_alu instid0(VALU_DEP_1) | instskip(SKIP_1) | instid1(VALU_DEP_4)
	v_cmp_gt_i32_e32 vcc_lo, 32, v10
	v_dual_cndmask_b32 v10, v1, v10, vcc_lo :: v_dual_bitop2_b32 v0, 31, v0 bitop3:0x40
	v_cmp_gt_i32_e32 vcc_lo, 32, v11
	v_xor_b32_e32 v13, 2, v1
	s_delay_alu instid0(VALU_DEP_3)
	v_subrev_nc_u32_e32 v18, s12, v0
	s_wait_kmcnt 0x0
	s_lshl_b32 s1, s13, 3
	v_dual_lshlrev_b32 v19, 2, v10 :: v_dual_cndmask_b32 v11, v1, v11, vcc_lo
	v_cmp_gt_i32_e32 vcc_lo, 32, v12
	s_bitcmp1_b32 s14, 0
	s_cselect_b32 s14, -1, 0
	s_delay_alu instid0(VALU_DEP_2) | instskip(SKIP_2) | instid1(SALU_CYCLE_1)
	v_dual_lshlrev_b32 v20, 2, v11 :: v_dual_cndmask_b32 v12, v1, v12, vcc_lo
	v_cmp_gt_i32_e32 vcc_lo, 32, v13
	s_ashr_i32 s13, s12, 31
	s_lshl_b64 s[22:23], s[12:13], 4
	s_delay_alu instid0(VALU_DEP_2) | instskip(SKIP_3) | instid1(VALU_DEP_2)
	v_dual_lshlrev_b32 v21, 2, v12 :: v_dual_cndmask_b32 v13, v1, v13, vcc_lo
	v_cmp_gt_i32_e32 vcc_lo, 32, v15
	s_sub_nc_u64 s[18:19], s[18:19], s[22:23]
	s_or_b32 s2, s2, s3
	v_dual_cndmask_b32 v1, v1, v15 :: v_dual_lshlrev_b32 v22, 2, v13
	v_cmp_eq_u32_e32 vcc_lo, 31, v0
	s_delay_alu instid0(VALU_DEP_2)
	v_lshlrev_b32_e32 v23, 2, v1
	s_branch .LBB367_7
.LBB367_5:                              ;   in Loop: Header=BB367_7 Depth=1
	s_wait_xcnt 0x0
	s_or_b32 exec_lo, exec_lo, s3
	global_store_b128 v[0:1], v[10:13], off
.LBB367_6:                              ;   in Loop: Header=BB367_7 Depth=1
	s_wait_xcnt 0x0
	s_or_b32 exec_lo, exec_lo, s0
	v_add_nc_u32_e32 v14, s1, v14
	s_delay_alu instid0(VALU_DEP_1) | instskip(SKIP_1) | instid1(SALU_CYCLE_1)
	v_cmp_le_i32_e64 s0, s15, v14
	s_or_b32 s20, s0, s20
	s_and_not1_b32 exec_lo, exec_lo, s20
	s_cbranch_execz .LBB367_14
.LBB367_7:                              ; =>This Loop Header: Depth=1
                                        ;     Child Loop BB367_9 Depth 2
	s_clause 0x1
	global_load_b32 v0, v14, s[6:7] scale_offset
	global_load_b32 v1, v14, s[4:5] scale_offset
	s_wait_dscnt 0x2
	v_mov_b64_e32 v[10:11], 0
	s_mov_b32 s3, exec_lo
	s_wait_loadcnt 0x1
	v_subrev_nc_u32_e32 v12, s12, v0
	s_wait_loadcnt 0x0
	v_add_nc_u32_e32 v13, v1, v18
	v_mov_b64_e32 v[0:1], 0
	s_wait_xcnt 0x0
	s_delay_alu instid0(VALU_DEP_2)
	v_cmpx_lt_i32_e64 v13, v12
	s_cbranch_execz .LBB367_11
; %bb.8:                                ;   in Loop: Header=BB367_7 Depth=1
	v_mov_b64_e32 v[0:1], 0
	v_mov_b64_e32 v[10:11], 0
	s_mov_b32 s13, 0
.LBB367_9:                              ;   Parent Loop BB367_7 Depth=1
                                        ; =>  This Inner Loop Header: Depth=2
	global_load_b32 v15, v13, s[8:9] scale_offset
	s_wait_dscnt 0x0
	global_load_b64 v[16:17], v13, s[10:11] scale_offset
	s_wait_xcnt 0x0
	v_add_nc_u32_e32 v13, 32, v13
	s_delay_alu instid0(VALU_DEP_1)
	v_cmp_ge_i32_e64 s0, v13, v12
	s_or_b32 s13, s0, s13
	s_wait_loadcnt 0x1
	global_load_b128 v[24:27], v15, s[18:19] scale_offset
	s_wait_loadcnt 0x1
	s_wait_xcnt 0x0
	v_cndmask_b32_e64 v15, v17, -v17, s14
	v_cvt_f64_f32_e32 v[16:17], v16
	s_delay_alu instid0(VALU_DEP_2) | instskip(NEXT) | instid1(VALU_DEP_1)
	v_cvt_f64_f32_e32 v[28:29], v15
	v_mul_f64_e64 v[30:31], -v[4:5], v[28:29]
	v_mul_f64_e32 v[28:29], v[2:3], v[28:29]
	s_delay_alu instid0(VALU_DEP_2) | instskip(NEXT) | instid1(VALU_DEP_2)
	v_fmac_f64_e32 v[30:31], v[2:3], v[16:17]
	v_fmac_f64_e32 v[28:29], v[4:5], v[16:17]
	s_wait_loadcnt 0x0
	s_delay_alu instid0(VALU_DEP_2) | instskip(NEXT) | instid1(VALU_DEP_2)
	v_fmac_f64_e32 v[10:11], v[30:31], v[24:25]
	v_fmac_f64_e32 v[0:1], v[28:29], v[24:25]
	s_delay_alu instid0(VALU_DEP_2) | instskip(NEXT) | instid1(VALU_DEP_2)
	v_fma_f64 v[10:11], -v[28:29], v[26:27], v[10:11]
	v_fmac_f64_e32 v[0:1], v[30:31], v[26:27]
	s_and_not1_b32 exec_lo, exec_lo, s13
	s_cbranch_execnz .LBB367_9
; %bb.10:                               ;   in Loop: Header=BB367_7 Depth=1
	s_or_b32 exec_lo, exec_lo, s13
.LBB367_11:                             ;   in Loop: Header=BB367_7 Depth=1
	s_delay_alu instid0(SALU_CYCLE_1)
	s_or_b32 exec_lo, exec_lo, s3
	ds_bpermute_b32 v12, v19, v10
	ds_bpermute_b32 v13, v19, v11
	s_wait_dscnt 0x3
	ds_bpermute_b32 v16, v19, v0
	s_wait_dscnt 0x3
	;; [unrolled: 2-line block ×3, first 2 shown]
	v_dual_add_f64 v[10:11], v[10:11], v[12:13] :: v_dual_ashrrev_i32 v15, 31, v14
	s_wait_dscnt 0x0
	v_add_f64_e32 v[0:1], v[0:1], v[16:17]
	ds_bpermute_b32 v12, v20, v10
	ds_bpermute_b32 v13, v20, v11
	ds_bpermute_b32 v16, v20, v0
	ds_bpermute_b32 v17, v20, v1
	s_wait_dscnt 0x2
	v_add_f64_e32 v[10:11], v[10:11], v[12:13]
	s_wait_dscnt 0x0
	v_add_f64_e32 v[0:1], v[0:1], v[16:17]
	ds_bpermute_b32 v12, v21, v10
	ds_bpermute_b32 v13, v21, v11
	ds_bpermute_b32 v16, v21, v0
	ds_bpermute_b32 v17, v21, v1
	s_wait_dscnt 0x2
	v_add_f64_e32 v[10:11], v[10:11], v[12:13]
	;; [unrolled: 8-line block ×3, first 2 shown]
	s_wait_dscnt 0x0
	v_add_f64_e32 v[12:13], v[12:13], v[16:17]
	ds_bpermute_b32 v10, v23, v0
	ds_bpermute_b32 v11, v23, v1
	;; [unrolled: 1-line block ×4, first 2 shown]
	s_and_saveexec_b32 s0, vcc_lo
	s_cbranch_execz .LBB367_6
; %bb.12:                               ;   in Loop: Header=BB367_7 Depth=1
	s_wait_dscnt 0x2
	v_add_f64_e32 v[10:11], v[0:1], v[10:11]
	s_wait_dscnt 0x0
	v_add_f64_e32 v[12:13], v[12:13], v[16:17]
	v_lshl_add_u64 v[0:1], v[14:15], 4, s[16:17]
	s_and_saveexec_b32 s3, s2
	s_cbranch_execz .LBB367_5
; %bb.13:                               ;   in Loop: Header=BB367_7 Depth=1
	global_load_b128 v[24:27], v[0:1], off
	s_wait_loadcnt 0x0
	v_fmac_f64_e32 v[10:11], v[6:7], v[24:25]
	v_fmac_f64_e32 v[12:13], v[8:9], v[24:25]
	s_delay_alu instid0(VALU_DEP_2) | instskip(NEXT) | instid1(VALU_DEP_2)
	v_fma_f64 v[10:11], -v[8:9], v[26:27], v[10:11]
	v_fmac_f64_e32 v[12:13], v[6:7], v[26:27]
	s_branch .LBB367_5
.LBB367_14:
	s_endpgm
	.section	.rodata,"a",@progbits
	.p2align	6, 0x0
	.amdhsa_kernel _ZN9rocsparseL21csrmvn_general_kernelILj256ELj32Eii21rocsparse_complex_numIfES1_IdES3_S3_EEvbT2_NS_24const_host_device_scalarIT6_EEPKT1_SA_PKS4_PKT3_PKT4_S7_PT5_21rocsparse_index_base_b
		.amdhsa_group_segment_fixed_size 0
		.amdhsa_private_segment_fixed_size 0
		.amdhsa_kernarg_size 352
		.amdhsa_user_sgpr_count 2
		.amdhsa_user_sgpr_dispatch_ptr 0
		.amdhsa_user_sgpr_queue_ptr 0
		.amdhsa_user_sgpr_kernarg_segment_ptr 1
		.amdhsa_user_sgpr_dispatch_id 0
		.amdhsa_user_sgpr_kernarg_preload_length 0
		.amdhsa_user_sgpr_kernarg_preload_offset 0
		.amdhsa_user_sgpr_private_segment_size 0
		.amdhsa_wavefront_size32 1
		.amdhsa_uses_dynamic_stack 0
		.amdhsa_enable_private_segment 0
		.amdhsa_system_sgpr_workgroup_id_x 1
		.amdhsa_system_sgpr_workgroup_id_y 0
		.amdhsa_system_sgpr_workgroup_id_z 0
		.amdhsa_system_sgpr_workgroup_info 0
		.amdhsa_system_vgpr_workitem_id 0
		.amdhsa_next_free_vgpr 32
		.amdhsa_next_free_sgpr 24
		.amdhsa_named_barrier_count 0
		.amdhsa_reserve_vcc 1
		.amdhsa_float_round_mode_32 0
		.amdhsa_float_round_mode_16_64 0
		.amdhsa_float_denorm_mode_32 3
		.amdhsa_float_denorm_mode_16_64 3
		.amdhsa_fp16_overflow 0
		.amdhsa_memory_ordered 1
		.amdhsa_forward_progress 1
		.amdhsa_inst_pref_size 9
		.amdhsa_round_robin_scheduling 0
		.amdhsa_exception_fp_ieee_invalid_op 0
		.amdhsa_exception_fp_denorm_src 0
		.amdhsa_exception_fp_ieee_div_zero 0
		.amdhsa_exception_fp_ieee_overflow 0
		.amdhsa_exception_fp_ieee_underflow 0
		.amdhsa_exception_fp_ieee_inexact 0
		.amdhsa_exception_int_div_zero 0
	.end_amdhsa_kernel
	.section	.text._ZN9rocsparseL21csrmvn_general_kernelILj256ELj32Eii21rocsparse_complex_numIfES1_IdES3_S3_EEvbT2_NS_24const_host_device_scalarIT6_EEPKT1_SA_PKS4_PKT3_PKT4_S7_PT5_21rocsparse_index_base_b,"axG",@progbits,_ZN9rocsparseL21csrmvn_general_kernelILj256ELj32Eii21rocsparse_complex_numIfES1_IdES3_S3_EEvbT2_NS_24const_host_device_scalarIT6_EEPKT1_SA_PKS4_PKT3_PKT4_S7_PT5_21rocsparse_index_base_b,comdat
.Lfunc_end367:
	.size	_ZN9rocsparseL21csrmvn_general_kernelILj256ELj32Eii21rocsparse_complex_numIfES1_IdES3_S3_EEvbT2_NS_24const_host_device_scalarIT6_EEPKT1_SA_PKS4_PKT3_PKT4_S7_PT5_21rocsparse_index_base_b, .Lfunc_end367-_ZN9rocsparseL21csrmvn_general_kernelILj256ELj32Eii21rocsparse_complex_numIfES1_IdES3_S3_EEvbT2_NS_24const_host_device_scalarIT6_EEPKT1_SA_PKS4_PKT3_PKT4_S7_PT5_21rocsparse_index_base_b
                                        ; -- End function
	.set _ZN9rocsparseL21csrmvn_general_kernelILj256ELj32Eii21rocsparse_complex_numIfES1_IdES3_S3_EEvbT2_NS_24const_host_device_scalarIT6_EEPKT1_SA_PKS4_PKT3_PKT4_S7_PT5_21rocsparse_index_base_b.num_vgpr, 32
	.set _ZN9rocsparseL21csrmvn_general_kernelILj256ELj32Eii21rocsparse_complex_numIfES1_IdES3_S3_EEvbT2_NS_24const_host_device_scalarIT6_EEPKT1_SA_PKS4_PKT3_PKT4_S7_PT5_21rocsparse_index_base_b.num_agpr, 0
	.set _ZN9rocsparseL21csrmvn_general_kernelILj256ELj32Eii21rocsparse_complex_numIfES1_IdES3_S3_EEvbT2_NS_24const_host_device_scalarIT6_EEPKT1_SA_PKS4_PKT3_PKT4_S7_PT5_21rocsparse_index_base_b.numbered_sgpr, 24
	.set _ZN9rocsparseL21csrmvn_general_kernelILj256ELj32Eii21rocsparse_complex_numIfES1_IdES3_S3_EEvbT2_NS_24const_host_device_scalarIT6_EEPKT1_SA_PKS4_PKT3_PKT4_S7_PT5_21rocsparse_index_base_b.num_named_barrier, 0
	.set _ZN9rocsparseL21csrmvn_general_kernelILj256ELj32Eii21rocsparse_complex_numIfES1_IdES3_S3_EEvbT2_NS_24const_host_device_scalarIT6_EEPKT1_SA_PKS4_PKT3_PKT4_S7_PT5_21rocsparse_index_base_b.private_seg_size, 0
	.set _ZN9rocsparseL21csrmvn_general_kernelILj256ELj32Eii21rocsparse_complex_numIfES1_IdES3_S3_EEvbT2_NS_24const_host_device_scalarIT6_EEPKT1_SA_PKS4_PKT3_PKT4_S7_PT5_21rocsparse_index_base_b.uses_vcc, 1
	.set _ZN9rocsparseL21csrmvn_general_kernelILj256ELj32Eii21rocsparse_complex_numIfES1_IdES3_S3_EEvbT2_NS_24const_host_device_scalarIT6_EEPKT1_SA_PKS4_PKT3_PKT4_S7_PT5_21rocsparse_index_base_b.uses_flat_scratch, 0
	.set _ZN9rocsparseL21csrmvn_general_kernelILj256ELj32Eii21rocsparse_complex_numIfES1_IdES3_S3_EEvbT2_NS_24const_host_device_scalarIT6_EEPKT1_SA_PKS4_PKT3_PKT4_S7_PT5_21rocsparse_index_base_b.has_dyn_sized_stack, 0
	.set _ZN9rocsparseL21csrmvn_general_kernelILj256ELj32Eii21rocsparse_complex_numIfES1_IdES3_S3_EEvbT2_NS_24const_host_device_scalarIT6_EEPKT1_SA_PKS4_PKT3_PKT4_S7_PT5_21rocsparse_index_base_b.has_recursion, 0
	.set _ZN9rocsparseL21csrmvn_general_kernelILj256ELj32Eii21rocsparse_complex_numIfES1_IdES3_S3_EEvbT2_NS_24const_host_device_scalarIT6_EEPKT1_SA_PKS4_PKT3_PKT4_S7_PT5_21rocsparse_index_base_b.has_indirect_call, 0
	.section	.AMDGPU.csdata,"",@progbits
; Kernel info:
; codeLenInByte = 1132
; TotalNumSgprs: 26
; NumVgprs: 32
; ScratchSize: 0
; MemoryBound: 0
; FloatMode: 240
; IeeeMode: 1
; LDSByteSize: 0 bytes/workgroup (compile time only)
; SGPRBlocks: 0
; VGPRBlocks: 1
; NumSGPRsForWavesPerEU: 26
; NumVGPRsForWavesPerEU: 32
; NamedBarCnt: 0
; Occupancy: 16
; WaveLimiterHint : 1
; COMPUTE_PGM_RSRC2:SCRATCH_EN: 0
; COMPUTE_PGM_RSRC2:USER_SGPR: 2
; COMPUTE_PGM_RSRC2:TRAP_HANDLER: 0
; COMPUTE_PGM_RSRC2:TGID_X_EN: 1
; COMPUTE_PGM_RSRC2:TGID_Y_EN: 0
; COMPUTE_PGM_RSRC2:TGID_Z_EN: 0
; COMPUTE_PGM_RSRC2:TIDIG_COMP_CNT: 0
	.section	.text._ZN9rocsparseL21csrmvn_general_kernelILj256ELj64Eii21rocsparse_complex_numIfES1_IdES3_S3_EEvbT2_NS_24const_host_device_scalarIT6_EEPKT1_SA_PKS4_PKT3_PKT4_S7_PT5_21rocsparse_index_base_b,"axG",@progbits,_ZN9rocsparseL21csrmvn_general_kernelILj256ELj64Eii21rocsparse_complex_numIfES1_IdES3_S3_EEvbT2_NS_24const_host_device_scalarIT6_EEPKT1_SA_PKS4_PKT3_PKT4_S7_PT5_21rocsparse_index_base_b,comdat
	.globl	_ZN9rocsparseL21csrmvn_general_kernelILj256ELj64Eii21rocsparse_complex_numIfES1_IdES3_S3_EEvbT2_NS_24const_host_device_scalarIT6_EEPKT1_SA_PKS4_PKT3_PKT4_S7_PT5_21rocsparse_index_base_b ; -- Begin function _ZN9rocsparseL21csrmvn_general_kernelILj256ELj64Eii21rocsparse_complex_numIfES1_IdES3_S3_EEvbT2_NS_24const_host_device_scalarIT6_EEPKT1_SA_PKS4_PKT3_PKT4_S7_PT5_21rocsparse_index_base_b
	.p2align	8
	.type	_ZN9rocsparseL21csrmvn_general_kernelILj256ELj64Eii21rocsparse_complex_numIfES1_IdES3_S3_EEvbT2_NS_24const_host_device_scalarIT6_EEPKT1_SA_PKS4_PKT3_PKT4_S7_PT5_21rocsparse_index_base_b,@function
_ZN9rocsparseL21csrmvn_general_kernelILj256ELj64Eii21rocsparse_complex_numIfES1_IdES3_S3_EEvbT2_NS_24const_host_device_scalarIT6_EEPKT1_SA_PKS4_PKT3_PKT4_S7_PT5_21rocsparse_index_base_b: ; @_ZN9rocsparseL21csrmvn_general_kernelILj256ELj64Eii21rocsparse_complex_numIfES1_IdES3_S3_EEvbT2_NS_24const_host_device_scalarIT6_EEPKT1_SA_PKS4_PKT3_PKT4_S7_PT5_21rocsparse_index_base_b
; %bb.0:
	s_clause 0x1
	s_load_b64 s[12:13], s[0:1], 0x58
	s_load_b64 s[2:3], s[0:1], 0x8
	v_mov_b32_e32 v1, 0
	s_add_nc_u64 s[4:5], s[0:1], 8
	s_load_b64 s[6:7], s[0:1], 0x40
	s_wait_kmcnt 0x0
	s_bitcmp1_b32 s13, 0
	s_cselect_b32 s3, s5, s3
	s_cselect_b32 s2, s4, s2
	flat_load_b128 v[2:5], v1, s[2:3]
	s_wait_xcnt 0x0
	s_add_nc_u64 s[2:3], s[0:1], 64
	s_delay_alu instid0(SALU_CYCLE_1)
	s_cselect_b32 s3, s3, s7
	s_cselect_b32 s2, s2, s6
	flat_load_b128 v[6:9], v1, s[2:3]
	s_wait_loadcnt_dscnt 0x101
	v_cmp_eq_f64_e32 vcc_lo, 0, v[2:3]
	s_wait_xcnt 0x0
	v_cmp_eq_f64_e64 s2, 0, v[4:5]
	s_and_b32 s4, vcc_lo, s2
	s_mov_b32 s2, -1
	s_and_saveexec_b32 s3, s4
	s_cbranch_execz .LBB368_2
; %bb.1:
	s_wait_loadcnt_dscnt 0x0
	v_cmp_neq_f64_e32 vcc_lo, 1.0, v[6:7]
	v_cmp_neq_f64_e64 s2, 0, v[8:9]
	s_or_b32 s2, vcc_lo, s2
	s_delay_alu instid0(SALU_CYCLE_1)
	s_or_not1_b32 s2, s2, exec_lo
.LBB368_2:
	s_or_b32 exec_lo, exec_lo, s3
	s_and_saveexec_b32 s3, s2
	s_cbranch_execz .LBB368_14
; %bb.3:
	s_bfe_u32 s4, ttmp6, 0x4000c
	s_load_b64 s[2:3], s[0:1], 0x0
	s_add_co_i32 s4, s4, 1
	s_and_b32 s5, ttmp6, 15
	s_mul_i32 s4, ttmp9, s4
	s_getreg_b32 s6, hwreg(HW_REG_IB_STS2, 6, 4)
	s_add_co_i32 s5, s5, s4
	s_cmp_eq_u32 s6, 0
	s_mov_b32 s18, 0
	s_cselect_b32 s4, ttmp9, s5
	s_delay_alu instid0(SALU_CYCLE_1) | instskip(NEXT) | instid1(VALU_DEP_1)
	v_lshl_or_b32 v1, s4, 8, v0
	v_lshrrev_b32_e32 v14, 6, v1
	s_wait_kmcnt 0x0
	s_delay_alu instid0(VALU_DEP_1)
	v_cmp_gt_i32_e32 vcc_lo, s3, v14
	s_and_b32 exec_lo, exec_lo, vcc_lo
	s_cbranch_execz .LBB368_14
; %bb.4:
	v_mbcnt_lo_u32_b32 v1, -1, 0
	s_clause 0x3
	s_load_b32 s13, s[0:1], 0x60
	s_load_b256 s[4:11], s[0:1], 0x18
	s_load_b64 s[14:15], s[0:1], 0x50
	s_load_b64 s[16:17], s[0:1], 0x38
	s_wait_loadcnt_dscnt 0x0
	v_cmp_neq_f64_e64 s0, 0, v[6:7]
	v_cmp_neq_f64_e64 s1, 0, v[8:9]
	v_xor_b32_e32 v12, 8, v1
	v_xor_b32_e32 v11, 16, v1
	v_or_b32_e32 v10, 32, v1
	s_delay_alu instid0(VALU_DEP_1) | instskip(SKIP_1) | instid1(VALU_DEP_4)
	v_cmp_gt_i32_e32 vcc_lo, 32, v10
	v_dual_cndmask_b32 v10, v1, v10, vcc_lo :: v_dual_bitop2_b32 v0, 63, v0 bitop3:0x40
	v_cmp_gt_i32_e32 vcc_lo, 32, v11
	s_delay_alu instid0(VALU_DEP_2)
	v_subrev_nc_u32_e32 v18, s12, v0
	s_wait_kmcnt 0x0
	s_lshl_b32 s19, s13, 2
	s_bitcmp1_b32 s2, 0
	v_dual_lshlrev_b32 v19, 2, v10 :: v_dual_cndmask_b32 v11, v1, v11, vcc_lo
	v_cmp_gt_i32_e32 vcc_lo, 32, v12
	v_xor_b32_e32 v10, 1, v1
	s_cselect_b32 s2, -1, 0
	s_ashr_i32 s13, s12, 31
	v_dual_lshlrev_b32 v20, 2, v11 :: v_dual_bitop2_b32 v15, 2, v1 bitop3:0x14
	v_dual_cndmask_b32 v12, v1, v12, vcc_lo :: v_dual_bitop2_b32 v13, 4, v1 bitop3:0x14
	s_lshl_b64 s[20:21], s[12:13], 4
	s_delay_alu instid0(SALU_CYCLE_1) | instskip(NEXT) | instid1(VALU_DEP_1)
	s_sub_nc_u64 s[16:17], s[16:17], s[20:21]
	v_cmp_gt_i32_e32 vcc_lo, 32, v13
	s_delay_alu instid0(VALU_DEP_2)
	v_lshlrev_b32_e32 v21, 2, v12
	s_or_b32 s1, s0, s1
	v_cndmask_b32_e32 v13, v1, v13, vcc_lo
	v_cmp_gt_i32_e32 vcc_lo, 32, v15
	v_cndmask_b32_e32 v15, v1, v15, vcc_lo
	v_cmp_gt_i32_e32 vcc_lo, 32, v10
	s_delay_alu instid0(VALU_DEP_2) | instskip(SKIP_2) | instid1(VALU_DEP_2)
	v_dual_lshlrev_b32 v22, 2, v13 :: v_dual_lshlrev_b32 v23, 2, v15
	v_cndmask_b32_e32 v1, v1, v10, vcc_lo
	v_cmp_eq_u32_e32 vcc_lo, 63, v0
	v_lshlrev_b32_e32 v24, 2, v1
	s_branch .LBB368_7
.LBB368_5:                              ;   in Loop: Header=BB368_7 Depth=1
	s_wait_xcnt 0x0
	s_or_b32 exec_lo, exec_lo, s13
	global_store_b128 v[0:1], v[10:13], off
.LBB368_6:                              ;   in Loop: Header=BB368_7 Depth=1
	s_wait_xcnt 0x0
	s_or_b32 exec_lo, exec_lo, s0
	v_add_nc_u32_e32 v14, s19, v14
	s_delay_alu instid0(VALU_DEP_1) | instskip(SKIP_1) | instid1(SALU_CYCLE_1)
	v_cmp_le_i32_e64 s0, s3, v14
	s_or_b32 s18, s0, s18
	s_and_not1_b32 exec_lo, exec_lo, s18
	s_cbranch_execz .LBB368_14
.LBB368_7:                              ; =>This Loop Header: Depth=1
                                        ;     Child Loop BB368_9 Depth 2
	s_clause 0x1
	global_load_b32 v0, v14, s[6:7] scale_offset
	global_load_b32 v1, v14, s[4:5] scale_offset
	s_wait_dscnt 0x2
	v_mov_b64_e32 v[10:11], 0
	s_mov_b32 s13, exec_lo
	s_wait_loadcnt 0x1
	v_subrev_nc_u32_e32 v12, s12, v0
	s_wait_loadcnt 0x0
	v_add_nc_u32_e32 v13, v1, v18
	v_mov_b64_e32 v[0:1], 0
	s_wait_xcnt 0x0
	s_delay_alu instid0(VALU_DEP_2)
	v_cmpx_lt_i32_e64 v13, v12
	s_cbranch_execz .LBB368_11
; %bb.8:                                ;   in Loop: Header=BB368_7 Depth=1
	v_mov_b64_e32 v[0:1], 0
	v_mov_b64_e32 v[10:11], 0
	s_mov_b32 s20, 0
.LBB368_9:                              ;   Parent Loop BB368_7 Depth=1
                                        ; =>  This Inner Loop Header: Depth=2
	global_load_b32 v15, v13, s[8:9] scale_offset
	s_wait_dscnt 0x0
	global_load_b64 v[16:17], v13, s[10:11] scale_offset
	s_wait_xcnt 0x0
	v_add_nc_u32_e32 v13, 64, v13
	s_delay_alu instid0(VALU_DEP_1)
	v_cmp_ge_i32_e64 s0, v13, v12
	s_or_b32 s20, s0, s20
	s_wait_loadcnt 0x1
	global_load_b128 v[26:29], v15, s[16:17] scale_offset
	s_wait_loadcnt 0x1
	s_wait_xcnt 0x0
	v_cndmask_b32_e64 v15, v17, -v17, s2
	v_cvt_f64_f32_e32 v[16:17], v16
	s_delay_alu instid0(VALU_DEP_2) | instskip(NEXT) | instid1(VALU_DEP_1)
	v_cvt_f64_f32_e32 v[30:31], v15
	v_mul_f64_e64 v[32:33], -v[4:5], v[30:31]
	v_mul_f64_e32 v[30:31], v[2:3], v[30:31]
	s_delay_alu instid0(VALU_DEP_2) | instskip(NEXT) | instid1(VALU_DEP_2)
	v_fmac_f64_e32 v[32:33], v[2:3], v[16:17]
	v_fmac_f64_e32 v[30:31], v[4:5], v[16:17]
	s_wait_loadcnt 0x0
	s_delay_alu instid0(VALU_DEP_2) | instskip(NEXT) | instid1(VALU_DEP_2)
	v_fmac_f64_e32 v[10:11], v[32:33], v[26:27]
	v_fmac_f64_e32 v[0:1], v[30:31], v[26:27]
	s_delay_alu instid0(VALU_DEP_2) | instskip(NEXT) | instid1(VALU_DEP_2)
	v_fma_f64 v[10:11], -v[30:31], v[28:29], v[10:11]
	v_fmac_f64_e32 v[0:1], v[32:33], v[28:29]
	s_and_not1_b32 exec_lo, exec_lo, s20
	s_cbranch_execnz .LBB368_9
; %bb.10:                               ;   in Loop: Header=BB368_7 Depth=1
	s_or_b32 exec_lo, exec_lo, s20
.LBB368_11:                             ;   in Loop: Header=BB368_7 Depth=1
	s_delay_alu instid0(SALU_CYCLE_1)
	s_or_b32 exec_lo, exec_lo, s13
	ds_bpermute_b32 v12, v19, v10
	ds_bpermute_b32 v13, v19, v11
	s_wait_dscnt 0x3
	ds_bpermute_b32 v16, v19, v0
	s_wait_dscnt 0x3
	;; [unrolled: 2-line block ×3, first 2 shown]
	v_dual_add_f64 v[10:11], v[10:11], v[12:13] :: v_dual_ashrrev_i32 v15, 31, v14
	s_wait_dscnt 0x0
	v_add_f64_e32 v[0:1], v[0:1], v[16:17]
	ds_bpermute_b32 v12, v20, v10
	ds_bpermute_b32 v13, v20, v11
	ds_bpermute_b32 v16, v20, v0
	ds_bpermute_b32 v17, v20, v1
	s_wait_dscnt 0x2
	v_add_f64_e32 v[10:11], v[10:11], v[12:13]
	s_wait_dscnt 0x0
	v_add_f64_e32 v[0:1], v[0:1], v[16:17]
	ds_bpermute_b32 v12, v21, v10
	ds_bpermute_b32 v13, v21, v11
	ds_bpermute_b32 v16, v21, v0
	ds_bpermute_b32 v17, v21, v1
	s_wait_dscnt 0x2
	v_add_f64_e32 v[10:11], v[10:11], v[12:13]
	s_wait_dscnt 0x0
	v_add_f64_e32 v[0:1], v[0:1], v[16:17]
	ds_bpermute_b32 v12, v22, v10
	ds_bpermute_b32 v13, v22, v11
	ds_bpermute_b32 v16, v22, v0
	ds_bpermute_b32 v17, v22, v1
	s_wait_dscnt 0x2
	v_add_f64_e32 v[10:11], v[10:11], v[12:13]
	s_wait_dscnt 0x0
	v_add_f64_e32 v[12:13], v[0:1], v[16:17]
	ds_bpermute_b32 v0, v23, v10
	ds_bpermute_b32 v1, v23, v11
	ds_bpermute_b32 v16, v23, v12
	ds_bpermute_b32 v17, v23, v13
	s_wait_dscnt 0x2
	v_add_f64_e32 v[0:1], v[10:11], v[0:1]
	s_wait_dscnt 0x0
	v_add_f64_e32 v[12:13], v[12:13], v[16:17]
	ds_bpermute_b32 v10, v24, v0
	ds_bpermute_b32 v11, v24, v1
	;; [unrolled: 1-line block ×4, first 2 shown]
	s_and_saveexec_b32 s0, vcc_lo
	s_cbranch_execz .LBB368_6
; %bb.12:                               ;   in Loop: Header=BB368_7 Depth=1
	s_wait_dscnt 0x2
	v_add_f64_e32 v[10:11], v[0:1], v[10:11]
	s_wait_dscnt 0x0
	v_add_f64_e32 v[12:13], v[12:13], v[16:17]
	v_lshl_add_u64 v[0:1], v[14:15], 4, s[14:15]
	s_and_saveexec_b32 s13, s1
	s_cbranch_execz .LBB368_5
; %bb.13:                               ;   in Loop: Header=BB368_7 Depth=1
	global_load_b128 v[26:29], v[0:1], off
	s_wait_loadcnt 0x0
	v_fmac_f64_e32 v[10:11], v[6:7], v[26:27]
	v_fmac_f64_e32 v[12:13], v[8:9], v[26:27]
	s_delay_alu instid0(VALU_DEP_2) | instskip(NEXT) | instid1(VALU_DEP_2)
	v_fma_f64 v[10:11], -v[8:9], v[28:29], v[10:11]
	v_fmac_f64_e32 v[12:13], v[6:7], v[28:29]
	s_branch .LBB368_5
.LBB368_14:
	s_endpgm
	.section	.rodata,"a",@progbits
	.p2align	6, 0x0
	.amdhsa_kernel _ZN9rocsparseL21csrmvn_general_kernelILj256ELj64Eii21rocsparse_complex_numIfES1_IdES3_S3_EEvbT2_NS_24const_host_device_scalarIT6_EEPKT1_SA_PKS4_PKT3_PKT4_S7_PT5_21rocsparse_index_base_b
		.amdhsa_group_segment_fixed_size 0
		.amdhsa_private_segment_fixed_size 0
		.amdhsa_kernarg_size 352
		.amdhsa_user_sgpr_count 2
		.amdhsa_user_sgpr_dispatch_ptr 0
		.amdhsa_user_sgpr_queue_ptr 0
		.amdhsa_user_sgpr_kernarg_segment_ptr 1
		.amdhsa_user_sgpr_dispatch_id 0
		.amdhsa_user_sgpr_kernarg_preload_length 0
		.amdhsa_user_sgpr_kernarg_preload_offset 0
		.amdhsa_user_sgpr_private_segment_size 0
		.amdhsa_wavefront_size32 1
		.amdhsa_uses_dynamic_stack 0
		.amdhsa_enable_private_segment 0
		.amdhsa_system_sgpr_workgroup_id_x 1
		.amdhsa_system_sgpr_workgroup_id_y 0
		.amdhsa_system_sgpr_workgroup_id_z 0
		.amdhsa_system_sgpr_workgroup_info 0
		.amdhsa_system_vgpr_workitem_id 0
		.amdhsa_next_free_vgpr 34
		.amdhsa_next_free_sgpr 22
		.amdhsa_named_barrier_count 0
		.amdhsa_reserve_vcc 1
		.amdhsa_float_round_mode_32 0
		.amdhsa_float_round_mode_16_64 0
		.amdhsa_float_denorm_mode_32 3
		.amdhsa_float_denorm_mode_16_64 3
		.amdhsa_fp16_overflow 0
		.amdhsa_memory_ordered 1
		.amdhsa_forward_progress 1
		.amdhsa_inst_pref_size 10
		.amdhsa_round_robin_scheduling 0
		.amdhsa_exception_fp_ieee_invalid_op 0
		.amdhsa_exception_fp_denorm_src 0
		.amdhsa_exception_fp_ieee_div_zero 0
		.amdhsa_exception_fp_ieee_overflow 0
		.amdhsa_exception_fp_ieee_underflow 0
		.amdhsa_exception_fp_ieee_inexact 0
		.amdhsa_exception_int_div_zero 0
	.end_amdhsa_kernel
	.section	.text._ZN9rocsparseL21csrmvn_general_kernelILj256ELj64Eii21rocsparse_complex_numIfES1_IdES3_S3_EEvbT2_NS_24const_host_device_scalarIT6_EEPKT1_SA_PKS4_PKT3_PKT4_S7_PT5_21rocsparse_index_base_b,"axG",@progbits,_ZN9rocsparseL21csrmvn_general_kernelILj256ELj64Eii21rocsparse_complex_numIfES1_IdES3_S3_EEvbT2_NS_24const_host_device_scalarIT6_EEPKT1_SA_PKS4_PKT3_PKT4_S7_PT5_21rocsparse_index_base_b,comdat
.Lfunc_end368:
	.size	_ZN9rocsparseL21csrmvn_general_kernelILj256ELj64Eii21rocsparse_complex_numIfES1_IdES3_S3_EEvbT2_NS_24const_host_device_scalarIT6_EEPKT1_SA_PKS4_PKT3_PKT4_S7_PT5_21rocsparse_index_base_b, .Lfunc_end368-_ZN9rocsparseL21csrmvn_general_kernelILj256ELj64Eii21rocsparse_complex_numIfES1_IdES3_S3_EEvbT2_NS_24const_host_device_scalarIT6_EEPKT1_SA_PKS4_PKT3_PKT4_S7_PT5_21rocsparse_index_base_b
                                        ; -- End function
	.set _ZN9rocsparseL21csrmvn_general_kernelILj256ELj64Eii21rocsparse_complex_numIfES1_IdES3_S3_EEvbT2_NS_24const_host_device_scalarIT6_EEPKT1_SA_PKS4_PKT3_PKT4_S7_PT5_21rocsparse_index_base_b.num_vgpr, 34
	.set _ZN9rocsparseL21csrmvn_general_kernelILj256ELj64Eii21rocsparse_complex_numIfES1_IdES3_S3_EEvbT2_NS_24const_host_device_scalarIT6_EEPKT1_SA_PKS4_PKT3_PKT4_S7_PT5_21rocsparse_index_base_b.num_agpr, 0
	.set _ZN9rocsparseL21csrmvn_general_kernelILj256ELj64Eii21rocsparse_complex_numIfES1_IdES3_S3_EEvbT2_NS_24const_host_device_scalarIT6_EEPKT1_SA_PKS4_PKT3_PKT4_S7_PT5_21rocsparse_index_base_b.numbered_sgpr, 22
	.set _ZN9rocsparseL21csrmvn_general_kernelILj256ELj64Eii21rocsparse_complex_numIfES1_IdES3_S3_EEvbT2_NS_24const_host_device_scalarIT6_EEPKT1_SA_PKS4_PKT3_PKT4_S7_PT5_21rocsparse_index_base_b.num_named_barrier, 0
	.set _ZN9rocsparseL21csrmvn_general_kernelILj256ELj64Eii21rocsparse_complex_numIfES1_IdES3_S3_EEvbT2_NS_24const_host_device_scalarIT6_EEPKT1_SA_PKS4_PKT3_PKT4_S7_PT5_21rocsparse_index_base_b.private_seg_size, 0
	.set _ZN9rocsparseL21csrmvn_general_kernelILj256ELj64Eii21rocsparse_complex_numIfES1_IdES3_S3_EEvbT2_NS_24const_host_device_scalarIT6_EEPKT1_SA_PKS4_PKT3_PKT4_S7_PT5_21rocsparse_index_base_b.uses_vcc, 1
	.set _ZN9rocsparseL21csrmvn_general_kernelILj256ELj64Eii21rocsparse_complex_numIfES1_IdES3_S3_EEvbT2_NS_24const_host_device_scalarIT6_EEPKT1_SA_PKS4_PKT3_PKT4_S7_PT5_21rocsparse_index_base_b.uses_flat_scratch, 0
	.set _ZN9rocsparseL21csrmvn_general_kernelILj256ELj64Eii21rocsparse_complex_numIfES1_IdES3_S3_EEvbT2_NS_24const_host_device_scalarIT6_EEPKT1_SA_PKS4_PKT3_PKT4_S7_PT5_21rocsparse_index_base_b.has_dyn_sized_stack, 0
	.set _ZN9rocsparseL21csrmvn_general_kernelILj256ELj64Eii21rocsparse_complex_numIfES1_IdES3_S3_EEvbT2_NS_24const_host_device_scalarIT6_EEPKT1_SA_PKS4_PKT3_PKT4_S7_PT5_21rocsparse_index_base_b.has_recursion, 0
	.set _ZN9rocsparseL21csrmvn_general_kernelILj256ELj64Eii21rocsparse_complex_numIfES1_IdES3_S3_EEvbT2_NS_24const_host_device_scalarIT6_EEPKT1_SA_PKS4_PKT3_PKT4_S7_PT5_21rocsparse_index_base_b.has_indirect_call, 0
	.section	.AMDGPU.csdata,"",@progbits
; Kernel info:
; codeLenInByte = 1200
; TotalNumSgprs: 24
; NumVgprs: 34
; ScratchSize: 0
; MemoryBound: 0
; FloatMode: 240
; IeeeMode: 1
; LDSByteSize: 0 bytes/workgroup (compile time only)
; SGPRBlocks: 0
; VGPRBlocks: 2
; NumSGPRsForWavesPerEU: 24
; NumVGPRsForWavesPerEU: 34
; NamedBarCnt: 0
; Occupancy: 16
; WaveLimiterHint : 1
; COMPUTE_PGM_RSRC2:SCRATCH_EN: 0
; COMPUTE_PGM_RSRC2:USER_SGPR: 2
; COMPUTE_PGM_RSRC2:TRAP_HANDLER: 0
; COMPUTE_PGM_RSRC2:TGID_X_EN: 1
; COMPUTE_PGM_RSRC2:TGID_Y_EN: 0
; COMPUTE_PGM_RSRC2:TGID_Z_EN: 0
; COMPUTE_PGM_RSRC2:TIDIG_COMP_CNT: 0
	.section	.text._ZN9rocsparseL21csrmvt_general_kernelILj256ELj4Eii21rocsparse_complex_numIfES1_IdES3_S3_EEvbbT2_NS_24const_host_device_scalarIT6_EEPKT1_SA_PKS4_PKT3_PKT4_PT5_21rocsparse_index_base_b,"axG",@progbits,_ZN9rocsparseL21csrmvt_general_kernelILj256ELj4Eii21rocsparse_complex_numIfES1_IdES3_S3_EEvbbT2_NS_24const_host_device_scalarIT6_EEPKT1_SA_PKS4_PKT3_PKT4_PT5_21rocsparse_index_base_b,comdat
	.globl	_ZN9rocsparseL21csrmvt_general_kernelILj256ELj4Eii21rocsparse_complex_numIfES1_IdES3_S3_EEvbbT2_NS_24const_host_device_scalarIT6_EEPKT1_SA_PKS4_PKT3_PKT4_PT5_21rocsparse_index_base_b ; -- Begin function _ZN9rocsparseL21csrmvt_general_kernelILj256ELj4Eii21rocsparse_complex_numIfES1_IdES3_S3_EEvbbT2_NS_24const_host_device_scalarIT6_EEPKT1_SA_PKS4_PKT3_PKT4_PT5_21rocsparse_index_base_b
	.p2align	8
	.type	_ZN9rocsparseL21csrmvt_general_kernelILj256ELj4Eii21rocsparse_complex_numIfES1_IdES3_S3_EEvbbT2_NS_24const_host_device_scalarIT6_EEPKT1_SA_PKS4_PKT3_PKT4_PT5_21rocsparse_index_base_b,@function
_ZN9rocsparseL21csrmvt_general_kernelILj256ELj4Eii21rocsparse_complex_numIfES1_IdES3_S3_EEvbbT2_NS_24const_host_device_scalarIT6_EEPKT1_SA_PKS4_PKT3_PKT4_PT5_21rocsparse_index_base_b: ; @_ZN9rocsparseL21csrmvt_general_kernelILj256ELj4Eii21rocsparse_complex_numIfES1_IdES3_S3_EEvbbT2_NS_24const_host_device_scalarIT6_EEPKT1_SA_PKS4_PKT3_PKT4_PT5_21rocsparse_index_base_b
; %bb.0:
	s_clause 0x1
	s_load_b64 s[16:17], s[0:1], 0x48
	s_load_b64 s[2:3], s[0:1], 0x8
	v_mov_b32_e32 v1, 0
	s_add_nc_u64 s[4:5], s[0:1], 8
	s_wait_kmcnt 0x0
	s_bitcmp1_b32 s17, 0
	s_cselect_b32 s3, s5, s3
	s_cselect_b32 s2, s4, s2
	flat_load_b128 v[2:5], v1, s[2:3]
	s_wait_loadcnt_dscnt 0x0
	v_cmp_neq_f64_e32 vcc_lo, 0, v[2:3]
	v_cmp_neq_f64_e64 s2, 0, v[4:5]
	s_or_b32 s2, vcc_lo, s2
	s_delay_alu instid0(SALU_CYCLE_1)
	s_and_saveexec_b32 s3, s2
	s_cbranch_execz .LBB369_18
; %bb.1:
	s_clause 0x3
	s_load_b32 s4, s[0:1], 0x0
	s_load_b64 s[2:3], s[0:1], 0x0
	s_load_b32 s17, s[0:1], 0x50
	s_load_b128 s[12:15], s[0:1], 0x38
	s_getreg_b32 s19, hwreg(HW_REG_IB_STS2, 6, 4)
	v_and_b32_e32 v7, 3, v0
	s_wait_kmcnt 0x0
	s_and_b32 s18, s4, 1
	s_bitcmp1_b32 s2, 8
	s_load_b256 s[4:11], s[0:1], 0x18
	s_wait_xcnt 0x0
	s_cselect_b32 s1, -1, 0
	s_bfe_u32 s0, ttmp6, 0x4000c
	s_lshl_b32 s2, s17, 6
	s_add_co_i32 s0, s0, 1
	s_and_b32 s17, ttmp6, 15
	s_mul_i32 s0, ttmp9, s0
	s_delay_alu instid0(SALU_CYCLE_1)
	s_add_co_i32 s17, s17, s0
	s_cmp_eq_u32 s19, 0
	s_cselect_b32 s0, ttmp9, s17
	s_cmp_eq_u32 s18, 0
	v_lshl_or_b32 v1, s0, 8, v0
	s_mov_b32 s17, -1
	s_delay_alu instid0(VALU_DEP_1) | instskip(NEXT) | instid1(VALU_DEP_1)
	v_lshrrev_b32_e32 v6, 2, v1
	v_cmp_gt_i32_e64 s0, s3, v6
	s_cbranch_scc0 .LBB369_9
; %bb.2:
	s_and_saveexec_b32 s17, s0
	s_cbranch_execz .LBB369_8
; %bb.3:
	v_subrev_nc_u32_e32 v12, s16, v7
	v_mov_b32_e32 v0, v6
	s_mov_b32 s18, 0
	s_branch .LBB369_5
.LBB369_4:                              ;   in Loop: Header=BB369_5 Depth=1
	s_or_b32 exec_lo, exec_lo, s19
	v_add_nc_u32_e32 v0, s2, v0
	s_delay_alu instid0(VALU_DEP_1) | instskip(SKIP_1) | instid1(SALU_CYCLE_1)
	v_cmp_le_i32_e32 vcc_lo, s3, v0
	s_or_b32 s18, vcc_lo, s18
	s_and_not1_b32 exec_lo, exec_lo, s18
	s_cbranch_execz .LBB369_8
.LBB369_5:                              ; =>This Loop Header: Depth=1
                                        ;     Child Loop BB369_7 Depth 2
	s_wait_kmcnt 0x0
	s_clause 0x1
	global_load_b32 v1, v0, s[6:7] scale_offset
	global_load_b32 v8, v0, s[4:5] scale_offset
	s_mov_b32 s19, exec_lo
	s_wait_loadcnt 0x1
	v_subrev_nc_u32_e32 v13, s16, v1
	s_wait_loadcnt 0x0
	v_add_nc_u32_e32 v14, v8, v12
	s_wait_xcnt 0x0
	s_delay_alu instid0(VALU_DEP_1)
	v_cmpx_lt_i32_e64 v14, v13
	s_cbranch_execz .LBB369_4
; %bb.6:                                ;   in Loop: Header=BB369_5 Depth=1
	v_ashrrev_i32_e32 v1, 31, v0
	s_mov_b32 s20, 0
	s_delay_alu instid0(VALU_DEP_1)
	v_lshl_add_u64 v[8:9], v[0:1], 4, s[12:13]
	global_load_b128 v[16:19], v[8:9], off
	s_wait_loadcnt 0x0
	s_wait_xcnt 0x0
	v_mul_f64_e64 v[8:9], v[18:19], -v[4:5]
	v_mul_f64_e32 v[10:11], v[2:3], v[18:19]
	s_delay_alu instid0(VALU_DEP_2) | instskip(NEXT) | instid1(VALU_DEP_2)
	v_fmac_f64_e32 v[8:9], v[2:3], v[16:17]
	v_fmac_f64_e32 v[10:11], v[4:5], v[16:17]
.LBB369_7:                              ;   Parent Loop BB369_5 Depth=1
                                        ; =>  This Inner Loop Header: Depth=2
	s_clause 0x1
	global_load_b64 v[16:17], v14, s[10:11] scale_offset
	global_load_b32 v1, v14, s[8:9] scale_offset
	s_wait_xcnt 0x0
	v_add_nc_u32_e32 v14, 4, v14
	s_delay_alu instid0(VALU_DEP_1) | instskip(SKIP_4) | instid1(VALU_DEP_2)
	v_cmp_ge_i32_e32 vcc_lo, v14, v13
	s_or_b32 s20, vcc_lo, s20
	s_wait_loadcnt 0x1
	v_cndmask_b32_e64 v15, v17, -v17, s1
	v_cvt_f64_f32_e32 v[16:17], v16
	v_cvt_f64_f32_e32 v[18:19], v15
	s_delay_alu instid0(VALU_DEP_1) | instskip(SKIP_1) | instid1(VALU_DEP_2)
	v_mul_f64_e64 v[20:21], -v[10:11], v[18:19]
	v_mul_f64_e32 v[18:19], v[8:9], v[18:19]
	v_fmac_f64_e32 v[20:21], v[8:9], v[16:17]
	s_delay_alu instid0(VALU_DEP_2) | instskip(SKIP_2) | instid1(VALU_DEP_1)
	v_fmac_f64_e32 v[18:19], v[10:11], v[16:17]
	s_wait_loadcnt 0x0
	v_subrev_nc_u32_e32 v16, s16, v1
	v_ashrrev_i32_e32 v17, 31, v16
	s_delay_alu instid0(VALU_DEP_1)
	v_lshl_add_u64 v[16:17], v[16:17], 4, s[14:15]
	global_atomic_add_f64 v[16:17], v[20:21], off scope:SCOPE_DEV
	s_wait_xcnt 0x0
	global_atomic_add_f64 v[16:17], v[18:19], off offset:8 scope:SCOPE_DEV
	s_wait_xcnt 0x0
	s_and_not1_b32 exec_lo, exec_lo, s20
	s_cbranch_execnz .LBB369_7
	s_branch .LBB369_4
.LBB369_8:
	s_or_b32 exec_lo, exec_lo, s17
	s_mov_b32 s17, 0
.LBB369_9:
	s_delay_alu instid0(SALU_CYCLE_1)
	s_and_not1_b32 vcc_lo, exec_lo, s17
	s_cbranch_vccnz .LBB369_18
; %bb.10:
	s_and_b32 exec_lo, exec_lo, s0
	s_cbranch_execz .LBB369_18
; %bb.11:
	v_subrev_nc_u32_e32 v14, s16, v7
	s_mov_b32 s0, 0
	s_branch .LBB369_13
.LBB369_12:                             ;   in Loop: Header=BB369_13 Depth=1
	s_or_b32 exec_lo, exec_lo, s17
	v_add_nc_u32_e32 v6, s2, v6
	s_delay_alu instid0(VALU_DEP_1) | instskip(SKIP_1) | instid1(SALU_CYCLE_1)
	v_cmp_le_i32_e32 vcc_lo, s3, v6
	s_or_b32 s0, vcc_lo, s0
	s_and_not1_b32 exec_lo, exec_lo, s0
	s_cbranch_execz .LBB369_18
.LBB369_13:                             ; =>This Loop Header: Depth=1
                                        ;     Child Loop BB369_16 Depth 2
	s_wait_kmcnt 0x0
	s_clause 0x1
	global_load_b32 v0, v6, s[6:7] scale_offset
	global_load_b32 v1, v6, s[4:5] scale_offset
	s_mov_b32 s17, exec_lo
	s_wait_loadcnt 0x1
	v_subrev_nc_u32_e32 v15, s16, v0
	s_wait_loadcnt 0x0
	v_add_nc_u32_e32 v0, v1, v14
	s_wait_xcnt 0x0
	s_delay_alu instid0(VALU_DEP_1)
	v_cmpx_lt_i32_e64 v0, v15
	s_cbranch_execz .LBB369_12
; %bb.14:                               ;   in Loop: Header=BB369_13 Depth=1
	v_ashrrev_i32_e32 v7, 31, v6
	s_mov_b32 s18, 0
	s_delay_alu instid0(VALU_DEP_1) | instskip(SKIP_4) | instid1(VALU_DEP_2)
	v_lshl_add_u64 v[8:9], v[6:7], 4, s[12:13]
	global_load_b128 v[16:19], v[8:9], off
	s_wait_loadcnt 0x0
	v_mul_f64_e64 v[8:9], v[18:19], -v[4:5]
	v_mul_f64_e32 v[10:11], v[2:3], v[18:19]
	v_fmac_f64_e32 v[8:9], v[2:3], v[16:17]
	s_delay_alu instid0(VALU_DEP_2)
	v_fmac_f64_e32 v[10:11], v[4:5], v[16:17]
	s_branch .LBB369_16
.LBB369_15:                             ;   in Loop: Header=BB369_16 Depth=2
	s_wait_xcnt 0x0
	s_or_b32 exec_lo, exec_lo, s19
	v_add_nc_u32_e32 v0, 4, v0
	s_delay_alu instid0(VALU_DEP_1) | instskip(SKIP_1) | instid1(SALU_CYCLE_1)
	v_cmp_ge_i32_e32 vcc_lo, v0, v15
	s_or_b32 s18, vcc_lo, s18
	s_and_not1_b32 exec_lo, exec_lo, s18
	s_cbranch_execz .LBB369_12
.LBB369_16:                             ;   Parent Loop BB369_13 Depth=1
                                        ; =>  This Inner Loop Header: Depth=2
	global_load_b32 v1, v0, s[8:9] scale_offset
	s_mov_b32 s19, exec_lo
	s_wait_loadcnt 0x0
	v_subrev_nc_u32_e32 v12, s16, v1
	v_ashrrev_i32_e32 v1, 31, v0
	s_wait_xcnt 0x0
	s_delay_alu instid0(VALU_DEP_2)
	v_cmpx_ne_u32_e64 v12, v6
	s_cbranch_execz .LBB369_15
; %bb.17:                               ;   in Loop: Header=BB369_16 Depth=2
	s_delay_alu instid0(VALU_DEP_2)
	v_lshl_add_u64 v[16:17], v[0:1], 3, s[10:11]
	v_ashrrev_i32_e32 v13, 31, v12
	global_load_b64 v[16:17], v[16:17], off
	v_lshl_add_u64 v[12:13], v[12:13], 4, s[14:15]
	s_wait_loadcnt 0x0
	v_cndmask_b32_e64 v1, v17, -v17, s1
	s_wait_xcnt 0x0
	v_cvt_f64_f32_e32 v[16:17], v16
	s_delay_alu instid0(VALU_DEP_2) | instskip(NEXT) | instid1(VALU_DEP_1)
	v_cvt_f64_f32_e32 v[18:19], v1
	v_mul_f64_e64 v[20:21], -v[10:11], v[18:19]
	v_mul_f64_e32 v[18:19], v[8:9], v[18:19]
	s_delay_alu instid0(VALU_DEP_2) | instskip(NEXT) | instid1(VALU_DEP_2)
	v_fmac_f64_e32 v[20:21], v[8:9], v[16:17]
	v_fmac_f64_e32 v[18:19], v[10:11], v[16:17]
	global_atomic_add_f64 v[12:13], v[20:21], off scope:SCOPE_DEV
	s_wait_xcnt 0x0
	global_atomic_add_f64 v[12:13], v[18:19], off offset:8 scope:SCOPE_DEV
	s_branch .LBB369_15
.LBB369_18:
	s_endpgm
	.section	.rodata,"a",@progbits
	.p2align	6, 0x0
	.amdhsa_kernel _ZN9rocsparseL21csrmvt_general_kernelILj256ELj4Eii21rocsparse_complex_numIfES1_IdES3_S3_EEvbbT2_NS_24const_host_device_scalarIT6_EEPKT1_SA_PKS4_PKT3_PKT4_PT5_21rocsparse_index_base_b
		.amdhsa_group_segment_fixed_size 0
		.amdhsa_private_segment_fixed_size 0
		.amdhsa_kernarg_size 336
		.amdhsa_user_sgpr_count 2
		.amdhsa_user_sgpr_dispatch_ptr 0
		.amdhsa_user_sgpr_queue_ptr 0
		.amdhsa_user_sgpr_kernarg_segment_ptr 1
		.amdhsa_user_sgpr_dispatch_id 0
		.amdhsa_user_sgpr_kernarg_preload_length 0
		.amdhsa_user_sgpr_kernarg_preload_offset 0
		.amdhsa_user_sgpr_private_segment_size 0
		.amdhsa_wavefront_size32 1
		.amdhsa_uses_dynamic_stack 0
		.amdhsa_enable_private_segment 0
		.amdhsa_system_sgpr_workgroup_id_x 1
		.amdhsa_system_sgpr_workgroup_id_y 0
		.amdhsa_system_sgpr_workgroup_id_z 0
		.amdhsa_system_sgpr_workgroup_info 0
		.amdhsa_system_vgpr_workitem_id 0
		.amdhsa_next_free_vgpr 22
		.amdhsa_next_free_sgpr 21
		.amdhsa_named_barrier_count 0
		.amdhsa_reserve_vcc 1
		.amdhsa_float_round_mode_32 0
		.amdhsa_float_round_mode_16_64 0
		.amdhsa_float_denorm_mode_32 3
		.amdhsa_float_denorm_mode_16_64 3
		.amdhsa_fp16_overflow 0
		.amdhsa_memory_ordered 1
		.amdhsa_forward_progress 1
		.amdhsa_inst_pref_size 8
		.amdhsa_round_robin_scheduling 0
		.amdhsa_exception_fp_ieee_invalid_op 0
		.amdhsa_exception_fp_denorm_src 0
		.amdhsa_exception_fp_ieee_div_zero 0
		.amdhsa_exception_fp_ieee_overflow 0
		.amdhsa_exception_fp_ieee_underflow 0
		.amdhsa_exception_fp_ieee_inexact 0
		.amdhsa_exception_int_div_zero 0
	.end_amdhsa_kernel
	.section	.text._ZN9rocsparseL21csrmvt_general_kernelILj256ELj4Eii21rocsparse_complex_numIfES1_IdES3_S3_EEvbbT2_NS_24const_host_device_scalarIT6_EEPKT1_SA_PKS4_PKT3_PKT4_PT5_21rocsparse_index_base_b,"axG",@progbits,_ZN9rocsparseL21csrmvt_general_kernelILj256ELj4Eii21rocsparse_complex_numIfES1_IdES3_S3_EEvbbT2_NS_24const_host_device_scalarIT6_EEPKT1_SA_PKS4_PKT3_PKT4_PT5_21rocsparse_index_base_b,comdat
.Lfunc_end369:
	.size	_ZN9rocsparseL21csrmvt_general_kernelILj256ELj4Eii21rocsparse_complex_numIfES1_IdES3_S3_EEvbbT2_NS_24const_host_device_scalarIT6_EEPKT1_SA_PKS4_PKT3_PKT4_PT5_21rocsparse_index_base_b, .Lfunc_end369-_ZN9rocsparseL21csrmvt_general_kernelILj256ELj4Eii21rocsparse_complex_numIfES1_IdES3_S3_EEvbbT2_NS_24const_host_device_scalarIT6_EEPKT1_SA_PKS4_PKT3_PKT4_PT5_21rocsparse_index_base_b
                                        ; -- End function
	.set _ZN9rocsparseL21csrmvt_general_kernelILj256ELj4Eii21rocsparse_complex_numIfES1_IdES3_S3_EEvbbT2_NS_24const_host_device_scalarIT6_EEPKT1_SA_PKS4_PKT3_PKT4_PT5_21rocsparse_index_base_b.num_vgpr, 22
	.set _ZN9rocsparseL21csrmvt_general_kernelILj256ELj4Eii21rocsparse_complex_numIfES1_IdES3_S3_EEvbbT2_NS_24const_host_device_scalarIT6_EEPKT1_SA_PKS4_PKT3_PKT4_PT5_21rocsparse_index_base_b.num_agpr, 0
	.set _ZN9rocsparseL21csrmvt_general_kernelILj256ELj4Eii21rocsparse_complex_numIfES1_IdES3_S3_EEvbbT2_NS_24const_host_device_scalarIT6_EEPKT1_SA_PKS4_PKT3_PKT4_PT5_21rocsparse_index_base_b.numbered_sgpr, 21
	.set _ZN9rocsparseL21csrmvt_general_kernelILj256ELj4Eii21rocsparse_complex_numIfES1_IdES3_S3_EEvbbT2_NS_24const_host_device_scalarIT6_EEPKT1_SA_PKS4_PKT3_PKT4_PT5_21rocsparse_index_base_b.num_named_barrier, 0
	.set _ZN9rocsparseL21csrmvt_general_kernelILj256ELj4Eii21rocsparse_complex_numIfES1_IdES3_S3_EEvbbT2_NS_24const_host_device_scalarIT6_EEPKT1_SA_PKS4_PKT3_PKT4_PT5_21rocsparse_index_base_b.private_seg_size, 0
	.set _ZN9rocsparseL21csrmvt_general_kernelILj256ELj4Eii21rocsparse_complex_numIfES1_IdES3_S3_EEvbbT2_NS_24const_host_device_scalarIT6_EEPKT1_SA_PKS4_PKT3_PKT4_PT5_21rocsparse_index_base_b.uses_vcc, 1
	.set _ZN9rocsparseL21csrmvt_general_kernelILj256ELj4Eii21rocsparse_complex_numIfES1_IdES3_S3_EEvbbT2_NS_24const_host_device_scalarIT6_EEPKT1_SA_PKS4_PKT3_PKT4_PT5_21rocsparse_index_base_b.uses_flat_scratch, 0
	.set _ZN9rocsparseL21csrmvt_general_kernelILj256ELj4Eii21rocsparse_complex_numIfES1_IdES3_S3_EEvbbT2_NS_24const_host_device_scalarIT6_EEPKT1_SA_PKS4_PKT3_PKT4_PT5_21rocsparse_index_base_b.has_dyn_sized_stack, 0
	.set _ZN9rocsparseL21csrmvt_general_kernelILj256ELj4Eii21rocsparse_complex_numIfES1_IdES3_S3_EEvbbT2_NS_24const_host_device_scalarIT6_EEPKT1_SA_PKS4_PKT3_PKT4_PT5_21rocsparse_index_base_b.has_recursion, 0
	.set _ZN9rocsparseL21csrmvt_general_kernelILj256ELj4Eii21rocsparse_complex_numIfES1_IdES3_S3_EEvbbT2_NS_24const_host_device_scalarIT6_EEPKT1_SA_PKS4_PKT3_PKT4_PT5_21rocsparse_index_base_b.has_indirect_call, 0
	.section	.AMDGPU.csdata,"",@progbits
; Kernel info:
; codeLenInByte = 996
; TotalNumSgprs: 23
; NumVgprs: 22
; ScratchSize: 0
; MemoryBound: 0
; FloatMode: 240
; IeeeMode: 1
; LDSByteSize: 0 bytes/workgroup (compile time only)
; SGPRBlocks: 0
; VGPRBlocks: 1
; NumSGPRsForWavesPerEU: 23
; NumVGPRsForWavesPerEU: 22
; NamedBarCnt: 0
; Occupancy: 16
; WaveLimiterHint : 1
; COMPUTE_PGM_RSRC2:SCRATCH_EN: 0
; COMPUTE_PGM_RSRC2:USER_SGPR: 2
; COMPUTE_PGM_RSRC2:TRAP_HANDLER: 0
; COMPUTE_PGM_RSRC2:TGID_X_EN: 1
; COMPUTE_PGM_RSRC2:TGID_Y_EN: 0
; COMPUTE_PGM_RSRC2:TGID_Z_EN: 0
; COMPUTE_PGM_RSRC2:TIDIG_COMP_CNT: 0
	.section	.text._ZN9rocsparseL21csrmvt_general_kernelILj256ELj8Eii21rocsparse_complex_numIfES1_IdES3_S3_EEvbbT2_NS_24const_host_device_scalarIT6_EEPKT1_SA_PKS4_PKT3_PKT4_PT5_21rocsparse_index_base_b,"axG",@progbits,_ZN9rocsparseL21csrmvt_general_kernelILj256ELj8Eii21rocsparse_complex_numIfES1_IdES3_S3_EEvbbT2_NS_24const_host_device_scalarIT6_EEPKT1_SA_PKS4_PKT3_PKT4_PT5_21rocsparse_index_base_b,comdat
	.globl	_ZN9rocsparseL21csrmvt_general_kernelILj256ELj8Eii21rocsparse_complex_numIfES1_IdES3_S3_EEvbbT2_NS_24const_host_device_scalarIT6_EEPKT1_SA_PKS4_PKT3_PKT4_PT5_21rocsparse_index_base_b ; -- Begin function _ZN9rocsparseL21csrmvt_general_kernelILj256ELj8Eii21rocsparse_complex_numIfES1_IdES3_S3_EEvbbT2_NS_24const_host_device_scalarIT6_EEPKT1_SA_PKS4_PKT3_PKT4_PT5_21rocsparse_index_base_b
	.p2align	8
	.type	_ZN9rocsparseL21csrmvt_general_kernelILj256ELj8Eii21rocsparse_complex_numIfES1_IdES3_S3_EEvbbT2_NS_24const_host_device_scalarIT6_EEPKT1_SA_PKS4_PKT3_PKT4_PT5_21rocsparse_index_base_b,@function
_ZN9rocsparseL21csrmvt_general_kernelILj256ELj8Eii21rocsparse_complex_numIfES1_IdES3_S3_EEvbbT2_NS_24const_host_device_scalarIT6_EEPKT1_SA_PKS4_PKT3_PKT4_PT5_21rocsparse_index_base_b: ; @_ZN9rocsparseL21csrmvt_general_kernelILj256ELj8Eii21rocsparse_complex_numIfES1_IdES3_S3_EEvbbT2_NS_24const_host_device_scalarIT6_EEPKT1_SA_PKS4_PKT3_PKT4_PT5_21rocsparse_index_base_b
; %bb.0:
	s_clause 0x1
	s_load_b64 s[16:17], s[0:1], 0x48
	s_load_b64 s[2:3], s[0:1], 0x8
	v_mov_b32_e32 v1, 0
	s_add_nc_u64 s[4:5], s[0:1], 8
	s_wait_kmcnt 0x0
	s_bitcmp1_b32 s17, 0
	s_cselect_b32 s3, s5, s3
	s_cselect_b32 s2, s4, s2
	flat_load_b128 v[2:5], v1, s[2:3]
	s_wait_loadcnt_dscnt 0x0
	v_cmp_neq_f64_e32 vcc_lo, 0, v[2:3]
	v_cmp_neq_f64_e64 s2, 0, v[4:5]
	s_or_b32 s2, vcc_lo, s2
	s_delay_alu instid0(SALU_CYCLE_1)
	s_and_saveexec_b32 s3, s2
	s_cbranch_execz .LBB370_18
; %bb.1:
	s_clause 0x3
	s_load_b32 s4, s[0:1], 0x0
	s_load_b64 s[2:3], s[0:1], 0x0
	s_load_b32 s17, s[0:1], 0x50
	s_load_b128 s[12:15], s[0:1], 0x38
	s_getreg_b32 s19, hwreg(HW_REG_IB_STS2, 6, 4)
	v_and_b32_e32 v7, 7, v0
	s_wait_kmcnt 0x0
	s_and_b32 s18, s4, 1
	s_bitcmp1_b32 s2, 8
	s_load_b256 s[4:11], s[0:1], 0x18
	s_wait_xcnt 0x0
	s_cselect_b32 s1, -1, 0
	s_bfe_u32 s0, ttmp6, 0x4000c
	s_lshl_b32 s2, s17, 5
	s_add_co_i32 s0, s0, 1
	s_and_b32 s17, ttmp6, 15
	s_mul_i32 s0, ttmp9, s0
	s_delay_alu instid0(SALU_CYCLE_1)
	s_add_co_i32 s17, s17, s0
	s_cmp_eq_u32 s19, 0
	s_cselect_b32 s0, ttmp9, s17
	s_cmp_eq_u32 s18, 0
	v_lshl_or_b32 v1, s0, 8, v0
	s_mov_b32 s17, -1
	s_delay_alu instid0(VALU_DEP_1) | instskip(NEXT) | instid1(VALU_DEP_1)
	v_lshrrev_b32_e32 v6, 3, v1
	v_cmp_gt_i32_e64 s0, s3, v6
	s_cbranch_scc0 .LBB370_9
; %bb.2:
	s_and_saveexec_b32 s17, s0
	s_cbranch_execz .LBB370_8
; %bb.3:
	v_subrev_nc_u32_e32 v12, s16, v7
	v_mov_b32_e32 v0, v6
	s_mov_b32 s18, 0
	s_branch .LBB370_5
.LBB370_4:                              ;   in Loop: Header=BB370_5 Depth=1
	s_or_b32 exec_lo, exec_lo, s19
	v_add_nc_u32_e32 v0, s2, v0
	s_delay_alu instid0(VALU_DEP_1) | instskip(SKIP_1) | instid1(SALU_CYCLE_1)
	v_cmp_le_i32_e32 vcc_lo, s3, v0
	s_or_b32 s18, vcc_lo, s18
	s_and_not1_b32 exec_lo, exec_lo, s18
	s_cbranch_execz .LBB370_8
.LBB370_5:                              ; =>This Loop Header: Depth=1
                                        ;     Child Loop BB370_7 Depth 2
	s_wait_kmcnt 0x0
	s_clause 0x1
	global_load_b32 v1, v0, s[6:7] scale_offset
	global_load_b32 v8, v0, s[4:5] scale_offset
	s_mov_b32 s19, exec_lo
	s_wait_loadcnt 0x1
	v_subrev_nc_u32_e32 v13, s16, v1
	s_wait_loadcnt 0x0
	v_add_nc_u32_e32 v14, v8, v12
	s_wait_xcnt 0x0
	s_delay_alu instid0(VALU_DEP_1)
	v_cmpx_lt_i32_e64 v14, v13
	s_cbranch_execz .LBB370_4
; %bb.6:                                ;   in Loop: Header=BB370_5 Depth=1
	v_ashrrev_i32_e32 v1, 31, v0
	s_mov_b32 s20, 0
	s_delay_alu instid0(VALU_DEP_1)
	v_lshl_add_u64 v[8:9], v[0:1], 4, s[12:13]
	global_load_b128 v[16:19], v[8:9], off
	s_wait_loadcnt 0x0
	s_wait_xcnt 0x0
	v_mul_f64_e64 v[8:9], v[18:19], -v[4:5]
	v_mul_f64_e32 v[10:11], v[2:3], v[18:19]
	s_delay_alu instid0(VALU_DEP_2) | instskip(NEXT) | instid1(VALU_DEP_2)
	v_fmac_f64_e32 v[8:9], v[2:3], v[16:17]
	v_fmac_f64_e32 v[10:11], v[4:5], v[16:17]
.LBB370_7:                              ;   Parent Loop BB370_5 Depth=1
                                        ; =>  This Inner Loop Header: Depth=2
	s_clause 0x1
	global_load_b64 v[16:17], v14, s[10:11] scale_offset
	global_load_b32 v1, v14, s[8:9] scale_offset
	s_wait_xcnt 0x0
	v_add_nc_u32_e32 v14, 8, v14
	s_delay_alu instid0(VALU_DEP_1) | instskip(SKIP_4) | instid1(VALU_DEP_2)
	v_cmp_ge_i32_e32 vcc_lo, v14, v13
	s_or_b32 s20, vcc_lo, s20
	s_wait_loadcnt 0x1
	v_cndmask_b32_e64 v15, v17, -v17, s1
	v_cvt_f64_f32_e32 v[16:17], v16
	v_cvt_f64_f32_e32 v[18:19], v15
	s_delay_alu instid0(VALU_DEP_1) | instskip(SKIP_1) | instid1(VALU_DEP_2)
	v_mul_f64_e64 v[20:21], -v[10:11], v[18:19]
	v_mul_f64_e32 v[18:19], v[8:9], v[18:19]
	v_fmac_f64_e32 v[20:21], v[8:9], v[16:17]
	s_delay_alu instid0(VALU_DEP_2) | instskip(SKIP_2) | instid1(VALU_DEP_1)
	v_fmac_f64_e32 v[18:19], v[10:11], v[16:17]
	s_wait_loadcnt 0x0
	v_subrev_nc_u32_e32 v16, s16, v1
	v_ashrrev_i32_e32 v17, 31, v16
	s_delay_alu instid0(VALU_DEP_1)
	v_lshl_add_u64 v[16:17], v[16:17], 4, s[14:15]
	global_atomic_add_f64 v[16:17], v[20:21], off scope:SCOPE_DEV
	s_wait_xcnt 0x0
	global_atomic_add_f64 v[16:17], v[18:19], off offset:8 scope:SCOPE_DEV
	s_wait_xcnt 0x0
	s_and_not1_b32 exec_lo, exec_lo, s20
	s_cbranch_execnz .LBB370_7
	s_branch .LBB370_4
.LBB370_8:
	s_or_b32 exec_lo, exec_lo, s17
	s_mov_b32 s17, 0
.LBB370_9:
	s_delay_alu instid0(SALU_CYCLE_1)
	s_and_not1_b32 vcc_lo, exec_lo, s17
	s_cbranch_vccnz .LBB370_18
; %bb.10:
	s_and_b32 exec_lo, exec_lo, s0
	s_cbranch_execz .LBB370_18
; %bb.11:
	v_subrev_nc_u32_e32 v14, s16, v7
	s_mov_b32 s0, 0
	s_branch .LBB370_13
.LBB370_12:                             ;   in Loop: Header=BB370_13 Depth=1
	s_or_b32 exec_lo, exec_lo, s17
	v_add_nc_u32_e32 v6, s2, v6
	s_delay_alu instid0(VALU_DEP_1) | instskip(SKIP_1) | instid1(SALU_CYCLE_1)
	v_cmp_le_i32_e32 vcc_lo, s3, v6
	s_or_b32 s0, vcc_lo, s0
	s_and_not1_b32 exec_lo, exec_lo, s0
	s_cbranch_execz .LBB370_18
.LBB370_13:                             ; =>This Loop Header: Depth=1
                                        ;     Child Loop BB370_16 Depth 2
	s_wait_kmcnt 0x0
	s_clause 0x1
	global_load_b32 v0, v6, s[6:7] scale_offset
	global_load_b32 v1, v6, s[4:5] scale_offset
	s_mov_b32 s17, exec_lo
	s_wait_loadcnt 0x1
	v_subrev_nc_u32_e32 v15, s16, v0
	s_wait_loadcnt 0x0
	v_add_nc_u32_e32 v0, v1, v14
	s_wait_xcnt 0x0
	s_delay_alu instid0(VALU_DEP_1)
	v_cmpx_lt_i32_e64 v0, v15
	s_cbranch_execz .LBB370_12
; %bb.14:                               ;   in Loop: Header=BB370_13 Depth=1
	v_ashrrev_i32_e32 v7, 31, v6
	s_mov_b32 s18, 0
	s_delay_alu instid0(VALU_DEP_1) | instskip(SKIP_4) | instid1(VALU_DEP_2)
	v_lshl_add_u64 v[8:9], v[6:7], 4, s[12:13]
	global_load_b128 v[16:19], v[8:9], off
	s_wait_loadcnt 0x0
	v_mul_f64_e64 v[8:9], v[18:19], -v[4:5]
	v_mul_f64_e32 v[10:11], v[2:3], v[18:19]
	v_fmac_f64_e32 v[8:9], v[2:3], v[16:17]
	s_delay_alu instid0(VALU_DEP_2)
	v_fmac_f64_e32 v[10:11], v[4:5], v[16:17]
	s_branch .LBB370_16
.LBB370_15:                             ;   in Loop: Header=BB370_16 Depth=2
	s_wait_xcnt 0x0
	s_or_b32 exec_lo, exec_lo, s19
	v_add_nc_u32_e32 v0, 8, v0
	s_delay_alu instid0(VALU_DEP_1) | instskip(SKIP_1) | instid1(SALU_CYCLE_1)
	v_cmp_ge_i32_e32 vcc_lo, v0, v15
	s_or_b32 s18, vcc_lo, s18
	s_and_not1_b32 exec_lo, exec_lo, s18
	s_cbranch_execz .LBB370_12
.LBB370_16:                             ;   Parent Loop BB370_13 Depth=1
                                        ; =>  This Inner Loop Header: Depth=2
	global_load_b32 v1, v0, s[8:9] scale_offset
	s_mov_b32 s19, exec_lo
	s_wait_loadcnt 0x0
	v_subrev_nc_u32_e32 v12, s16, v1
	v_ashrrev_i32_e32 v1, 31, v0
	s_wait_xcnt 0x0
	s_delay_alu instid0(VALU_DEP_2)
	v_cmpx_ne_u32_e64 v12, v6
	s_cbranch_execz .LBB370_15
; %bb.17:                               ;   in Loop: Header=BB370_16 Depth=2
	s_delay_alu instid0(VALU_DEP_2)
	v_lshl_add_u64 v[16:17], v[0:1], 3, s[10:11]
	v_ashrrev_i32_e32 v13, 31, v12
	global_load_b64 v[16:17], v[16:17], off
	v_lshl_add_u64 v[12:13], v[12:13], 4, s[14:15]
	s_wait_loadcnt 0x0
	v_cndmask_b32_e64 v1, v17, -v17, s1
	s_wait_xcnt 0x0
	v_cvt_f64_f32_e32 v[16:17], v16
	s_delay_alu instid0(VALU_DEP_2) | instskip(NEXT) | instid1(VALU_DEP_1)
	v_cvt_f64_f32_e32 v[18:19], v1
	v_mul_f64_e64 v[20:21], -v[10:11], v[18:19]
	v_mul_f64_e32 v[18:19], v[8:9], v[18:19]
	s_delay_alu instid0(VALU_DEP_2) | instskip(NEXT) | instid1(VALU_DEP_2)
	v_fmac_f64_e32 v[20:21], v[8:9], v[16:17]
	v_fmac_f64_e32 v[18:19], v[10:11], v[16:17]
	global_atomic_add_f64 v[12:13], v[20:21], off scope:SCOPE_DEV
	s_wait_xcnt 0x0
	global_atomic_add_f64 v[12:13], v[18:19], off offset:8 scope:SCOPE_DEV
	s_branch .LBB370_15
.LBB370_18:
	s_endpgm
	.section	.rodata,"a",@progbits
	.p2align	6, 0x0
	.amdhsa_kernel _ZN9rocsparseL21csrmvt_general_kernelILj256ELj8Eii21rocsparse_complex_numIfES1_IdES3_S3_EEvbbT2_NS_24const_host_device_scalarIT6_EEPKT1_SA_PKS4_PKT3_PKT4_PT5_21rocsparse_index_base_b
		.amdhsa_group_segment_fixed_size 0
		.amdhsa_private_segment_fixed_size 0
		.amdhsa_kernarg_size 336
		.amdhsa_user_sgpr_count 2
		.amdhsa_user_sgpr_dispatch_ptr 0
		.amdhsa_user_sgpr_queue_ptr 0
		.amdhsa_user_sgpr_kernarg_segment_ptr 1
		.amdhsa_user_sgpr_dispatch_id 0
		.amdhsa_user_sgpr_kernarg_preload_length 0
		.amdhsa_user_sgpr_kernarg_preload_offset 0
		.amdhsa_user_sgpr_private_segment_size 0
		.amdhsa_wavefront_size32 1
		.amdhsa_uses_dynamic_stack 0
		.amdhsa_enable_private_segment 0
		.amdhsa_system_sgpr_workgroup_id_x 1
		.amdhsa_system_sgpr_workgroup_id_y 0
		.amdhsa_system_sgpr_workgroup_id_z 0
		.amdhsa_system_sgpr_workgroup_info 0
		.amdhsa_system_vgpr_workitem_id 0
		.amdhsa_next_free_vgpr 22
		.amdhsa_next_free_sgpr 21
		.amdhsa_named_barrier_count 0
		.amdhsa_reserve_vcc 1
		.amdhsa_float_round_mode_32 0
		.amdhsa_float_round_mode_16_64 0
		.amdhsa_float_denorm_mode_32 3
		.amdhsa_float_denorm_mode_16_64 3
		.amdhsa_fp16_overflow 0
		.amdhsa_memory_ordered 1
		.amdhsa_forward_progress 1
		.amdhsa_inst_pref_size 8
		.amdhsa_round_robin_scheduling 0
		.amdhsa_exception_fp_ieee_invalid_op 0
		.amdhsa_exception_fp_denorm_src 0
		.amdhsa_exception_fp_ieee_div_zero 0
		.amdhsa_exception_fp_ieee_overflow 0
		.amdhsa_exception_fp_ieee_underflow 0
		.amdhsa_exception_fp_ieee_inexact 0
		.amdhsa_exception_int_div_zero 0
	.end_amdhsa_kernel
	.section	.text._ZN9rocsparseL21csrmvt_general_kernelILj256ELj8Eii21rocsparse_complex_numIfES1_IdES3_S3_EEvbbT2_NS_24const_host_device_scalarIT6_EEPKT1_SA_PKS4_PKT3_PKT4_PT5_21rocsparse_index_base_b,"axG",@progbits,_ZN9rocsparseL21csrmvt_general_kernelILj256ELj8Eii21rocsparse_complex_numIfES1_IdES3_S3_EEvbbT2_NS_24const_host_device_scalarIT6_EEPKT1_SA_PKS4_PKT3_PKT4_PT5_21rocsparse_index_base_b,comdat
.Lfunc_end370:
	.size	_ZN9rocsparseL21csrmvt_general_kernelILj256ELj8Eii21rocsparse_complex_numIfES1_IdES3_S3_EEvbbT2_NS_24const_host_device_scalarIT6_EEPKT1_SA_PKS4_PKT3_PKT4_PT5_21rocsparse_index_base_b, .Lfunc_end370-_ZN9rocsparseL21csrmvt_general_kernelILj256ELj8Eii21rocsparse_complex_numIfES1_IdES3_S3_EEvbbT2_NS_24const_host_device_scalarIT6_EEPKT1_SA_PKS4_PKT3_PKT4_PT5_21rocsparse_index_base_b
                                        ; -- End function
	.set _ZN9rocsparseL21csrmvt_general_kernelILj256ELj8Eii21rocsparse_complex_numIfES1_IdES3_S3_EEvbbT2_NS_24const_host_device_scalarIT6_EEPKT1_SA_PKS4_PKT3_PKT4_PT5_21rocsparse_index_base_b.num_vgpr, 22
	.set _ZN9rocsparseL21csrmvt_general_kernelILj256ELj8Eii21rocsparse_complex_numIfES1_IdES3_S3_EEvbbT2_NS_24const_host_device_scalarIT6_EEPKT1_SA_PKS4_PKT3_PKT4_PT5_21rocsparse_index_base_b.num_agpr, 0
	.set _ZN9rocsparseL21csrmvt_general_kernelILj256ELj8Eii21rocsparse_complex_numIfES1_IdES3_S3_EEvbbT2_NS_24const_host_device_scalarIT6_EEPKT1_SA_PKS4_PKT3_PKT4_PT5_21rocsparse_index_base_b.numbered_sgpr, 21
	.set _ZN9rocsparseL21csrmvt_general_kernelILj256ELj8Eii21rocsparse_complex_numIfES1_IdES3_S3_EEvbbT2_NS_24const_host_device_scalarIT6_EEPKT1_SA_PKS4_PKT3_PKT4_PT5_21rocsparse_index_base_b.num_named_barrier, 0
	.set _ZN9rocsparseL21csrmvt_general_kernelILj256ELj8Eii21rocsparse_complex_numIfES1_IdES3_S3_EEvbbT2_NS_24const_host_device_scalarIT6_EEPKT1_SA_PKS4_PKT3_PKT4_PT5_21rocsparse_index_base_b.private_seg_size, 0
	.set _ZN9rocsparseL21csrmvt_general_kernelILj256ELj8Eii21rocsparse_complex_numIfES1_IdES3_S3_EEvbbT2_NS_24const_host_device_scalarIT6_EEPKT1_SA_PKS4_PKT3_PKT4_PT5_21rocsparse_index_base_b.uses_vcc, 1
	.set _ZN9rocsparseL21csrmvt_general_kernelILj256ELj8Eii21rocsparse_complex_numIfES1_IdES3_S3_EEvbbT2_NS_24const_host_device_scalarIT6_EEPKT1_SA_PKS4_PKT3_PKT4_PT5_21rocsparse_index_base_b.uses_flat_scratch, 0
	.set _ZN9rocsparseL21csrmvt_general_kernelILj256ELj8Eii21rocsparse_complex_numIfES1_IdES3_S3_EEvbbT2_NS_24const_host_device_scalarIT6_EEPKT1_SA_PKS4_PKT3_PKT4_PT5_21rocsparse_index_base_b.has_dyn_sized_stack, 0
	.set _ZN9rocsparseL21csrmvt_general_kernelILj256ELj8Eii21rocsparse_complex_numIfES1_IdES3_S3_EEvbbT2_NS_24const_host_device_scalarIT6_EEPKT1_SA_PKS4_PKT3_PKT4_PT5_21rocsparse_index_base_b.has_recursion, 0
	.set _ZN9rocsparseL21csrmvt_general_kernelILj256ELj8Eii21rocsparse_complex_numIfES1_IdES3_S3_EEvbbT2_NS_24const_host_device_scalarIT6_EEPKT1_SA_PKS4_PKT3_PKT4_PT5_21rocsparse_index_base_b.has_indirect_call, 0
	.section	.AMDGPU.csdata,"",@progbits
; Kernel info:
; codeLenInByte = 996
; TotalNumSgprs: 23
; NumVgprs: 22
; ScratchSize: 0
; MemoryBound: 0
; FloatMode: 240
; IeeeMode: 1
; LDSByteSize: 0 bytes/workgroup (compile time only)
; SGPRBlocks: 0
; VGPRBlocks: 1
; NumSGPRsForWavesPerEU: 23
; NumVGPRsForWavesPerEU: 22
; NamedBarCnt: 0
; Occupancy: 16
; WaveLimiterHint : 1
; COMPUTE_PGM_RSRC2:SCRATCH_EN: 0
; COMPUTE_PGM_RSRC2:USER_SGPR: 2
; COMPUTE_PGM_RSRC2:TRAP_HANDLER: 0
; COMPUTE_PGM_RSRC2:TGID_X_EN: 1
; COMPUTE_PGM_RSRC2:TGID_Y_EN: 0
; COMPUTE_PGM_RSRC2:TGID_Z_EN: 0
; COMPUTE_PGM_RSRC2:TIDIG_COMP_CNT: 0
	.section	.text._ZN9rocsparseL21csrmvt_general_kernelILj256ELj16Eii21rocsparse_complex_numIfES1_IdES3_S3_EEvbbT2_NS_24const_host_device_scalarIT6_EEPKT1_SA_PKS4_PKT3_PKT4_PT5_21rocsparse_index_base_b,"axG",@progbits,_ZN9rocsparseL21csrmvt_general_kernelILj256ELj16Eii21rocsparse_complex_numIfES1_IdES3_S3_EEvbbT2_NS_24const_host_device_scalarIT6_EEPKT1_SA_PKS4_PKT3_PKT4_PT5_21rocsparse_index_base_b,comdat
	.globl	_ZN9rocsparseL21csrmvt_general_kernelILj256ELj16Eii21rocsparse_complex_numIfES1_IdES3_S3_EEvbbT2_NS_24const_host_device_scalarIT6_EEPKT1_SA_PKS4_PKT3_PKT4_PT5_21rocsparse_index_base_b ; -- Begin function _ZN9rocsparseL21csrmvt_general_kernelILj256ELj16Eii21rocsparse_complex_numIfES1_IdES3_S3_EEvbbT2_NS_24const_host_device_scalarIT6_EEPKT1_SA_PKS4_PKT3_PKT4_PT5_21rocsparse_index_base_b
	.p2align	8
	.type	_ZN9rocsparseL21csrmvt_general_kernelILj256ELj16Eii21rocsparse_complex_numIfES1_IdES3_S3_EEvbbT2_NS_24const_host_device_scalarIT6_EEPKT1_SA_PKS4_PKT3_PKT4_PT5_21rocsparse_index_base_b,@function
_ZN9rocsparseL21csrmvt_general_kernelILj256ELj16Eii21rocsparse_complex_numIfES1_IdES3_S3_EEvbbT2_NS_24const_host_device_scalarIT6_EEPKT1_SA_PKS4_PKT3_PKT4_PT5_21rocsparse_index_base_b: ; @_ZN9rocsparseL21csrmvt_general_kernelILj256ELj16Eii21rocsparse_complex_numIfES1_IdES3_S3_EEvbbT2_NS_24const_host_device_scalarIT6_EEPKT1_SA_PKS4_PKT3_PKT4_PT5_21rocsparse_index_base_b
; %bb.0:
	s_clause 0x1
	s_load_b64 s[16:17], s[0:1], 0x48
	s_load_b64 s[2:3], s[0:1], 0x8
	v_mov_b32_e32 v1, 0
	s_add_nc_u64 s[4:5], s[0:1], 8
	s_wait_kmcnt 0x0
	s_bitcmp1_b32 s17, 0
	s_cselect_b32 s3, s5, s3
	s_cselect_b32 s2, s4, s2
	flat_load_b128 v[2:5], v1, s[2:3]
	s_wait_loadcnt_dscnt 0x0
	v_cmp_neq_f64_e32 vcc_lo, 0, v[2:3]
	v_cmp_neq_f64_e64 s2, 0, v[4:5]
	s_or_b32 s2, vcc_lo, s2
	s_delay_alu instid0(SALU_CYCLE_1)
	s_and_saveexec_b32 s3, s2
	s_cbranch_execz .LBB371_18
; %bb.1:
	s_clause 0x3
	s_load_b32 s4, s[0:1], 0x0
	s_load_b64 s[2:3], s[0:1], 0x0
	s_load_b32 s17, s[0:1], 0x50
	s_load_b128 s[12:15], s[0:1], 0x38
	s_getreg_b32 s19, hwreg(HW_REG_IB_STS2, 6, 4)
	v_and_b32_e32 v7, 15, v0
	s_wait_kmcnt 0x0
	s_and_b32 s18, s4, 1
	s_bitcmp1_b32 s2, 8
	s_load_b256 s[4:11], s[0:1], 0x18
	s_wait_xcnt 0x0
	s_cselect_b32 s1, -1, 0
	s_bfe_u32 s0, ttmp6, 0x4000c
	s_lshl_b32 s2, s17, 4
	s_add_co_i32 s0, s0, 1
	s_and_b32 s17, ttmp6, 15
	s_mul_i32 s0, ttmp9, s0
	s_delay_alu instid0(SALU_CYCLE_1)
	s_add_co_i32 s17, s17, s0
	s_cmp_eq_u32 s19, 0
	s_cselect_b32 s0, ttmp9, s17
	s_cmp_eq_u32 s18, 0
	v_lshl_or_b32 v1, s0, 8, v0
	s_mov_b32 s17, -1
	s_delay_alu instid0(VALU_DEP_1) | instskip(NEXT) | instid1(VALU_DEP_1)
	v_lshrrev_b32_e32 v6, 4, v1
	v_cmp_gt_i32_e64 s0, s3, v6
	s_cbranch_scc0 .LBB371_9
; %bb.2:
	s_and_saveexec_b32 s17, s0
	s_cbranch_execz .LBB371_8
; %bb.3:
	v_subrev_nc_u32_e32 v12, s16, v7
	v_mov_b32_e32 v0, v6
	s_mov_b32 s18, 0
	s_branch .LBB371_5
.LBB371_4:                              ;   in Loop: Header=BB371_5 Depth=1
	s_or_b32 exec_lo, exec_lo, s19
	v_add_nc_u32_e32 v0, s2, v0
	s_delay_alu instid0(VALU_DEP_1) | instskip(SKIP_1) | instid1(SALU_CYCLE_1)
	v_cmp_le_i32_e32 vcc_lo, s3, v0
	s_or_b32 s18, vcc_lo, s18
	s_and_not1_b32 exec_lo, exec_lo, s18
	s_cbranch_execz .LBB371_8
.LBB371_5:                              ; =>This Loop Header: Depth=1
                                        ;     Child Loop BB371_7 Depth 2
	s_wait_kmcnt 0x0
	s_clause 0x1
	global_load_b32 v1, v0, s[6:7] scale_offset
	global_load_b32 v8, v0, s[4:5] scale_offset
	s_mov_b32 s19, exec_lo
	s_wait_loadcnt 0x1
	v_subrev_nc_u32_e32 v13, s16, v1
	s_wait_loadcnt 0x0
	v_add_nc_u32_e32 v14, v8, v12
	s_wait_xcnt 0x0
	s_delay_alu instid0(VALU_DEP_1)
	v_cmpx_lt_i32_e64 v14, v13
	s_cbranch_execz .LBB371_4
; %bb.6:                                ;   in Loop: Header=BB371_5 Depth=1
	v_ashrrev_i32_e32 v1, 31, v0
	s_mov_b32 s20, 0
	s_delay_alu instid0(VALU_DEP_1)
	v_lshl_add_u64 v[8:9], v[0:1], 4, s[12:13]
	global_load_b128 v[16:19], v[8:9], off
	s_wait_loadcnt 0x0
	s_wait_xcnt 0x0
	v_mul_f64_e64 v[8:9], v[18:19], -v[4:5]
	v_mul_f64_e32 v[10:11], v[2:3], v[18:19]
	s_delay_alu instid0(VALU_DEP_2) | instskip(NEXT) | instid1(VALU_DEP_2)
	v_fmac_f64_e32 v[8:9], v[2:3], v[16:17]
	v_fmac_f64_e32 v[10:11], v[4:5], v[16:17]
.LBB371_7:                              ;   Parent Loop BB371_5 Depth=1
                                        ; =>  This Inner Loop Header: Depth=2
	s_clause 0x1
	global_load_b64 v[16:17], v14, s[10:11] scale_offset
	global_load_b32 v1, v14, s[8:9] scale_offset
	s_wait_xcnt 0x0
	v_add_nc_u32_e32 v14, 16, v14
	s_delay_alu instid0(VALU_DEP_1) | instskip(SKIP_4) | instid1(VALU_DEP_2)
	v_cmp_ge_i32_e32 vcc_lo, v14, v13
	s_or_b32 s20, vcc_lo, s20
	s_wait_loadcnt 0x1
	v_cndmask_b32_e64 v15, v17, -v17, s1
	v_cvt_f64_f32_e32 v[16:17], v16
	v_cvt_f64_f32_e32 v[18:19], v15
	s_delay_alu instid0(VALU_DEP_1) | instskip(SKIP_1) | instid1(VALU_DEP_2)
	v_mul_f64_e64 v[20:21], -v[10:11], v[18:19]
	v_mul_f64_e32 v[18:19], v[8:9], v[18:19]
	v_fmac_f64_e32 v[20:21], v[8:9], v[16:17]
	s_delay_alu instid0(VALU_DEP_2) | instskip(SKIP_2) | instid1(VALU_DEP_1)
	v_fmac_f64_e32 v[18:19], v[10:11], v[16:17]
	s_wait_loadcnt 0x0
	v_subrev_nc_u32_e32 v16, s16, v1
	v_ashrrev_i32_e32 v17, 31, v16
	s_delay_alu instid0(VALU_DEP_1)
	v_lshl_add_u64 v[16:17], v[16:17], 4, s[14:15]
	global_atomic_add_f64 v[16:17], v[20:21], off scope:SCOPE_DEV
	s_wait_xcnt 0x0
	global_atomic_add_f64 v[16:17], v[18:19], off offset:8 scope:SCOPE_DEV
	s_wait_xcnt 0x0
	s_and_not1_b32 exec_lo, exec_lo, s20
	s_cbranch_execnz .LBB371_7
	s_branch .LBB371_4
.LBB371_8:
	s_or_b32 exec_lo, exec_lo, s17
	s_mov_b32 s17, 0
.LBB371_9:
	s_delay_alu instid0(SALU_CYCLE_1)
	s_and_not1_b32 vcc_lo, exec_lo, s17
	s_cbranch_vccnz .LBB371_18
; %bb.10:
	s_and_b32 exec_lo, exec_lo, s0
	s_cbranch_execz .LBB371_18
; %bb.11:
	v_subrev_nc_u32_e32 v14, s16, v7
	s_mov_b32 s0, 0
	s_branch .LBB371_13
.LBB371_12:                             ;   in Loop: Header=BB371_13 Depth=1
	s_or_b32 exec_lo, exec_lo, s17
	v_add_nc_u32_e32 v6, s2, v6
	s_delay_alu instid0(VALU_DEP_1) | instskip(SKIP_1) | instid1(SALU_CYCLE_1)
	v_cmp_le_i32_e32 vcc_lo, s3, v6
	s_or_b32 s0, vcc_lo, s0
	s_and_not1_b32 exec_lo, exec_lo, s0
	s_cbranch_execz .LBB371_18
.LBB371_13:                             ; =>This Loop Header: Depth=1
                                        ;     Child Loop BB371_16 Depth 2
	s_wait_kmcnt 0x0
	s_clause 0x1
	global_load_b32 v0, v6, s[6:7] scale_offset
	global_load_b32 v1, v6, s[4:5] scale_offset
	s_mov_b32 s17, exec_lo
	s_wait_loadcnt 0x1
	v_subrev_nc_u32_e32 v15, s16, v0
	s_wait_loadcnt 0x0
	v_add_nc_u32_e32 v0, v1, v14
	s_wait_xcnt 0x0
	s_delay_alu instid0(VALU_DEP_1)
	v_cmpx_lt_i32_e64 v0, v15
	s_cbranch_execz .LBB371_12
; %bb.14:                               ;   in Loop: Header=BB371_13 Depth=1
	v_ashrrev_i32_e32 v7, 31, v6
	s_mov_b32 s18, 0
	s_delay_alu instid0(VALU_DEP_1) | instskip(SKIP_4) | instid1(VALU_DEP_2)
	v_lshl_add_u64 v[8:9], v[6:7], 4, s[12:13]
	global_load_b128 v[16:19], v[8:9], off
	s_wait_loadcnt 0x0
	v_mul_f64_e64 v[8:9], v[18:19], -v[4:5]
	v_mul_f64_e32 v[10:11], v[2:3], v[18:19]
	v_fmac_f64_e32 v[8:9], v[2:3], v[16:17]
	s_delay_alu instid0(VALU_DEP_2)
	v_fmac_f64_e32 v[10:11], v[4:5], v[16:17]
	s_branch .LBB371_16
.LBB371_15:                             ;   in Loop: Header=BB371_16 Depth=2
	s_wait_xcnt 0x0
	s_or_b32 exec_lo, exec_lo, s19
	v_add_nc_u32_e32 v0, 16, v0
	s_delay_alu instid0(VALU_DEP_1) | instskip(SKIP_1) | instid1(SALU_CYCLE_1)
	v_cmp_ge_i32_e32 vcc_lo, v0, v15
	s_or_b32 s18, vcc_lo, s18
	s_and_not1_b32 exec_lo, exec_lo, s18
	s_cbranch_execz .LBB371_12
.LBB371_16:                             ;   Parent Loop BB371_13 Depth=1
                                        ; =>  This Inner Loop Header: Depth=2
	global_load_b32 v1, v0, s[8:9] scale_offset
	s_mov_b32 s19, exec_lo
	s_wait_loadcnt 0x0
	v_subrev_nc_u32_e32 v12, s16, v1
	v_ashrrev_i32_e32 v1, 31, v0
	s_wait_xcnt 0x0
	s_delay_alu instid0(VALU_DEP_2)
	v_cmpx_ne_u32_e64 v12, v6
	s_cbranch_execz .LBB371_15
; %bb.17:                               ;   in Loop: Header=BB371_16 Depth=2
	s_delay_alu instid0(VALU_DEP_2)
	v_lshl_add_u64 v[16:17], v[0:1], 3, s[10:11]
	v_ashrrev_i32_e32 v13, 31, v12
	global_load_b64 v[16:17], v[16:17], off
	v_lshl_add_u64 v[12:13], v[12:13], 4, s[14:15]
	s_wait_loadcnt 0x0
	v_cndmask_b32_e64 v1, v17, -v17, s1
	s_wait_xcnt 0x0
	v_cvt_f64_f32_e32 v[16:17], v16
	s_delay_alu instid0(VALU_DEP_2) | instskip(NEXT) | instid1(VALU_DEP_1)
	v_cvt_f64_f32_e32 v[18:19], v1
	v_mul_f64_e64 v[20:21], -v[10:11], v[18:19]
	v_mul_f64_e32 v[18:19], v[8:9], v[18:19]
	s_delay_alu instid0(VALU_DEP_2) | instskip(NEXT) | instid1(VALU_DEP_2)
	v_fmac_f64_e32 v[20:21], v[8:9], v[16:17]
	v_fmac_f64_e32 v[18:19], v[10:11], v[16:17]
	global_atomic_add_f64 v[12:13], v[20:21], off scope:SCOPE_DEV
	s_wait_xcnt 0x0
	global_atomic_add_f64 v[12:13], v[18:19], off offset:8 scope:SCOPE_DEV
	s_branch .LBB371_15
.LBB371_18:
	s_endpgm
	.section	.rodata,"a",@progbits
	.p2align	6, 0x0
	.amdhsa_kernel _ZN9rocsparseL21csrmvt_general_kernelILj256ELj16Eii21rocsparse_complex_numIfES1_IdES3_S3_EEvbbT2_NS_24const_host_device_scalarIT6_EEPKT1_SA_PKS4_PKT3_PKT4_PT5_21rocsparse_index_base_b
		.amdhsa_group_segment_fixed_size 0
		.amdhsa_private_segment_fixed_size 0
		.amdhsa_kernarg_size 336
		.amdhsa_user_sgpr_count 2
		.amdhsa_user_sgpr_dispatch_ptr 0
		.amdhsa_user_sgpr_queue_ptr 0
		.amdhsa_user_sgpr_kernarg_segment_ptr 1
		.amdhsa_user_sgpr_dispatch_id 0
		.amdhsa_user_sgpr_kernarg_preload_length 0
		.amdhsa_user_sgpr_kernarg_preload_offset 0
		.amdhsa_user_sgpr_private_segment_size 0
		.amdhsa_wavefront_size32 1
		.amdhsa_uses_dynamic_stack 0
		.amdhsa_enable_private_segment 0
		.amdhsa_system_sgpr_workgroup_id_x 1
		.amdhsa_system_sgpr_workgroup_id_y 0
		.amdhsa_system_sgpr_workgroup_id_z 0
		.amdhsa_system_sgpr_workgroup_info 0
		.amdhsa_system_vgpr_workitem_id 0
		.amdhsa_next_free_vgpr 22
		.amdhsa_next_free_sgpr 21
		.amdhsa_named_barrier_count 0
		.amdhsa_reserve_vcc 1
		.amdhsa_float_round_mode_32 0
		.amdhsa_float_round_mode_16_64 0
		.amdhsa_float_denorm_mode_32 3
		.amdhsa_float_denorm_mode_16_64 3
		.amdhsa_fp16_overflow 0
		.amdhsa_memory_ordered 1
		.amdhsa_forward_progress 1
		.amdhsa_inst_pref_size 8
		.amdhsa_round_robin_scheduling 0
		.amdhsa_exception_fp_ieee_invalid_op 0
		.amdhsa_exception_fp_denorm_src 0
		.amdhsa_exception_fp_ieee_div_zero 0
		.amdhsa_exception_fp_ieee_overflow 0
		.amdhsa_exception_fp_ieee_underflow 0
		.amdhsa_exception_fp_ieee_inexact 0
		.amdhsa_exception_int_div_zero 0
	.end_amdhsa_kernel
	.section	.text._ZN9rocsparseL21csrmvt_general_kernelILj256ELj16Eii21rocsparse_complex_numIfES1_IdES3_S3_EEvbbT2_NS_24const_host_device_scalarIT6_EEPKT1_SA_PKS4_PKT3_PKT4_PT5_21rocsparse_index_base_b,"axG",@progbits,_ZN9rocsparseL21csrmvt_general_kernelILj256ELj16Eii21rocsparse_complex_numIfES1_IdES3_S3_EEvbbT2_NS_24const_host_device_scalarIT6_EEPKT1_SA_PKS4_PKT3_PKT4_PT5_21rocsparse_index_base_b,comdat
.Lfunc_end371:
	.size	_ZN9rocsparseL21csrmvt_general_kernelILj256ELj16Eii21rocsparse_complex_numIfES1_IdES3_S3_EEvbbT2_NS_24const_host_device_scalarIT6_EEPKT1_SA_PKS4_PKT3_PKT4_PT5_21rocsparse_index_base_b, .Lfunc_end371-_ZN9rocsparseL21csrmvt_general_kernelILj256ELj16Eii21rocsparse_complex_numIfES1_IdES3_S3_EEvbbT2_NS_24const_host_device_scalarIT6_EEPKT1_SA_PKS4_PKT3_PKT4_PT5_21rocsparse_index_base_b
                                        ; -- End function
	.set _ZN9rocsparseL21csrmvt_general_kernelILj256ELj16Eii21rocsparse_complex_numIfES1_IdES3_S3_EEvbbT2_NS_24const_host_device_scalarIT6_EEPKT1_SA_PKS4_PKT3_PKT4_PT5_21rocsparse_index_base_b.num_vgpr, 22
	.set _ZN9rocsparseL21csrmvt_general_kernelILj256ELj16Eii21rocsparse_complex_numIfES1_IdES3_S3_EEvbbT2_NS_24const_host_device_scalarIT6_EEPKT1_SA_PKS4_PKT3_PKT4_PT5_21rocsparse_index_base_b.num_agpr, 0
	.set _ZN9rocsparseL21csrmvt_general_kernelILj256ELj16Eii21rocsparse_complex_numIfES1_IdES3_S3_EEvbbT2_NS_24const_host_device_scalarIT6_EEPKT1_SA_PKS4_PKT3_PKT4_PT5_21rocsparse_index_base_b.numbered_sgpr, 21
	.set _ZN9rocsparseL21csrmvt_general_kernelILj256ELj16Eii21rocsparse_complex_numIfES1_IdES3_S3_EEvbbT2_NS_24const_host_device_scalarIT6_EEPKT1_SA_PKS4_PKT3_PKT4_PT5_21rocsparse_index_base_b.num_named_barrier, 0
	.set _ZN9rocsparseL21csrmvt_general_kernelILj256ELj16Eii21rocsparse_complex_numIfES1_IdES3_S3_EEvbbT2_NS_24const_host_device_scalarIT6_EEPKT1_SA_PKS4_PKT3_PKT4_PT5_21rocsparse_index_base_b.private_seg_size, 0
	.set _ZN9rocsparseL21csrmvt_general_kernelILj256ELj16Eii21rocsparse_complex_numIfES1_IdES3_S3_EEvbbT2_NS_24const_host_device_scalarIT6_EEPKT1_SA_PKS4_PKT3_PKT4_PT5_21rocsparse_index_base_b.uses_vcc, 1
	.set _ZN9rocsparseL21csrmvt_general_kernelILj256ELj16Eii21rocsparse_complex_numIfES1_IdES3_S3_EEvbbT2_NS_24const_host_device_scalarIT6_EEPKT1_SA_PKS4_PKT3_PKT4_PT5_21rocsparse_index_base_b.uses_flat_scratch, 0
	.set _ZN9rocsparseL21csrmvt_general_kernelILj256ELj16Eii21rocsparse_complex_numIfES1_IdES3_S3_EEvbbT2_NS_24const_host_device_scalarIT6_EEPKT1_SA_PKS4_PKT3_PKT4_PT5_21rocsparse_index_base_b.has_dyn_sized_stack, 0
	.set _ZN9rocsparseL21csrmvt_general_kernelILj256ELj16Eii21rocsparse_complex_numIfES1_IdES3_S3_EEvbbT2_NS_24const_host_device_scalarIT6_EEPKT1_SA_PKS4_PKT3_PKT4_PT5_21rocsparse_index_base_b.has_recursion, 0
	.set _ZN9rocsparseL21csrmvt_general_kernelILj256ELj16Eii21rocsparse_complex_numIfES1_IdES3_S3_EEvbbT2_NS_24const_host_device_scalarIT6_EEPKT1_SA_PKS4_PKT3_PKT4_PT5_21rocsparse_index_base_b.has_indirect_call, 0
	.section	.AMDGPU.csdata,"",@progbits
; Kernel info:
; codeLenInByte = 996
; TotalNumSgprs: 23
; NumVgprs: 22
; ScratchSize: 0
; MemoryBound: 0
; FloatMode: 240
; IeeeMode: 1
; LDSByteSize: 0 bytes/workgroup (compile time only)
; SGPRBlocks: 0
; VGPRBlocks: 1
; NumSGPRsForWavesPerEU: 23
; NumVGPRsForWavesPerEU: 22
; NamedBarCnt: 0
; Occupancy: 16
; WaveLimiterHint : 1
; COMPUTE_PGM_RSRC2:SCRATCH_EN: 0
; COMPUTE_PGM_RSRC2:USER_SGPR: 2
; COMPUTE_PGM_RSRC2:TRAP_HANDLER: 0
; COMPUTE_PGM_RSRC2:TGID_X_EN: 1
; COMPUTE_PGM_RSRC2:TGID_Y_EN: 0
; COMPUTE_PGM_RSRC2:TGID_Z_EN: 0
; COMPUTE_PGM_RSRC2:TIDIG_COMP_CNT: 0
	.section	.text._ZN9rocsparseL21csrmvt_general_kernelILj256ELj32Eii21rocsparse_complex_numIfES1_IdES3_S3_EEvbbT2_NS_24const_host_device_scalarIT6_EEPKT1_SA_PKS4_PKT3_PKT4_PT5_21rocsparse_index_base_b,"axG",@progbits,_ZN9rocsparseL21csrmvt_general_kernelILj256ELj32Eii21rocsparse_complex_numIfES1_IdES3_S3_EEvbbT2_NS_24const_host_device_scalarIT6_EEPKT1_SA_PKS4_PKT3_PKT4_PT5_21rocsparse_index_base_b,comdat
	.globl	_ZN9rocsparseL21csrmvt_general_kernelILj256ELj32Eii21rocsparse_complex_numIfES1_IdES3_S3_EEvbbT2_NS_24const_host_device_scalarIT6_EEPKT1_SA_PKS4_PKT3_PKT4_PT5_21rocsparse_index_base_b ; -- Begin function _ZN9rocsparseL21csrmvt_general_kernelILj256ELj32Eii21rocsparse_complex_numIfES1_IdES3_S3_EEvbbT2_NS_24const_host_device_scalarIT6_EEPKT1_SA_PKS4_PKT3_PKT4_PT5_21rocsparse_index_base_b
	.p2align	8
	.type	_ZN9rocsparseL21csrmvt_general_kernelILj256ELj32Eii21rocsparse_complex_numIfES1_IdES3_S3_EEvbbT2_NS_24const_host_device_scalarIT6_EEPKT1_SA_PKS4_PKT3_PKT4_PT5_21rocsparse_index_base_b,@function
_ZN9rocsparseL21csrmvt_general_kernelILj256ELj32Eii21rocsparse_complex_numIfES1_IdES3_S3_EEvbbT2_NS_24const_host_device_scalarIT6_EEPKT1_SA_PKS4_PKT3_PKT4_PT5_21rocsparse_index_base_b: ; @_ZN9rocsparseL21csrmvt_general_kernelILj256ELj32Eii21rocsparse_complex_numIfES1_IdES3_S3_EEvbbT2_NS_24const_host_device_scalarIT6_EEPKT1_SA_PKS4_PKT3_PKT4_PT5_21rocsparse_index_base_b
; %bb.0:
	s_clause 0x1
	s_load_b64 s[16:17], s[0:1], 0x48
	s_load_b64 s[2:3], s[0:1], 0x8
	v_mov_b32_e32 v1, 0
	s_add_nc_u64 s[4:5], s[0:1], 8
	s_wait_kmcnt 0x0
	s_bitcmp1_b32 s17, 0
	s_cselect_b32 s3, s5, s3
	s_cselect_b32 s2, s4, s2
	flat_load_b128 v[2:5], v1, s[2:3]
	s_wait_loadcnt_dscnt 0x0
	v_cmp_neq_f64_e32 vcc_lo, 0, v[2:3]
	v_cmp_neq_f64_e64 s2, 0, v[4:5]
	s_or_b32 s2, vcc_lo, s2
	s_delay_alu instid0(SALU_CYCLE_1)
	s_and_saveexec_b32 s3, s2
	s_cbranch_execz .LBB372_18
; %bb.1:
	s_clause 0x3
	s_load_b32 s4, s[0:1], 0x0
	s_load_b64 s[2:3], s[0:1], 0x0
	s_load_b32 s17, s[0:1], 0x50
	s_load_b128 s[12:15], s[0:1], 0x38
	s_getreg_b32 s19, hwreg(HW_REG_IB_STS2, 6, 4)
	v_and_b32_e32 v7, 31, v0
	s_wait_kmcnt 0x0
	s_and_b32 s18, s4, 1
	s_bitcmp1_b32 s2, 8
	s_load_b256 s[4:11], s[0:1], 0x18
	s_wait_xcnt 0x0
	s_cselect_b32 s1, -1, 0
	s_bfe_u32 s0, ttmp6, 0x4000c
	s_lshl_b32 s2, s17, 3
	s_add_co_i32 s0, s0, 1
	s_and_b32 s17, ttmp6, 15
	s_mul_i32 s0, ttmp9, s0
	s_delay_alu instid0(SALU_CYCLE_1)
	s_add_co_i32 s17, s17, s0
	s_cmp_eq_u32 s19, 0
	s_cselect_b32 s0, ttmp9, s17
	s_cmp_eq_u32 s18, 0
	v_lshl_or_b32 v1, s0, 8, v0
	s_mov_b32 s17, -1
	s_delay_alu instid0(VALU_DEP_1) | instskip(NEXT) | instid1(VALU_DEP_1)
	v_lshrrev_b32_e32 v6, 5, v1
	v_cmp_gt_i32_e64 s0, s3, v6
	s_cbranch_scc0 .LBB372_9
; %bb.2:
	s_and_saveexec_b32 s17, s0
	s_cbranch_execz .LBB372_8
; %bb.3:
	v_subrev_nc_u32_e32 v12, s16, v7
	v_mov_b32_e32 v0, v6
	s_mov_b32 s18, 0
	s_branch .LBB372_5
.LBB372_4:                              ;   in Loop: Header=BB372_5 Depth=1
	s_or_b32 exec_lo, exec_lo, s19
	v_add_nc_u32_e32 v0, s2, v0
	s_delay_alu instid0(VALU_DEP_1) | instskip(SKIP_1) | instid1(SALU_CYCLE_1)
	v_cmp_le_i32_e32 vcc_lo, s3, v0
	s_or_b32 s18, vcc_lo, s18
	s_and_not1_b32 exec_lo, exec_lo, s18
	s_cbranch_execz .LBB372_8
.LBB372_5:                              ; =>This Loop Header: Depth=1
                                        ;     Child Loop BB372_7 Depth 2
	s_wait_kmcnt 0x0
	s_clause 0x1
	global_load_b32 v1, v0, s[6:7] scale_offset
	global_load_b32 v8, v0, s[4:5] scale_offset
	s_mov_b32 s19, exec_lo
	s_wait_loadcnt 0x1
	v_subrev_nc_u32_e32 v13, s16, v1
	s_wait_loadcnt 0x0
	v_add_nc_u32_e32 v14, v8, v12
	s_wait_xcnt 0x0
	s_delay_alu instid0(VALU_DEP_1)
	v_cmpx_lt_i32_e64 v14, v13
	s_cbranch_execz .LBB372_4
; %bb.6:                                ;   in Loop: Header=BB372_5 Depth=1
	v_ashrrev_i32_e32 v1, 31, v0
	s_mov_b32 s20, 0
	s_delay_alu instid0(VALU_DEP_1)
	v_lshl_add_u64 v[8:9], v[0:1], 4, s[12:13]
	global_load_b128 v[16:19], v[8:9], off
	s_wait_loadcnt 0x0
	s_wait_xcnt 0x0
	v_mul_f64_e64 v[8:9], v[18:19], -v[4:5]
	v_mul_f64_e32 v[10:11], v[2:3], v[18:19]
	s_delay_alu instid0(VALU_DEP_2) | instskip(NEXT) | instid1(VALU_DEP_2)
	v_fmac_f64_e32 v[8:9], v[2:3], v[16:17]
	v_fmac_f64_e32 v[10:11], v[4:5], v[16:17]
.LBB372_7:                              ;   Parent Loop BB372_5 Depth=1
                                        ; =>  This Inner Loop Header: Depth=2
	s_clause 0x1
	global_load_b64 v[16:17], v14, s[10:11] scale_offset
	global_load_b32 v1, v14, s[8:9] scale_offset
	s_wait_xcnt 0x0
	v_add_nc_u32_e32 v14, 32, v14
	s_delay_alu instid0(VALU_DEP_1) | instskip(SKIP_4) | instid1(VALU_DEP_2)
	v_cmp_ge_i32_e32 vcc_lo, v14, v13
	s_or_b32 s20, vcc_lo, s20
	s_wait_loadcnt 0x1
	v_cndmask_b32_e64 v15, v17, -v17, s1
	v_cvt_f64_f32_e32 v[16:17], v16
	v_cvt_f64_f32_e32 v[18:19], v15
	s_delay_alu instid0(VALU_DEP_1) | instskip(SKIP_1) | instid1(VALU_DEP_2)
	v_mul_f64_e64 v[20:21], -v[10:11], v[18:19]
	v_mul_f64_e32 v[18:19], v[8:9], v[18:19]
	v_fmac_f64_e32 v[20:21], v[8:9], v[16:17]
	s_delay_alu instid0(VALU_DEP_2) | instskip(SKIP_2) | instid1(VALU_DEP_1)
	v_fmac_f64_e32 v[18:19], v[10:11], v[16:17]
	s_wait_loadcnt 0x0
	v_subrev_nc_u32_e32 v16, s16, v1
	v_ashrrev_i32_e32 v17, 31, v16
	s_delay_alu instid0(VALU_DEP_1)
	v_lshl_add_u64 v[16:17], v[16:17], 4, s[14:15]
	global_atomic_add_f64 v[16:17], v[20:21], off scope:SCOPE_DEV
	s_wait_xcnt 0x0
	global_atomic_add_f64 v[16:17], v[18:19], off offset:8 scope:SCOPE_DEV
	s_wait_xcnt 0x0
	s_and_not1_b32 exec_lo, exec_lo, s20
	s_cbranch_execnz .LBB372_7
	s_branch .LBB372_4
.LBB372_8:
	s_or_b32 exec_lo, exec_lo, s17
	s_mov_b32 s17, 0
.LBB372_9:
	s_delay_alu instid0(SALU_CYCLE_1)
	s_and_not1_b32 vcc_lo, exec_lo, s17
	s_cbranch_vccnz .LBB372_18
; %bb.10:
	s_and_b32 exec_lo, exec_lo, s0
	s_cbranch_execz .LBB372_18
; %bb.11:
	v_subrev_nc_u32_e32 v14, s16, v7
	s_mov_b32 s0, 0
	s_branch .LBB372_13
.LBB372_12:                             ;   in Loop: Header=BB372_13 Depth=1
	s_or_b32 exec_lo, exec_lo, s17
	v_add_nc_u32_e32 v6, s2, v6
	s_delay_alu instid0(VALU_DEP_1) | instskip(SKIP_1) | instid1(SALU_CYCLE_1)
	v_cmp_le_i32_e32 vcc_lo, s3, v6
	s_or_b32 s0, vcc_lo, s0
	s_and_not1_b32 exec_lo, exec_lo, s0
	s_cbranch_execz .LBB372_18
.LBB372_13:                             ; =>This Loop Header: Depth=1
                                        ;     Child Loop BB372_16 Depth 2
	s_wait_kmcnt 0x0
	s_clause 0x1
	global_load_b32 v0, v6, s[6:7] scale_offset
	global_load_b32 v1, v6, s[4:5] scale_offset
	s_mov_b32 s17, exec_lo
	s_wait_loadcnt 0x1
	v_subrev_nc_u32_e32 v15, s16, v0
	s_wait_loadcnt 0x0
	v_add_nc_u32_e32 v0, v1, v14
	s_wait_xcnt 0x0
	s_delay_alu instid0(VALU_DEP_1)
	v_cmpx_lt_i32_e64 v0, v15
	s_cbranch_execz .LBB372_12
; %bb.14:                               ;   in Loop: Header=BB372_13 Depth=1
	v_ashrrev_i32_e32 v7, 31, v6
	s_mov_b32 s18, 0
	s_delay_alu instid0(VALU_DEP_1) | instskip(SKIP_4) | instid1(VALU_DEP_2)
	v_lshl_add_u64 v[8:9], v[6:7], 4, s[12:13]
	global_load_b128 v[16:19], v[8:9], off
	s_wait_loadcnt 0x0
	v_mul_f64_e64 v[8:9], v[18:19], -v[4:5]
	v_mul_f64_e32 v[10:11], v[2:3], v[18:19]
	v_fmac_f64_e32 v[8:9], v[2:3], v[16:17]
	s_delay_alu instid0(VALU_DEP_2)
	v_fmac_f64_e32 v[10:11], v[4:5], v[16:17]
	s_branch .LBB372_16
.LBB372_15:                             ;   in Loop: Header=BB372_16 Depth=2
	s_wait_xcnt 0x0
	s_or_b32 exec_lo, exec_lo, s19
	v_add_nc_u32_e32 v0, 32, v0
	s_delay_alu instid0(VALU_DEP_1) | instskip(SKIP_1) | instid1(SALU_CYCLE_1)
	v_cmp_ge_i32_e32 vcc_lo, v0, v15
	s_or_b32 s18, vcc_lo, s18
	s_and_not1_b32 exec_lo, exec_lo, s18
	s_cbranch_execz .LBB372_12
.LBB372_16:                             ;   Parent Loop BB372_13 Depth=1
                                        ; =>  This Inner Loop Header: Depth=2
	global_load_b32 v1, v0, s[8:9] scale_offset
	s_mov_b32 s19, exec_lo
	s_wait_loadcnt 0x0
	v_subrev_nc_u32_e32 v12, s16, v1
	v_ashrrev_i32_e32 v1, 31, v0
	s_wait_xcnt 0x0
	s_delay_alu instid0(VALU_DEP_2)
	v_cmpx_ne_u32_e64 v12, v6
	s_cbranch_execz .LBB372_15
; %bb.17:                               ;   in Loop: Header=BB372_16 Depth=2
	s_delay_alu instid0(VALU_DEP_2)
	v_lshl_add_u64 v[16:17], v[0:1], 3, s[10:11]
	v_ashrrev_i32_e32 v13, 31, v12
	global_load_b64 v[16:17], v[16:17], off
	v_lshl_add_u64 v[12:13], v[12:13], 4, s[14:15]
	s_wait_loadcnt 0x0
	v_cndmask_b32_e64 v1, v17, -v17, s1
	s_wait_xcnt 0x0
	v_cvt_f64_f32_e32 v[16:17], v16
	s_delay_alu instid0(VALU_DEP_2) | instskip(NEXT) | instid1(VALU_DEP_1)
	v_cvt_f64_f32_e32 v[18:19], v1
	v_mul_f64_e64 v[20:21], -v[10:11], v[18:19]
	v_mul_f64_e32 v[18:19], v[8:9], v[18:19]
	s_delay_alu instid0(VALU_DEP_2) | instskip(NEXT) | instid1(VALU_DEP_2)
	v_fmac_f64_e32 v[20:21], v[8:9], v[16:17]
	v_fmac_f64_e32 v[18:19], v[10:11], v[16:17]
	global_atomic_add_f64 v[12:13], v[20:21], off scope:SCOPE_DEV
	s_wait_xcnt 0x0
	global_atomic_add_f64 v[12:13], v[18:19], off offset:8 scope:SCOPE_DEV
	s_branch .LBB372_15
.LBB372_18:
	s_endpgm
	.section	.rodata,"a",@progbits
	.p2align	6, 0x0
	.amdhsa_kernel _ZN9rocsparseL21csrmvt_general_kernelILj256ELj32Eii21rocsparse_complex_numIfES1_IdES3_S3_EEvbbT2_NS_24const_host_device_scalarIT6_EEPKT1_SA_PKS4_PKT3_PKT4_PT5_21rocsparse_index_base_b
		.amdhsa_group_segment_fixed_size 0
		.amdhsa_private_segment_fixed_size 0
		.amdhsa_kernarg_size 336
		.amdhsa_user_sgpr_count 2
		.amdhsa_user_sgpr_dispatch_ptr 0
		.amdhsa_user_sgpr_queue_ptr 0
		.amdhsa_user_sgpr_kernarg_segment_ptr 1
		.amdhsa_user_sgpr_dispatch_id 0
		.amdhsa_user_sgpr_kernarg_preload_length 0
		.amdhsa_user_sgpr_kernarg_preload_offset 0
		.amdhsa_user_sgpr_private_segment_size 0
		.amdhsa_wavefront_size32 1
		.amdhsa_uses_dynamic_stack 0
		.amdhsa_enable_private_segment 0
		.amdhsa_system_sgpr_workgroup_id_x 1
		.amdhsa_system_sgpr_workgroup_id_y 0
		.amdhsa_system_sgpr_workgroup_id_z 0
		.amdhsa_system_sgpr_workgroup_info 0
		.amdhsa_system_vgpr_workitem_id 0
		.amdhsa_next_free_vgpr 22
		.amdhsa_next_free_sgpr 21
		.amdhsa_named_barrier_count 0
		.amdhsa_reserve_vcc 1
		.amdhsa_float_round_mode_32 0
		.amdhsa_float_round_mode_16_64 0
		.amdhsa_float_denorm_mode_32 3
		.amdhsa_float_denorm_mode_16_64 3
		.amdhsa_fp16_overflow 0
		.amdhsa_memory_ordered 1
		.amdhsa_forward_progress 1
		.amdhsa_inst_pref_size 8
		.amdhsa_round_robin_scheduling 0
		.amdhsa_exception_fp_ieee_invalid_op 0
		.amdhsa_exception_fp_denorm_src 0
		.amdhsa_exception_fp_ieee_div_zero 0
		.amdhsa_exception_fp_ieee_overflow 0
		.amdhsa_exception_fp_ieee_underflow 0
		.amdhsa_exception_fp_ieee_inexact 0
		.amdhsa_exception_int_div_zero 0
	.end_amdhsa_kernel
	.section	.text._ZN9rocsparseL21csrmvt_general_kernelILj256ELj32Eii21rocsparse_complex_numIfES1_IdES3_S3_EEvbbT2_NS_24const_host_device_scalarIT6_EEPKT1_SA_PKS4_PKT3_PKT4_PT5_21rocsparse_index_base_b,"axG",@progbits,_ZN9rocsparseL21csrmvt_general_kernelILj256ELj32Eii21rocsparse_complex_numIfES1_IdES3_S3_EEvbbT2_NS_24const_host_device_scalarIT6_EEPKT1_SA_PKS4_PKT3_PKT4_PT5_21rocsparse_index_base_b,comdat
.Lfunc_end372:
	.size	_ZN9rocsparseL21csrmvt_general_kernelILj256ELj32Eii21rocsparse_complex_numIfES1_IdES3_S3_EEvbbT2_NS_24const_host_device_scalarIT6_EEPKT1_SA_PKS4_PKT3_PKT4_PT5_21rocsparse_index_base_b, .Lfunc_end372-_ZN9rocsparseL21csrmvt_general_kernelILj256ELj32Eii21rocsparse_complex_numIfES1_IdES3_S3_EEvbbT2_NS_24const_host_device_scalarIT6_EEPKT1_SA_PKS4_PKT3_PKT4_PT5_21rocsparse_index_base_b
                                        ; -- End function
	.set _ZN9rocsparseL21csrmvt_general_kernelILj256ELj32Eii21rocsparse_complex_numIfES1_IdES3_S3_EEvbbT2_NS_24const_host_device_scalarIT6_EEPKT1_SA_PKS4_PKT3_PKT4_PT5_21rocsparse_index_base_b.num_vgpr, 22
	.set _ZN9rocsparseL21csrmvt_general_kernelILj256ELj32Eii21rocsparse_complex_numIfES1_IdES3_S3_EEvbbT2_NS_24const_host_device_scalarIT6_EEPKT1_SA_PKS4_PKT3_PKT4_PT5_21rocsparse_index_base_b.num_agpr, 0
	.set _ZN9rocsparseL21csrmvt_general_kernelILj256ELj32Eii21rocsparse_complex_numIfES1_IdES3_S3_EEvbbT2_NS_24const_host_device_scalarIT6_EEPKT1_SA_PKS4_PKT3_PKT4_PT5_21rocsparse_index_base_b.numbered_sgpr, 21
	.set _ZN9rocsparseL21csrmvt_general_kernelILj256ELj32Eii21rocsparse_complex_numIfES1_IdES3_S3_EEvbbT2_NS_24const_host_device_scalarIT6_EEPKT1_SA_PKS4_PKT3_PKT4_PT5_21rocsparse_index_base_b.num_named_barrier, 0
	.set _ZN9rocsparseL21csrmvt_general_kernelILj256ELj32Eii21rocsparse_complex_numIfES1_IdES3_S3_EEvbbT2_NS_24const_host_device_scalarIT6_EEPKT1_SA_PKS4_PKT3_PKT4_PT5_21rocsparse_index_base_b.private_seg_size, 0
	.set _ZN9rocsparseL21csrmvt_general_kernelILj256ELj32Eii21rocsparse_complex_numIfES1_IdES3_S3_EEvbbT2_NS_24const_host_device_scalarIT6_EEPKT1_SA_PKS4_PKT3_PKT4_PT5_21rocsparse_index_base_b.uses_vcc, 1
	.set _ZN9rocsparseL21csrmvt_general_kernelILj256ELj32Eii21rocsparse_complex_numIfES1_IdES3_S3_EEvbbT2_NS_24const_host_device_scalarIT6_EEPKT1_SA_PKS4_PKT3_PKT4_PT5_21rocsparse_index_base_b.uses_flat_scratch, 0
	.set _ZN9rocsparseL21csrmvt_general_kernelILj256ELj32Eii21rocsparse_complex_numIfES1_IdES3_S3_EEvbbT2_NS_24const_host_device_scalarIT6_EEPKT1_SA_PKS4_PKT3_PKT4_PT5_21rocsparse_index_base_b.has_dyn_sized_stack, 0
	.set _ZN9rocsparseL21csrmvt_general_kernelILj256ELj32Eii21rocsparse_complex_numIfES1_IdES3_S3_EEvbbT2_NS_24const_host_device_scalarIT6_EEPKT1_SA_PKS4_PKT3_PKT4_PT5_21rocsparse_index_base_b.has_recursion, 0
	.set _ZN9rocsparseL21csrmvt_general_kernelILj256ELj32Eii21rocsparse_complex_numIfES1_IdES3_S3_EEvbbT2_NS_24const_host_device_scalarIT6_EEPKT1_SA_PKS4_PKT3_PKT4_PT5_21rocsparse_index_base_b.has_indirect_call, 0
	.section	.AMDGPU.csdata,"",@progbits
; Kernel info:
; codeLenInByte = 996
; TotalNumSgprs: 23
; NumVgprs: 22
; ScratchSize: 0
; MemoryBound: 0
; FloatMode: 240
; IeeeMode: 1
; LDSByteSize: 0 bytes/workgroup (compile time only)
; SGPRBlocks: 0
; VGPRBlocks: 1
; NumSGPRsForWavesPerEU: 23
; NumVGPRsForWavesPerEU: 22
; NamedBarCnt: 0
; Occupancy: 16
; WaveLimiterHint : 1
; COMPUTE_PGM_RSRC2:SCRATCH_EN: 0
; COMPUTE_PGM_RSRC2:USER_SGPR: 2
; COMPUTE_PGM_RSRC2:TRAP_HANDLER: 0
; COMPUTE_PGM_RSRC2:TGID_X_EN: 1
; COMPUTE_PGM_RSRC2:TGID_Y_EN: 0
; COMPUTE_PGM_RSRC2:TGID_Z_EN: 0
; COMPUTE_PGM_RSRC2:TIDIG_COMP_CNT: 0
	.section	.text._ZN9rocsparseL21csrmvt_general_kernelILj256ELj64Eii21rocsparse_complex_numIfES1_IdES3_S3_EEvbbT2_NS_24const_host_device_scalarIT6_EEPKT1_SA_PKS4_PKT3_PKT4_PT5_21rocsparse_index_base_b,"axG",@progbits,_ZN9rocsparseL21csrmvt_general_kernelILj256ELj64Eii21rocsparse_complex_numIfES1_IdES3_S3_EEvbbT2_NS_24const_host_device_scalarIT6_EEPKT1_SA_PKS4_PKT3_PKT4_PT5_21rocsparse_index_base_b,comdat
	.globl	_ZN9rocsparseL21csrmvt_general_kernelILj256ELj64Eii21rocsparse_complex_numIfES1_IdES3_S3_EEvbbT2_NS_24const_host_device_scalarIT6_EEPKT1_SA_PKS4_PKT3_PKT4_PT5_21rocsparse_index_base_b ; -- Begin function _ZN9rocsparseL21csrmvt_general_kernelILj256ELj64Eii21rocsparse_complex_numIfES1_IdES3_S3_EEvbbT2_NS_24const_host_device_scalarIT6_EEPKT1_SA_PKS4_PKT3_PKT4_PT5_21rocsparse_index_base_b
	.p2align	8
	.type	_ZN9rocsparseL21csrmvt_general_kernelILj256ELj64Eii21rocsparse_complex_numIfES1_IdES3_S3_EEvbbT2_NS_24const_host_device_scalarIT6_EEPKT1_SA_PKS4_PKT3_PKT4_PT5_21rocsparse_index_base_b,@function
_ZN9rocsparseL21csrmvt_general_kernelILj256ELj64Eii21rocsparse_complex_numIfES1_IdES3_S3_EEvbbT2_NS_24const_host_device_scalarIT6_EEPKT1_SA_PKS4_PKT3_PKT4_PT5_21rocsparse_index_base_b: ; @_ZN9rocsparseL21csrmvt_general_kernelILj256ELj64Eii21rocsparse_complex_numIfES1_IdES3_S3_EEvbbT2_NS_24const_host_device_scalarIT6_EEPKT1_SA_PKS4_PKT3_PKT4_PT5_21rocsparse_index_base_b
; %bb.0:
	s_clause 0x1
	s_load_b64 s[16:17], s[0:1], 0x48
	s_load_b64 s[2:3], s[0:1], 0x8
	v_mov_b32_e32 v1, 0
	s_add_nc_u64 s[4:5], s[0:1], 8
	s_wait_kmcnt 0x0
	s_bitcmp1_b32 s17, 0
	s_cselect_b32 s3, s5, s3
	s_cselect_b32 s2, s4, s2
	flat_load_b128 v[2:5], v1, s[2:3]
	s_wait_loadcnt_dscnt 0x0
	v_cmp_neq_f64_e32 vcc_lo, 0, v[2:3]
	v_cmp_neq_f64_e64 s2, 0, v[4:5]
	s_or_b32 s2, vcc_lo, s2
	s_delay_alu instid0(SALU_CYCLE_1)
	s_and_saveexec_b32 s3, s2
	s_cbranch_execz .LBB373_18
; %bb.1:
	s_clause 0x3
	s_load_b32 s4, s[0:1], 0x0
	s_load_b64 s[2:3], s[0:1], 0x0
	s_load_b32 s17, s[0:1], 0x50
	s_load_b128 s[12:15], s[0:1], 0x38
	s_getreg_b32 s19, hwreg(HW_REG_IB_STS2, 6, 4)
	v_and_b32_e32 v7, 63, v0
	s_wait_kmcnt 0x0
	s_and_b32 s18, s4, 1
	s_bitcmp1_b32 s2, 8
	s_load_b256 s[4:11], s[0:1], 0x18
	s_wait_xcnt 0x0
	s_cselect_b32 s1, -1, 0
	s_bfe_u32 s0, ttmp6, 0x4000c
	s_lshl_b32 s2, s17, 2
	s_add_co_i32 s0, s0, 1
	s_and_b32 s17, ttmp6, 15
	s_mul_i32 s0, ttmp9, s0
	s_delay_alu instid0(SALU_CYCLE_1)
	s_add_co_i32 s17, s17, s0
	s_cmp_eq_u32 s19, 0
	s_cselect_b32 s0, ttmp9, s17
	s_cmp_eq_u32 s18, 0
	v_lshl_or_b32 v1, s0, 8, v0
	s_mov_b32 s17, -1
	s_delay_alu instid0(VALU_DEP_1) | instskip(NEXT) | instid1(VALU_DEP_1)
	v_lshrrev_b32_e32 v6, 6, v1
	v_cmp_gt_i32_e64 s0, s3, v6
	s_cbranch_scc0 .LBB373_9
; %bb.2:
	s_and_saveexec_b32 s17, s0
	s_cbranch_execz .LBB373_8
; %bb.3:
	v_subrev_nc_u32_e32 v12, s16, v7
	v_mov_b32_e32 v0, v6
	s_mov_b32 s18, 0
	s_branch .LBB373_5
.LBB373_4:                              ;   in Loop: Header=BB373_5 Depth=1
	s_or_b32 exec_lo, exec_lo, s19
	v_add_nc_u32_e32 v0, s2, v0
	s_delay_alu instid0(VALU_DEP_1) | instskip(SKIP_1) | instid1(SALU_CYCLE_1)
	v_cmp_le_i32_e32 vcc_lo, s3, v0
	s_or_b32 s18, vcc_lo, s18
	s_and_not1_b32 exec_lo, exec_lo, s18
	s_cbranch_execz .LBB373_8
.LBB373_5:                              ; =>This Loop Header: Depth=1
                                        ;     Child Loop BB373_7 Depth 2
	s_wait_kmcnt 0x0
	s_clause 0x1
	global_load_b32 v1, v0, s[6:7] scale_offset
	global_load_b32 v8, v0, s[4:5] scale_offset
	s_mov_b32 s19, exec_lo
	s_wait_loadcnt 0x1
	v_subrev_nc_u32_e32 v13, s16, v1
	s_wait_loadcnt 0x0
	v_add_nc_u32_e32 v14, v8, v12
	s_wait_xcnt 0x0
	s_delay_alu instid0(VALU_DEP_1)
	v_cmpx_lt_i32_e64 v14, v13
	s_cbranch_execz .LBB373_4
; %bb.6:                                ;   in Loop: Header=BB373_5 Depth=1
	v_ashrrev_i32_e32 v1, 31, v0
	s_mov_b32 s20, 0
	s_delay_alu instid0(VALU_DEP_1)
	v_lshl_add_u64 v[8:9], v[0:1], 4, s[12:13]
	global_load_b128 v[16:19], v[8:9], off
	s_wait_loadcnt 0x0
	s_wait_xcnt 0x0
	v_mul_f64_e64 v[8:9], v[18:19], -v[4:5]
	v_mul_f64_e32 v[10:11], v[2:3], v[18:19]
	s_delay_alu instid0(VALU_DEP_2) | instskip(NEXT) | instid1(VALU_DEP_2)
	v_fmac_f64_e32 v[8:9], v[2:3], v[16:17]
	v_fmac_f64_e32 v[10:11], v[4:5], v[16:17]
.LBB373_7:                              ;   Parent Loop BB373_5 Depth=1
                                        ; =>  This Inner Loop Header: Depth=2
	s_clause 0x1
	global_load_b64 v[16:17], v14, s[10:11] scale_offset
	global_load_b32 v1, v14, s[8:9] scale_offset
	s_wait_xcnt 0x0
	v_add_nc_u32_e32 v14, 64, v14
	s_delay_alu instid0(VALU_DEP_1) | instskip(SKIP_4) | instid1(VALU_DEP_2)
	v_cmp_ge_i32_e32 vcc_lo, v14, v13
	s_or_b32 s20, vcc_lo, s20
	s_wait_loadcnt 0x1
	v_cndmask_b32_e64 v15, v17, -v17, s1
	v_cvt_f64_f32_e32 v[16:17], v16
	v_cvt_f64_f32_e32 v[18:19], v15
	s_delay_alu instid0(VALU_DEP_1) | instskip(SKIP_1) | instid1(VALU_DEP_2)
	v_mul_f64_e64 v[20:21], -v[10:11], v[18:19]
	v_mul_f64_e32 v[18:19], v[8:9], v[18:19]
	v_fmac_f64_e32 v[20:21], v[8:9], v[16:17]
	s_delay_alu instid0(VALU_DEP_2) | instskip(SKIP_2) | instid1(VALU_DEP_1)
	v_fmac_f64_e32 v[18:19], v[10:11], v[16:17]
	s_wait_loadcnt 0x0
	v_subrev_nc_u32_e32 v16, s16, v1
	v_ashrrev_i32_e32 v17, 31, v16
	s_delay_alu instid0(VALU_DEP_1)
	v_lshl_add_u64 v[16:17], v[16:17], 4, s[14:15]
	global_atomic_add_f64 v[16:17], v[20:21], off scope:SCOPE_DEV
	s_wait_xcnt 0x0
	global_atomic_add_f64 v[16:17], v[18:19], off offset:8 scope:SCOPE_DEV
	s_wait_xcnt 0x0
	s_and_not1_b32 exec_lo, exec_lo, s20
	s_cbranch_execnz .LBB373_7
	s_branch .LBB373_4
.LBB373_8:
	s_or_b32 exec_lo, exec_lo, s17
	s_mov_b32 s17, 0
.LBB373_9:
	s_delay_alu instid0(SALU_CYCLE_1)
	s_and_not1_b32 vcc_lo, exec_lo, s17
	s_cbranch_vccnz .LBB373_18
; %bb.10:
	s_and_b32 exec_lo, exec_lo, s0
	s_cbranch_execz .LBB373_18
; %bb.11:
	v_subrev_nc_u32_e32 v14, s16, v7
	s_mov_b32 s0, 0
	s_branch .LBB373_13
.LBB373_12:                             ;   in Loop: Header=BB373_13 Depth=1
	s_or_b32 exec_lo, exec_lo, s17
	v_add_nc_u32_e32 v6, s2, v6
	s_delay_alu instid0(VALU_DEP_1) | instskip(SKIP_1) | instid1(SALU_CYCLE_1)
	v_cmp_le_i32_e32 vcc_lo, s3, v6
	s_or_b32 s0, vcc_lo, s0
	s_and_not1_b32 exec_lo, exec_lo, s0
	s_cbranch_execz .LBB373_18
.LBB373_13:                             ; =>This Loop Header: Depth=1
                                        ;     Child Loop BB373_16 Depth 2
	s_wait_kmcnt 0x0
	s_clause 0x1
	global_load_b32 v0, v6, s[6:7] scale_offset
	global_load_b32 v1, v6, s[4:5] scale_offset
	s_mov_b32 s17, exec_lo
	s_wait_loadcnt 0x1
	v_subrev_nc_u32_e32 v15, s16, v0
	s_wait_loadcnt 0x0
	v_add_nc_u32_e32 v0, v1, v14
	s_wait_xcnt 0x0
	s_delay_alu instid0(VALU_DEP_1)
	v_cmpx_lt_i32_e64 v0, v15
	s_cbranch_execz .LBB373_12
; %bb.14:                               ;   in Loop: Header=BB373_13 Depth=1
	v_ashrrev_i32_e32 v7, 31, v6
	s_mov_b32 s18, 0
	s_delay_alu instid0(VALU_DEP_1) | instskip(SKIP_4) | instid1(VALU_DEP_2)
	v_lshl_add_u64 v[8:9], v[6:7], 4, s[12:13]
	global_load_b128 v[16:19], v[8:9], off
	s_wait_loadcnt 0x0
	v_mul_f64_e64 v[8:9], v[18:19], -v[4:5]
	v_mul_f64_e32 v[10:11], v[2:3], v[18:19]
	v_fmac_f64_e32 v[8:9], v[2:3], v[16:17]
	s_delay_alu instid0(VALU_DEP_2)
	v_fmac_f64_e32 v[10:11], v[4:5], v[16:17]
	s_branch .LBB373_16
.LBB373_15:                             ;   in Loop: Header=BB373_16 Depth=2
	s_wait_xcnt 0x0
	s_or_b32 exec_lo, exec_lo, s19
	v_add_nc_u32_e32 v0, 64, v0
	s_delay_alu instid0(VALU_DEP_1) | instskip(SKIP_1) | instid1(SALU_CYCLE_1)
	v_cmp_ge_i32_e32 vcc_lo, v0, v15
	s_or_b32 s18, vcc_lo, s18
	s_and_not1_b32 exec_lo, exec_lo, s18
	s_cbranch_execz .LBB373_12
.LBB373_16:                             ;   Parent Loop BB373_13 Depth=1
                                        ; =>  This Inner Loop Header: Depth=2
	global_load_b32 v1, v0, s[8:9] scale_offset
	s_mov_b32 s19, exec_lo
	s_wait_loadcnt 0x0
	v_subrev_nc_u32_e32 v12, s16, v1
	v_ashrrev_i32_e32 v1, 31, v0
	s_wait_xcnt 0x0
	s_delay_alu instid0(VALU_DEP_2)
	v_cmpx_ne_u32_e64 v12, v6
	s_cbranch_execz .LBB373_15
; %bb.17:                               ;   in Loop: Header=BB373_16 Depth=2
	s_delay_alu instid0(VALU_DEP_2)
	v_lshl_add_u64 v[16:17], v[0:1], 3, s[10:11]
	v_ashrrev_i32_e32 v13, 31, v12
	global_load_b64 v[16:17], v[16:17], off
	v_lshl_add_u64 v[12:13], v[12:13], 4, s[14:15]
	s_wait_loadcnt 0x0
	v_cndmask_b32_e64 v1, v17, -v17, s1
	s_wait_xcnt 0x0
	v_cvt_f64_f32_e32 v[16:17], v16
	s_delay_alu instid0(VALU_DEP_2) | instskip(NEXT) | instid1(VALU_DEP_1)
	v_cvt_f64_f32_e32 v[18:19], v1
	v_mul_f64_e64 v[20:21], -v[10:11], v[18:19]
	v_mul_f64_e32 v[18:19], v[8:9], v[18:19]
	s_delay_alu instid0(VALU_DEP_2) | instskip(NEXT) | instid1(VALU_DEP_2)
	v_fmac_f64_e32 v[20:21], v[8:9], v[16:17]
	v_fmac_f64_e32 v[18:19], v[10:11], v[16:17]
	global_atomic_add_f64 v[12:13], v[20:21], off scope:SCOPE_DEV
	s_wait_xcnt 0x0
	global_atomic_add_f64 v[12:13], v[18:19], off offset:8 scope:SCOPE_DEV
	s_branch .LBB373_15
.LBB373_18:
	s_endpgm
	.section	.rodata,"a",@progbits
	.p2align	6, 0x0
	.amdhsa_kernel _ZN9rocsparseL21csrmvt_general_kernelILj256ELj64Eii21rocsparse_complex_numIfES1_IdES3_S3_EEvbbT2_NS_24const_host_device_scalarIT6_EEPKT1_SA_PKS4_PKT3_PKT4_PT5_21rocsparse_index_base_b
		.amdhsa_group_segment_fixed_size 0
		.amdhsa_private_segment_fixed_size 0
		.amdhsa_kernarg_size 336
		.amdhsa_user_sgpr_count 2
		.amdhsa_user_sgpr_dispatch_ptr 0
		.amdhsa_user_sgpr_queue_ptr 0
		.amdhsa_user_sgpr_kernarg_segment_ptr 1
		.amdhsa_user_sgpr_dispatch_id 0
		.amdhsa_user_sgpr_kernarg_preload_length 0
		.amdhsa_user_sgpr_kernarg_preload_offset 0
		.amdhsa_user_sgpr_private_segment_size 0
		.amdhsa_wavefront_size32 1
		.amdhsa_uses_dynamic_stack 0
		.amdhsa_enable_private_segment 0
		.amdhsa_system_sgpr_workgroup_id_x 1
		.amdhsa_system_sgpr_workgroup_id_y 0
		.amdhsa_system_sgpr_workgroup_id_z 0
		.amdhsa_system_sgpr_workgroup_info 0
		.amdhsa_system_vgpr_workitem_id 0
		.amdhsa_next_free_vgpr 22
		.amdhsa_next_free_sgpr 21
		.amdhsa_named_barrier_count 0
		.amdhsa_reserve_vcc 1
		.amdhsa_float_round_mode_32 0
		.amdhsa_float_round_mode_16_64 0
		.amdhsa_float_denorm_mode_32 3
		.amdhsa_float_denorm_mode_16_64 3
		.amdhsa_fp16_overflow 0
		.amdhsa_memory_ordered 1
		.amdhsa_forward_progress 1
		.amdhsa_inst_pref_size 8
		.amdhsa_round_robin_scheduling 0
		.amdhsa_exception_fp_ieee_invalid_op 0
		.amdhsa_exception_fp_denorm_src 0
		.amdhsa_exception_fp_ieee_div_zero 0
		.amdhsa_exception_fp_ieee_overflow 0
		.amdhsa_exception_fp_ieee_underflow 0
		.amdhsa_exception_fp_ieee_inexact 0
		.amdhsa_exception_int_div_zero 0
	.end_amdhsa_kernel
	.section	.text._ZN9rocsparseL21csrmvt_general_kernelILj256ELj64Eii21rocsparse_complex_numIfES1_IdES3_S3_EEvbbT2_NS_24const_host_device_scalarIT6_EEPKT1_SA_PKS4_PKT3_PKT4_PT5_21rocsparse_index_base_b,"axG",@progbits,_ZN9rocsparseL21csrmvt_general_kernelILj256ELj64Eii21rocsparse_complex_numIfES1_IdES3_S3_EEvbbT2_NS_24const_host_device_scalarIT6_EEPKT1_SA_PKS4_PKT3_PKT4_PT5_21rocsparse_index_base_b,comdat
.Lfunc_end373:
	.size	_ZN9rocsparseL21csrmvt_general_kernelILj256ELj64Eii21rocsparse_complex_numIfES1_IdES3_S3_EEvbbT2_NS_24const_host_device_scalarIT6_EEPKT1_SA_PKS4_PKT3_PKT4_PT5_21rocsparse_index_base_b, .Lfunc_end373-_ZN9rocsparseL21csrmvt_general_kernelILj256ELj64Eii21rocsparse_complex_numIfES1_IdES3_S3_EEvbbT2_NS_24const_host_device_scalarIT6_EEPKT1_SA_PKS4_PKT3_PKT4_PT5_21rocsparse_index_base_b
                                        ; -- End function
	.set _ZN9rocsparseL21csrmvt_general_kernelILj256ELj64Eii21rocsparse_complex_numIfES1_IdES3_S3_EEvbbT2_NS_24const_host_device_scalarIT6_EEPKT1_SA_PKS4_PKT3_PKT4_PT5_21rocsparse_index_base_b.num_vgpr, 22
	.set _ZN9rocsparseL21csrmvt_general_kernelILj256ELj64Eii21rocsparse_complex_numIfES1_IdES3_S3_EEvbbT2_NS_24const_host_device_scalarIT6_EEPKT1_SA_PKS4_PKT3_PKT4_PT5_21rocsparse_index_base_b.num_agpr, 0
	.set _ZN9rocsparseL21csrmvt_general_kernelILj256ELj64Eii21rocsparse_complex_numIfES1_IdES3_S3_EEvbbT2_NS_24const_host_device_scalarIT6_EEPKT1_SA_PKS4_PKT3_PKT4_PT5_21rocsparse_index_base_b.numbered_sgpr, 21
	.set _ZN9rocsparseL21csrmvt_general_kernelILj256ELj64Eii21rocsparse_complex_numIfES1_IdES3_S3_EEvbbT2_NS_24const_host_device_scalarIT6_EEPKT1_SA_PKS4_PKT3_PKT4_PT5_21rocsparse_index_base_b.num_named_barrier, 0
	.set _ZN9rocsparseL21csrmvt_general_kernelILj256ELj64Eii21rocsparse_complex_numIfES1_IdES3_S3_EEvbbT2_NS_24const_host_device_scalarIT6_EEPKT1_SA_PKS4_PKT3_PKT4_PT5_21rocsparse_index_base_b.private_seg_size, 0
	.set _ZN9rocsparseL21csrmvt_general_kernelILj256ELj64Eii21rocsparse_complex_numIfES1_IdES3_S3_EEvbbT2_NS_24const_host_device_scalarIT6_EEPKT1_SA_PKS4_PKT3_PKT4_PT5_21rocsparse_index_base_b.uses_vcc, 1
	.set _ZN9rocsparseL21csrmvt_general_kernelILj256ELj64Eii21rocsparse_complex_numIfES1_IdES3_S3_EEvbbT2_NS_24const_host_device_scalarIT6_EEPKT1_SA_PKS4_PKT3_PKT4_PT5_21rocsparse_index_base_b.uses_flat_scratch, 0
	.set _ZN9rocsparseL21csrmvt_general_kernelILj256ELj64Eii21rocsparse_complex_numIfES1_IdES3_S3_EEvbbT2_NS_24const_host_device_scalarIT6_EEPKT1_SA_PKS4_PKT3_PKT4_PT5_21rocsparse_index_base_b.has_dyn_sized_stack, 0
	.set _ZN9rocsparseL21csrmvt_general_kernelILj256ELj64Eii21rocsparse_complex_numIfES1_IdES3_S3_EEvbbT2_NS_24const_host_device_scalarIT6_EEPKT1_SA_PKS4_PKT3_PKT4_PT5_21rocsparse_index_base_b.has_recursion, 0
	.set _ZN9rocsparseL21csrmvt_general_kernelILj256ELj64Eii21rocsparse_complex_numIfES1_IdES3_S3_EEvbbT2_NS_24const_host_device_scalarIT6_EEPKT1_SA_PKS4_PKT3_PKT4_PT5_21rocsparse_index_base_b.has_indirect_call, 0
	.section	.AMDGPU.csdata,"",@progbits
; Kernel info:
; codeLenInByte = 996
; TotalNumSgprs: 23
; NumVgprs: 22
; ScratchSize: 0
; MemoryBound: 0
; FloatMode: 240
; IeeeMode: 1
; LDSByteSize: 0 bytes/workgroup (compile time only)
; SGPRBlocks: 0
; VGPRBlocks: 1
; NumSGPRsForWavesPerEU: 23
; NumVGPRsForWavesPerEU: 22
; NamedBarCnt: 0
; Occupancy: 16
; WaveLimiterHint : 1
; COMPUTE_PGM_RSRC2:SCRATCH_EN: 0
; COMPUTE_PGM_RSRC2:USER_SGPR: 2
; COMPUTE_PGM_RSRC2:TRAP_HANDLER: 0
; COMPUTE_PGM_RSRC2:TGID_X_EN: 1
; COMPUTE_PGM_RSRC2:TGID_Y_EN: 0
; COMPUTE_PGM_RSRC2:TGID_Z_EN: 0
; COMPUTE_PGM_RSRC2:TIDIG_COMP_CNT: 0
	.section	.text._ZN9rocsparseL21csrmvn_general_kernelILj256ELj2Eli21rocsparse_complex_numIfES1_IdES3_S3_EEvbT2_NS_24const_host_device_scalarIT6_EEPKT1_SA_PKS4_PKT3_PKT4_S7_PT5_21rocsparse_index_base_b,"axG",@progbits,_ZN9rocsparseL21csrmvn_general_kernelILj256ELj2Eli21rocsparse_complex_numIfES1_IdES3_S3_EEvbT2_NS_24const_host_device_scalarIT6_EEPKT1_SA_PKS4_PKT3_PKT4_S7_PT5_21rocsparse_index_base_b,comdat
	.globl	_ZN9rocsparseL21csrmvn_general_kernelILj256ELj2Eli21rocsparse_complex_numIfES1_IdES3_S3_EEvbT2_NS_24const_host_device_scalarIT6_EEPKT1_SA_PKS4_PKT3_PKT4_S7_PT5_21rocsparse_index_base_b ; -- Begin function _ZN9rocsparseL21csrmvn_general_kernelILj256ELj2Eli21rocsparse_complex_numIfES1_IdES3_S3_EEvbT2_NS_24const_host_device_scalarIT6_EEPKT1_SA_PKS4_PKT3_PKT4_S7_PT5_21rocsparse_index_base_b
	.p2align	8
	.type	_ZN9rocsparseL21csrmvn_general_kernelILj256ELj2Eli21rocsparse_complex_numIfES1_IdES3_S3_EEvbT2_NS_24const_host_device_scalarIT6_EEPKT1_SA_PKS4_PKT3_PKT4_S7_PT5_21rocsparse_index_base_b,@function
_ZN9rocsparseL21csrmvn_general_kernelILj256ELj2Eli21rocsparse_complex_numIfES1_IdES3_S3_EEvbT2_NS_24const_host_device_scalarIT6_EEPKT1_SA_PKS4_PKT3_PKT4_S7_PT5_21rocsparse_index_base_b: ; @_ZN9rocsparseL21csrmvn_general_kernelILj256ELj2Eli21rocsparse_complex_numIfES1_IdES3_S3_EEvbT2_NS_24const_host_device_scalarIT6_EEPKT1_SA_PKS4_PKT3_PKT4_S7_PT5_21rocsparse_index_base_b
; %bb.0:
	s_clause 0x1
	s_load_b64 s[12:13], s[0:1], 0x58
	s_load_b64 s[2:3], s[0:1], 0x8
	v_mov_b32_e32 v1, 0
	s_add_nc_u64 s[4:5], s[0:1], 8
	s_load_b64 s[6:7], s[0:1], 0x40
	s_wait_kmcnt 0x0
	s_bitcmp1_b32 s13, 0
	s_cselect_b32 s3, s5, s3
	s_cselect_b32 s2, s4, s2
	flat_load_b128 v[2:5], v1, s[2:3]
	s_wait_xcnt 0x0
	s_add_nc_u64 s[2:3], s[0:1], 64
	s_delay_alu instid0(SALU_CYCLE_1)
	s_cselect_b32 s3, s3, s7
	s_cselect_b32 s2, s2, s6
	flat_load_b128 v[6:9], v1, s[2:3]
	s_wait_loadcnt_dscnt 0x101
	v_cmp_eq_f64_e32 vcc_lo, 0, v[2:3]
	s_wait_xcnt 0x0
	v_cmp_eq_f64_e64 s2, 0, v[4:5]
	s_and_b32 s4, vcc_lo, s2
	s_mov_b32 s2, -1
	s_and_saveexec_b32 s3, s4
	s_cbranch_execz .LBB374_2
; %bb.1:
	s_wait_loadcnt_dscnt 0x0
	v_cmp_neq_f64_e32 vcc_lo, 1.0, v[6:7]
	v_cmp_neq_f64_e64 s2, 0, v[8:9]
	s_or_b32 s2, vcc_lo, s2
	s_delay_alu instid0(SALU_CYCLE_1)
	s_or_not1_b32 s2, s2, exec_lo
.LBB374_2:
	s_or_b32 exec_lo, exec_lo, s3
	s_and_saveexec_b32 s3, s2
	s_cbranch_execz .LBB374_14
; %bb.3:
	s_bfe_u32 s2, ttmp6, 0x4000c
	s_load_b64 s[14:15], s[0:1], 0x0
	s_add_co_i32 s2, s2, 1
	s_and_b32 s3, ttmp6, 15
	s_mul_i32 s2, ttmp9, s2
	s_getreg_b32 s4, hwreg(HW_REG_IB_STS2, 6, 4)
	s_add_co_i32 s3, s3, s2
	s_cmp_eq_u32 s4, 0
	s_mov_b32 s13, 0
	s_cselect_b32 s2, ttmp9, s3
	s_delay_alu instid0(SALU_CYCLE_1) | instskip(NEXT) | instid1(VALU_DEP_1)
	v_lshl_or_b32 v1, s2, 8, v0
	v_lshrrev_b32_e32 v14, 1, v1
	s_wait_kmcnt 0x0
	s_delay_alu instid0(VALU_DEP_1)
	v_cmp_gt_i32_e32 vcc_lo, s15, v14
	s_and_b32 exec_lo, exec_lo, vcc_lo
	s_cbranch_execz .LBB374_14
; %bb.4:
	s_wait_loadcnt_dscnt 0x0
	v_cmp_neq_f64_e64 s2, 0, v[6:7]
	v_cmp_neq_f64_e64 s3, 0, v[8:9]
	s_clause 0x1
	s_load_b32 s21, s[0:1], 0x60
	s_load_b256 s[4:11], s[0:1], 0x18
	v_mbcnt_lo_u32_b32 v12, -1, 0
	s_clause 0x1
	s_load_b64 s[18:19], s[0:1], 0x38
	s_load_b64 s[16:17], s[0:1], 0x50
	v_dual_mov_b32 v11, 0 :: v_dual_bitop2_b32 v10, 1, v0 bitop3:0x40
	s_mov_b32 s20, s12
	v_xor_b32_e32 v13, 1, v12
	s_delay_alu instid0(VALU_DEP_2) | instskip(NEXT) | instid1(VALU_DEP_2)
	v_sub_nc_u64_e64 v[0:1], v[10:11], s[12:13]
	v_cmp_gt_i32_e32 vcc_lo, 32, v13
	v_cndmask_b32_e32 v11, v12, v13, vcc_lo
	v_cmp_eq_u32_e32 vcc_lo, 1, v10
	s_wait_kmcnt 0x0
	s_lshl_b32 s1, s21, 7
	s_bitcmp1_b32 s14, 0
	v_lshlrev_b32_e32 v24, 2, v11
	s_cselect_b32 s14, -1, 0
	s_ashr_i32 s21, s12, 31
	s_add_nc_u64 s[10:11], s[10:11], 4
	s_lshl_b64 s[20:21], s[20:21], 4
	s_delay_alu instid0(SALU_CYCLE_1)
	s_sub_nc_u64 s[18:19], s[18:19], s[20:21]
	s_or_b32 s2, s2, s3
	s_mov_b32 s3, s13
	s_branch .LBB374_7
.LBB374_5:                              ;   in Loop: Header=BB374_7 Depth=1
	s_wait_xcnt 0x0
	s_or_b32 exec_lo, exec_lo, s20
	global_store_b128 v[16:17], v[10:13], off
.LBB374_6:                              ;   in Loop: Header=BB374_7 Depth=1
	s_wait_xcnt 0x0
	s_or_b32 exec_lo, exec_lo, s0
	v_add_nc_u32_e32 v14, s1, v14
	s_delay_alu instid0(VALU_DEP_1) | instskip(SKIP_1) | instid1(SALU_CYCLE_1)
	v_cmp_le_i32_e64 s0, s15, v14
	s_or_b32 s3, s0, s3
	s_and_not1_b32 exec_lo, exec_lo, s3
	s_cbranch_execz .LBB374_14
.LBB374_7:                              ; =>This Loop Header: Depth=1
                                        ;     Child Loop BB374_9 Depth 2
	s_clause 0x1
	global_load_b64 v[10:11], v14, s[6:7] scale_offset
	global_load_b64 v[12:13], v14, s[4:5] scale_offset
	s_mov_b32 s20, exec_lo
	s_wait_loadcnt_dscnt 0x100
	v_sub_nc_u64_e64 v[16:17], v[10:11], s[12:13]
	s_wait_loadcnt 0x0
	v_add_nc_u64_e32 v[18:19], v[12:13], v[0:1]
	v_mov_b64_e32 v[12:13], 0
	v_mov_b64_e32 v[10:11], 0
	s_wait_xcnt 0x0
	s_delay_alu instid0(VALU_DEP_3)
	v_cmpx_lt_i64_e64 v[18:19], v[16:17]
	s_cbranch_execz .LBB374_11
; %bb.8:                                ;   in Loop: Header=BB374_7 Depth=1
	v_mov_b64_e32 v[12:13], 0
	v_mov_b64_e32 v[10:11], 0
	v_lshl_add_u64 v[20:21], v[18:19], 3, s[10:11]
	v_lshl_add_u64 v[22:23], v[18:19], 2, s[8:9]
	s_mov_b32 s21, 0
.LBB374_9:                              ;   Parent Loop BB374_7 Depth=1
                                        ; =>  This Inner Loop Header: Depth=2
	global_load_b32 v15, v[22:23], off
	global_load_b64 v[30:31], v[20:21], off offset:-4
	v_add_nc_u64_e32 v[18:19], 2, v[18:19]
	s_wait_xcnt 0x0
	v_add_nc_u64_e32 v[20:21], 16, v[20:21]
	v_add_nc_u64_e32 v[22:23], 8, v[22:23]
	s_delay_alu instid0(VALU_DEP_3)
	v_cmp_ge_i64_e64 s0, v[18:19], v[16:17]
	s_or_b32 s21, s0, s21
	s_wait_loadcnt 0x1
	global_load_b128 v[26:29], v15, s[18:19] scale_offset
	s_wait_loadcnt 0x1
	s_wait_xcnt 0x0
	v_cndmask_b32_e64 v15, v31, -v31, s14
	v_cvt_f64_f32_e32 v[30:31], v30
	s_delay_alu instid0(VALU_DEP_2) | instskip(NEXT) | instid1(VALU_DEP_1)
	v_cvt_f64_f32_e32 v[32:33], v15
	v_mul_f64_e64 v[34:35], -v[4:5], v[32:33]
	v_mul_f64_e32 v[32:33], v[2:3], v[32:33]
	s_delay_alu instid0(VALU_DEP_2) | instskip(NEXT) | instid1(VALU_DEP_2)
	v_fmac_f64_e32 v[34:35], v[2:3], v[30:31]
	v_fmac_f64_e32 v[32:33], v[4:5], v[30:31]
	s_wait_loadcnt 0x0
	s_delay_alu instid0(VALU_DEP_2) | instskip(NEXT) | instid1(VALU_DEP_2)
	v_fmac_f64_e32 v[10:11], v[34:35], v[26:27]
	v_fmac_f64_e32 v[12:13], v[32:33], v[26:27]
	s_delay_alu instid0(VALU_DEP_2) | instskip(NEXT) | instid1(VALU_DEP_2)
	v_fma_f64 v[10:11], -v[32:33], v[28:29], v[10:11]
	v_fmac_f64_e32 v[12:13], v[34:35], v[28:29]
	s_and_not1_b32 exec_lo, exec_lo, s21
	s_cbranch_execnz .LBB374_9
; %bb.10:                               ;   in Loop: Header=BB374_7 Depth=1
	s_or_b32 exec_lo, exec_lo, s21
.LBB374_11:                             ;   in Loop: Header=BB374_7 Depth=1
	s_delay_alu instid0(SALU_CYCLE_1)
	s_or_b32 exec_lo, exec_lo, s20
	ds_bpermute_b32 v18, v24, v10
	ds_bpermute_b32 v19, v24, v11
	;; [unrolled: 1-line block ×4, first 2 shown]
	v_ashrrev_i32_e32 v15, 31, v14
	s_and_saveexec_b32 s0, vcc_lo
	s_cbranch_execz .LBB374_6
; %bb.12:                               ;   in Loop: Header=BB374_7 Depth=1
	s_wait_dscnt 0x2
	v_add_f64_e32 v[10:11], v[10:11], v[18:19]
	s_wait_dscnt 0x0
	v_add_f64_e32 v[12:13], v[12:13], v[16:17]
	v_lshl_add_u64 v[16:17], v[14:15], 4, s[16:17]
	s_and_saveexec_b32 s20, s2
	s_cbranch_execz .LBB374_5
; %bb.13:                               ;   in Loop: Header=BB374_7 Depth=1
	global_load_b128 v[18:21], v[16:17], off
	s_wait_loadcnt 0x0
	v_fmac_f64_e32 v[10:11], v[6:7], v[18:19]
	v_fmac_f64_e32 v[12:13], v[8:9], v[18:19]
	s_delay_alu instid0(VALU_DEP_2) | instskip(NEXT) | instid1(VALU_DEP_2)
	v_fma_f64 v[10:11], -v[8:9], v[20:21], v[10:11]
	v_fmac_f64_e32 v[12:13], v[6:7], v[20:21]
	s_branch .LBB374_5
.LBB374_14:
	s_endpgm
	.section	.rodata,"a",@progbits
	.p2align	6, 0x0
	.amdhsa_kernel _ZN9rocsparseL21csrmvn_general_kernelILj256ELj2Eli21rocsparse_complex_numIfES1_IdES3_S3_EEvbT2_NS_24const_host_device_scalarIT6_EEPKT1_SA_PKS4_PKT3_PKT4_S7_PT5_21rocsparse_index_base_b
		.amdhsa_group_segment_fixed_size 0
		.amdhsa_private_segment_fixed_size 0
		.amdhsa_kernarg_size 352
		.amdhsa_user_sgpr_count 2
		.amdhsa_user_sgpr_dispatch_ptr 0
		.amdhsa_user_sgpr_queue_ptr 0
		.amdhsa_user_sgpr_kernarg_segment_ptr 1
		.amdhsa_user_sgpr_dispatch_id 0
		.amdhsa_user_sgpr_kernarg_preload_length 0
		.amdhsa_user_sgpr_kernarg_preload_offset 0
		.amdhsa_user_sgpr_private_segment_size 0
		.amdhsa_wavefront_size32 1
		.amdhsa_uses_dynamic_stack 0
		.amdhsa_enable_private_segment 0
		.amdhsa_system_sgpr_workgroup_id_x 1
		.amdhsa_system_sgpr_workgroup_id_y 0
		.amdhsa_system_sgpr_workgroup_id_z 0
		.amdhsa_system_sgpr_workgroup_info 0
		.amdhsa_system_vgpr_workitem_id 0
		.amdhsa_next_free_vgpr 36
		.amdhsa_next_free_sgpr 22
		.amdhsa_named_barrier_count 0
		.amdhsa_reserve_vcc 1
		.amdhsa_float_round_mode_32 0
		.amdhsa_float_round_mode_16_64 0
		.amdhsa_float_denorm_mode_32 3
		.amdhsa_float_denorm_mode_16_64 3
		.amdhsa_fp16_overflow 0
		.amdhsa_memory_ordered 1
		.amdhsa_forward_progress 1
		.amdhsa_inst_pref_size 7
		.amdhsa_round_robin_scheduling 0
		.amdhsa_exception_fp_ieee_invalid_op 0
		.amdhsa_exception_fp_denorm_src 0
		.amdhsa_exception_fp_ieee_div_zero 0
		.amdhsa_exception_fp_ieee_overflow 0
		.amdhsa_exception_fp_ieee_underflow 0
		.amdhsa_exception_fp_ieee_inexact 0
		.amdhsa_exception_int_div_zero 0
	.end_amdhsa_kernel
	.section	.text._ZN9rocsparseL21csrmvn_general_kernelILj256ELj2Eli21rocsparse_complex_numIfES1_IdES3_S3_EEvbT2_NS_24const_host_device_scalarIT6_EEPKT1_SA_PKS4_PKT3_PKT4_S7_PT5_21rocsparse_index_base_b,"axG",@progbits,_ZN9rocsparseL21csrmvn_general_kernelILj256ELj2Eli21rocsparse_complex_numIfES1_IdES3_S3_EEvbT2_NS_24const_host_device_scalarIT6_EEPKT1_SA_PKS4_PKT3_PKT4_S7_PT5_21rocsparse_index_base_b,comdat
.Lfunc_end374:
	.size	_ZN9rocsparseL21csrmvn_general_kernelILj256ELj2Eli21rocsparse_complex_numIfES1_IdES3_S3_EEvbT2_NS_24const_host_device_scalarIT6_EEPKT1_SA_PKS4_PKT3_PKT4_S7_PT5_21rocsparse_index_base_b, .Lfunc_end374-_ZN9rocsparseL21csrmvn_general_kernelILj256ELj2Eli21rocsparse_complex_numIfES1_IdES3_S3_EEvbT2_NS_24const_host_device_scalarIT6_EEPKT1_SA_PKS4_PKT3_PKT4_S7_PT5_21rocsparse_index_base_b
                                        ; -- End function
	.set _ZN9rocsparseL21csrmvn_general_kernelILj256ELj2Eli21rocsparse_complex_numIfES1_IdES3_S3_EEvbT2_NS_24const_host_device_scalarIT6_EEPKT1_SA_PKS4_PKT3_PKT4_S7_PT5_21rocsparse_index_base_b.num_vgpr, 36
	.set _ZN9rocsparseL21csrmvn_general_kernelILj256ELj2Eli21rocsparse_complex_numIfES1_IdES3_S3_EEvbT2_NS_24const_host_device_scalarIT6_EEPKT1_SA_PKS4_PKT3_PKT4_S7_PT5_21rocsparse_index_base_b.num_agpr, 0
	.set _ZN9rocsparseL21csrmvn_general_kernelILj256ELj2Eli21rocsparse_complex_numIfES1_IdES3_S3_EEvbT2_NS_24const_host_device_scalarIT6_EEPKT1_SA_PKS4_PKT3_PKT4_S7_PT5_21rocsparse_index_base_b.numbered_sgpr, 22
	.set _ZN9rocsparseL21csrmvn_general_kernelILj256ELj2Eli21rocsparse_complex_numIfES1_IdES3_S3_EEvbT2_NS_24const_host_device_scalarIT6_EEPKT1_SA_PKS4_PKT3_PKT4_S7_PT5_21rocsparse_index_base_b.num_named_barrier, 0
	.set _ZN9rocsparseL21csrmvn_general_kernelILj256ELj2Eli21rocsparse_complex_numIfES1_IdES3_S3_EEvbT2_NS_24const_host_device_scalarIT6_EEPKT1_SA_PKS4_PKT3_PKT4_S7_PT5_21rocsparse_index_base_b.private_seg_size, 0
	.set _ZN9rocsparseL21csrmvn_general_kernelILj256ELj2Eli21rocsparse_complex_numIfES1_IdES3_S3_EEvbT2_NS_24const_host_device_scalarIT6_EEPKT1_SA_PKS4_PKT3_PKT4_S7_PT5_21rocsparse_index_base_b.uses_vcc, 1
	.set _ZN9rocsparseL21csrmvn_general_kernelILj256ELj2Eli21rocsparse_complex_numIfES1_IdES3_S3_EEvbT2_NS_24const_host_device_scalarIT6_EEPKT1_SA_PKS4_PKT3_PKT4_S7_PT5_21rocsparse_index_base_b.uses_flat_scratch, 0
	.set _ZN9rocsparseL21csrmvn_general_kernelILj256ELj2Eli21rocsparse_complex_numIfES1_IdES3_S3_EEvbT2_NS_24const_host_device_scalarIT6_EEPKT1_SA_PKS4_PKT3_PKT4_S7_PT5_21rocsparse_index_base_b.has_dyn_sized_stack, 0
	.set _ZN9rocsparseL21csrmvn_general_kernelILj256ELj2Eli21rocsparse_complex_numIfES1_IdES3_S3_EEvbT2_NS_24const_host_device_scalarIT6_EEPKT1_SA_PKS4_PKT3_PKT4_S7_PT5_21rocsparse_index_base_b.has_recursion, 0
	.set _ZN9rocsparseL21csrmvn_general_kernelILj256ELj2Eli21rocsparse_complex_numIfES1_IdES3_S3_EEvbT2_NS_24const_host_device_scalarIT6_EEPKT1_SA_PKS4_PKT3_PKT4_S7_PT5_21rocsparse_index_base_b.has_indirect_call, 0
	.section	.AMDGPU.csdata,"",@progbits
; Kernel info:
; codeLenInByte = 884
; TotalNumSgprs: 24
; NumVgprs: 36
; ScratchSize: 0
; MemoryBound: 0
; FloatMode: 240
; IeeeMode: 1
; LDSByteSize: 0 bytes/workgroup (compile time only)
; SGPRBlocks: 0
; VGPRBlocks: 2
; NumSGPRsForWavesPerEU: 24
; NumVGPRsForWavesPerEU: 36
; NamedBarCnt: 0
; Occupancy: 16
; WaveLimiterHint : 1
; COMPUTE_PGM_RSRC2:SCRATCH_EN: 0
; COMPUTE_PGM_RSRC2:USER_SGPR: 2
; COMPUTE_PGM_RSRC2:TRAP_HANDLER: 0
; COMPUTE_PGM_RSRC2:TGID_X_EN: 1
; COMPUTE_PGM_RSRC2:TGID_Y_EN: 0
; COMPUTE_PGM_RSRC2:TGID_Z_EN: 0
; COMPUTE_PGM_RSRC2:TIDIG_COMP_CNT: 0
	.section	.text._ZN9rocsparseL21csrmvn_general_kernelILj256ELj4Eli21rocsparse_complex_numIfES1_IdES3_S3_EEvbT2_NS_24const_host_device_scalarIT6_EEPKT1_SA_PKS4_PKT3_PKT4_S7_PT5_21rocsparse_index_base_b,"axG",@progbits,_ZN9rocsparseL21csrmvn_general_kernelILj256ELj4Eli21rocsparse_complex_numIfES1_IdES3_S3_EEvbT2_NS_24const_host_device_scalarIT6_EEPKT1_SA_PKS4_PKT3_PKT4_S7_PT5_21rocsparse_index_base_b,comdat
	.globl	_ZN9rocsparseL21csrmvn_general_kernelILj256ELj4Eli21rocsparse_complex_numIfES1_IdES3_S3_EEvbT2_NS_24const_host_device_scalarIT6_EEPKT1_SA_PKS4_PKT3_PKT4_S7_PT5_21rocsparse_index_base_b ; -- Begin function _ZN9rocsparseL21csrmvn_general_kernelILj256ELj4Eli21rocsparse_complex_numIfES1_IdES3_S3_EEvbT2_NS_24const_host_device_scalarIT6_EEPKT1_SA_PKS4_PKT3_PKT4_S7_PT5_21rocsparse_index_base_b
	.p2align	8
	.type	_ZN9rocsparseL21csrmvn_general_kernelILj256ELj4Eli21rocsparse_complex_numIfES1_IdES3_S3_EEvbT2_NS_24const_host_device_scalarIT6_EEPKT1_SA_PKS4_PKT3_PKT4_S7_PT5_21rocsparse_index_base_b,@function
_ZN9rocsparseL21csrmvn_general_kernelILj256ELj4Eli21rocsparse_complex_numIfES1_IdES3_S3_EEvbT2_NS_24const_host_device_scalarIT6_EEPKT1_SA_PKS4_PKT3_PKT4_S7_PT5_21rocsparse_index_base_b: ; @_ZN9rocsparseL21csrmvn_general_kernelILj256ELj4Eli21rocsparse_complex_numIfES1_IdES3_S3_EEvbT2_NS_24const_host_device_scalarIT6_EEPKT1_SA_PKS4_PKT3_PKT4_S7_PT5_21rocsparse_index_base_b
; %bb.0:
	s_clause 0x1
	s_load_b64 s[12:13], s[0:1], 0x58
	s_load_b64 s[2:3], s[0:1], 0x8
	v_mov_b32_e32 v1, 0
	s_add_nc_u64 s[4:5], s[0:1], 8
	s_load_b64 s[6:7], s[0:1], 0x40
	s_wait_kmcnt 0x0
	s_bitcmp1_b32 s13, 0
	s_cselect_b32 s3, s5, s3
	s_cselect_b32 s2, s4, s2
	flat_load_b128 v[2:5], v1, s[2:3]
	s_wait_xcnt 0x0
	s_add_nc_u64 s[2:3], s[0:1], 64
	s_delay_alu instid0(SALU_CYCLE_1)
	s_cselect_b32 s3, s3, s7
	s_cselect_b32 s2, s2, s6
	flat_load_b128 v[6:9], v1, s[2:3]
	s_wait_loadcnt_dscnt 0x101
	v_cmp_eq_f64_e32 vcc_lo, 0, v[2:3]
	s_wait_xcnt 0x0
	v_cmp_eq_f64_e64 s2, 0, v[4:5]
	s_and_b32 s4, vcc_lo, s2
	s_mov_b32 s2, -1
	s_and_saveexec_b32 s3, s4
	s_cbranch_execz .LBB375_2
; %bb.1:
	s_wait_loadcnt_dscnt 0x0
	v_cmp_neq_f64_e32 vcc_lo, 1.0, v[6:7]
	v_cmp_neq_f64_e64 s2, 0, v[8:9]
	s_or_b32 s2, vcc_lo, s2
	s_delay_alu instid0(SALU_CYCLE_1)
	s_or_not1_b32 s2, s2, exec_lo
.LBB375_2:
	s_or_b32 exec_lo, exec_lo, s3
	s_and_saveexec_b32 s3, s2
	s_cbranch_execz .LBB375_14
; %bb.3:
	s_bfe_u32 s2, ttmp6, 0x4000c
	s_load_b64 s[14:15], s[0:1], 0x0
	s_add_co_i32 s2, s2, 1
	s_and_b32 s3, ttmp6, 15
	s_mul_i32 s2, ttmp9, s2
	s_getreg_b32 s4, hwreg(HW_REG_IB_STS2, 6, 4)
	s_add_co_i32 s3, s3, s2
	s_cmp_eq_u32 s4, 0
	s_mov_b32 s13, 0
	s_cselect_b32 s2, ttmp9, s3
	s_delay_alu instid0(SALU_CYCLE_1) | instskip(NEXT) | instid1(VALU_DEP_1)
	v_lshl_or_b32 v1, s2, 8, v0
	v_lshrrev_b32_e32 v14, 2, v1
	s_wait_kmcnt 0x0
	s_delay_alu instid0(VALU_DEP_1)
	v_cmp_gt_i32_e32 vcc_lo, s15, v14
	s_and_b32 exec_lo, exec_lo, vcc_lo
	s_cbranch_execz .LBB375_14
; %bb.4:
	s_wait_loadcnt_dscnt 0x0
	v_cmp_neq_f64_e64 s2, 0, v[6:7]
	v_cmp_neq_f64_e64 s3, 0, v[8:9]
	v_mbcnt_lo_u32_b32 v12, -1, 0
	s_clause 0x3
	s_load_b32 s21, s[0:1], 0x60
	s_load_b256 s[4:11], s[0:1], 0x18
	s_load_b64 s[18:19], s[0:1], 0x38
	s_load_b64 s[16:17], s[0:1], 0x50
	v_dual_mov_b32 v11, 0 :: v_dual_bitop2_b32 v10, 3, v0 bitop3:0x40
	v_xor_b32_e32 v15, 1, v12
	v_xor_b32_e32 v13, 2, v12
	s_mov_b32 s20, s12
	s_delay_alu instid0(VALU_DEP_3) | instskip(SKIP_3) | instid1(VALU_DEP_1)
	v_cmp_eq_u32_e32 vcc_lo, 3, v10
	v_sub_nc_u64_e64 v[0:1], v[10:11], s[12:13]
	s_wait_xcnt 0x0
	v_cmp_gt_i32_e64 s0, 32, v13
	v_cndmask_b32_e64 v10, v12, v13, s0
	v_cmp_gt_i32_e64 s0, 32, v15
	s_wait_kmcnt 0x0
	s_lshl_b32 s1, s21, 6
	s_bitcmp1_b32 s14, 0
	s_add_nc_u64 s[10:11], s[10:11], 4
	v_cndmask_b32_e64 v11, v12, v15, s0
	s_cselect_b32 s14, -1, 0
	s_ashr_i32 s21, s12, 31
	v_lshlrev_b32_e32 v24, 2, v10
	s_lshl_b64 s[20:21], s[20:21], 4
	v_lshlrev_b32_e32 v25, 2, v11
	s_sub_nc_u64 s[18:19], s[18:19], s[20:21]
	s_or_b32 s2, s2, s3
	s_mov_b32 s3, s13
	s_branch .LBB375_7
.LBB375_5:                              ;   in Loop: Header=BB375_7 Depth=1
	s_wait_xcnt 0x0
	s_or_b32 exec_lo, exec_lo, s20
	global_store_b128 v[16:17], v[10:13], off
.LBB375_6:                              ;   in Loop: Header=BB375_7 Depth=1
	s_wait_xcnt 0x0
	s_or_b32 exec_lo, exec_lo, s0
	v_add_nc_u32_e32 v14, s1, v14
	s_delay_alu instid0(VALU_DEP_1) | instskip(SKIP_1) | instid1(SALU_CYCLE_1)
	v_cmp_le_i32_e64 s0, s15, v14
	s_or_b32 s3, s0, s3
	s_and_not1_b32 exec_lo, exec_lo, s3
	s_cbranch_execz .LBB375_14
.LBB375_7:                              ; =>This Loop Header: Depth=1
                                        ;     Child Loop BB375_9 Depth 2
	s_wait_dscnt 0x2
	s_clause 0x1
	global_load_b64 v[10:11], v14, s[6:7] scale_offset
	global_load_b64 v[12:13], v14, s[4:5] scale_offset
	s_mov_b32 s20, exec_lo
	s_wait_loadcnt 0x1
	v_sub_nc_u64_e64 v[16:17], v[10:11], s[12:13]
	s_wait_loadcnt_dscnt 0x0
	v_add_nc_u64_e32 v[18:19], v[12:13], v[0:1]
	v_mov_b64_e32 v[10:11], 0
	v_mov_b64_e32 v[12:13], 0
	s_wait_xcnt 0x0
	s_delay_alu instid0(VALU_DEP_3)
	v_cmpx_lt_i64_e64 v[18:19], v[16:17]
	s_cbranch_execz .LBB375_11
; %bb.8:                                ;   in Loop: Header=BB375_7 Depth=1
	v_mov_b64_e32 v[10:11], 0
	v_mov_b64_e32 v[12:13], 0
	v_lshl_add_u64 v[20:21], v[18:19], 3, s[10:11]
	v_lshl_add_u64 v[22:23], v[18:19], 2, s[8:9]
	s_mov_b32 s21, 0
.LBB375_9:                              ;   Parent Loop BB375_7 Depth=1
                                        ; =>  This Inner Loop Header: Depth=2
	global_load_b32 v15, v[22:23], off
	global_load_b64 v[30:31], v[20:21], off offset:-4
	v_add_nc_u64_e32 v[18:19], 4, v[18:19]
	s_wait_xcnt 0x0
	v_add_nc_u64_e32 v[20:21], 32, v[20:21]
	v_add_nc_u64_e32 v[22:23], 16, v[22:23]
	s_delay_alu instid0(VALU_DEP_3)
	v_cmp_ge_i64_e64 s0, v[18:19], v[16:17]
	s_or_b32 s21, s0, s21
	s_wait_loadcnt 0x1
	global_load_b128 v[26:29], v15, s[18:19] scale_offset
	s_wait_loadcnt 0x1
	s_wait_xcnt 0x0
	v_cndmask_b32_e64 v15, v31, -v31, s14
	v_cvt_f64_f32_e32 v[30:31], v30
	s_delay_alu instid0(VALU_DEP_2) | instskip(NEXT) | instid1(VALU_DEP_1)
	v_cvt_f64_f32_e32 v[32:33], v15
	v_mul_f64_e64 v[34:35], -v[4:5], v[32:33]
	v_mul_f64_e32 v[32:33], v[2:3], v[32:33]
	s_delay_alu instid0(VALU_DEP_2) | instskip(NEXT) | instid1(VALU_DEP_2)
	v_fmac_f64_e32 v[34:35], v[2:3], v[30:31]
	v_fmac_f64_e32 v[32:33], v[4:5], v[30:31]
	s_wait_loadcnt 0x0
	s_delay_alu instid0(VALU_DEP_2) | instskip(NEXT) | instid1(VALU_DEP_2)
	v_fmac_f64_e32 v[12:13], v[34:35], v[26:27]
	v_fmac_f64_e32 v[10:11], v[32:33], v[26:27]
	s_delay_alu instid0(VALU_DEP_2) | instskip(NEXT) | instid1(VALU_DEP_2)
	v_fma_f64 v[12:13], -v[32:33], v[28:29], v[12:13]
	v_fmac_f64_e32 v[10:11], v[34:35], v[28:29]
	s_and_not1_b32 exec_lo, exec_lo, s21
	s_cbranch_execnz .LBB375_9
; %bb.10:                               ;   in Loop: Header=BB375_7 Depth=1
	s_or_b32 exec_lo, exec_lo, s21
.LBB375_11:                             ;   in Loop: Header=BB375_7 Depth=1
	s_delay_alu instid0(SALU_CYCLE_1)
	s_or_b32 exec_lo, exec_lo, s20
	ds_bpermute_b32 v16, v24, v12
	ds_bpermute_b32 v17, v24, v13
	;; [unrolled: 1-line block ×4, first 2 shown]
	s_wait_dscnt 0x2
	v_dual_add_f64 v[12:13], v[12:13], v[16:17] :: v_dual_ashrrev_i32 v15, 31, v14
	s_wait_dscnt 0x0
	v_add_f64_e32 v[16:17], v[10:11], v[18:19]
	ds_bpermute_b32 v10, v25, v12
	ds_bpermute_b32 v11, v25, v13
	ds_bpermute_b32 v18, v25, v16
	ds_bpermute_b32 v19, v25, v17
	s_and_saveexec_b32 s0, vcc_lo
	s_cbranch_execz .LBB375_6
; %bb.12:                               ;   in Loop: Header=BB375_7 Depth=1
	s_wait_dscnt 0x2
	v_add_f64_e32 v[10:11], v[12:13], v[10:11]
	s_wait_dscnt 0x0
	v_add_f64_e32 v[12:13], v[16:17], v[18:19]
	v_lshl_add_u64 v[16:17], v[14:15], 4, s[16:17]
	s_and_saveexec_b32 s20, s2
	s_cbranch_execz .LBB375_5
; %bb.13:                               ;   in Loop: Header=BB375_7 Depth=1
	global_load_b128 v[18:21], v[16:17], off
	s_wait_loadcnt 0x0
	v_fmac_f64_e32 v[10:11], v[6:7], v[18:19]
	v_fmac_f64_e32 v[12:13], v[8:9], v[18:19]
	s_delay_alu instid0(VALU_DEP_2) | instskip(NEXT) | instid1(VALU_DEP_2)
	v_fma_f64 v[10:11], -v[8:9], v[20:21], v[10:11]
	v_fmac_f64_e32 v[12:13], v[6:7], v[20:21]
	s_branch .LBB375_5
.LBB375_14:
	s_endpgm
	.section	.rodata,"a",@progbits
	.p2align	6, 0x0
	.amdhsa_kernel _ZN9rocsparseL21csrmvn_general_kernelILj256ELj4Eli21rocsparse_complex_numIfES1_IdES3_S3_EEvbT2_NS_24const_host_device_scalarIT6_EEPKT1_SA_PKS4_PKT3_PKT4_S7_PT5_21rocsparse_index_base_b
		.amdhsa_group_segment_fixed_size 0
		.amdhsa_private_segment_fixed_size 0
		.amdhsa_kernarg_size 352
		.amdhsa_user_sgpr_count 2
		.amdhsa_user_sgpr_dispatch_ptr 0
		.amdhsa_user_sgpr_queue_ptr 0
		.amdhsa_user_sgpr_kernarg_segment_ptr 1
		.amdhsa_user_sgpr_dispatch_id 0
		.amdhsa_user_sgpr_kernarg_preload_length 0
		.amdhsa_user_sgpr_kernarg_preload_offset 0
		.amdhsa_user_sgpr_private_segment_size 0
		.amdhsa_wavefront_size32 1
		.amdhsa_uses_dynamic_stack 0
		.amdhsa_enable_private_segment 0
		.amdhsa_system_sgpr_workgroup_id_x 1
		.amdhsa_system_sgpr_workgroup_id_y 0
		.amdhsa_system_sgpr_workgroup_id_z 0
		.amdhsa_system_sgpr_workgroup_info 0
		.amdhsa_system_vgpr_workitem_id 0
		.amdhsa_next_free_vgpr 36
		.amdhsa_next_free_sgpr 22
		.amdhsa_named_barrier_count 0
		.amdhsa_reserve_vcc 1
		.amdhsa_float_round_mode_32 0
		.amdhsa_float_round_mode_16_64 0
		.amdhsa_float_denorm_mode_32 3
		.amdhsa_float_denorm_mode_16_64 3
		.amdhsa_fp16_overflow 0
		.amdhsa_memory_ordered 1
		.amdhsa_forward_progress 1
		.amdhsa_inst_pref_size 8
		.amdhsa_round_robin_scheduling 0
		.amdhsa_exception_fp_ieee_invalid_op 0
		.amdhsa_exception_fp_denorm_src 0
		.amdhsa_exception_fp_ieee_div_zero 0
		.amdhsa_exception_fp_ieee_overflow 0
		.amdhsa_exception_fp_ieee_underflow 0
		.amdhsa_exception_fp_ieee_inexact 0
		.amdhsa_exception_int_div_zero 0
	.end_amdhsa_kernel
	.section	.text._ZN9rocsparseL21csrmvn_general_kernelILj256ELj4Eli21rocsparse_complex_numIfES1_IdES3_S3_EEvbT2_NS_24const_host_device_scalarIT6_EEPKT1_SA_PKS4_PKT3_PKT4_S7_PT5_21rocsparse_index_base_b,"axG",@progbits,_ZN9rocsparseL21csrmvn_general_kernelILj256ELj4Eli21rocsparse_complex_numIfES1_IdES3_S3_EEvbT2_NS_24const_host_device_scalarIT6_EEPKT1_SA_PKS4_PKT3_PKT4_S7_PT5_21rocsparse_index_base_b,comdat
.Lfunc_end375:
	.size	_ZN9rocsparseL21csrmvn_general_kernelILj256ELj4Eli21rocsparse_complex_numIfES1_IdES3_S3_EEvbT2_NS_24const_host_device_scalarIT6_EEPKT1_SA_PKS4_PKT3_PKT4_S7_PT5_21rocsparse_index_base_b, .Lfunc_end375-_ZN9rocsparseL21csrmvn_general_kernelILj256ELj4Eli21rocsparse_complex_numIfES1_IdES3_S3_EEvbT2_NS_24const_host_device_scalarIT6_EEPKT1_SA_PKS4_PKT3_PKT4_S7_PT5_21rocsparse_index_base_b
                                        ; -- End function
	.set _ZN9rocsparseL21csrmvn_general_kernelILj256ELj4Eli21rocsparse_complex_numIfES1_IdES3_S3_EEvbT2_NS_24const_host_device_scalarIT6_EEPKT1_SA_PKS4_PKT3_PKT4_S7_PT5_21rocsparse_index_base_b.num_vgpr, 36
	.set _ZN9rocsparseL21csrmvn_general_kernelILj256ELj4Eli21rocsparse_complex_numIfES1_IdES3_S3_EEvbT2_NS_24const_host_device_scalarIT6_EEPKT1_SA_PKS4_PKT3_PKT4_S7_PT5_21rocsparse_index_base_b.num_agpr, 0
	.set _ZN9rocsparseL21csrmvn_general_kernelILj256ELj4Eli21rocsparse_complex_numIfES1_IdES3_S3_EEvbT2_NS_24const_host_device_scalarIT6_EEPKT1_SA_PKS4_PKT3_PKT4_S7_PT5_21rocsparse_index_base_b.numbered_sgpr, 22
	.set _ZN9rocsparseL21csrmvn_general_kernelILj256ELj4Eli21rocsparse_complex_numIfES1_IdES3_S3_EEvbT2_NS_24const_host_device_scalarIT6_EEPKT1_SA_PKS4_PKT3_PKT4_S7_PT5_21rocsparse_index_base_b.num_named_barrier, 0
	.set _ZN9rocsparseL21csrmvn_general_kernelILj256ELj4Eli21rocsparse_complex_numIfES1_IdES3_S3_EEvbT2_NS_24const_host_device_scalarIT6_EEPKT1_SA_PKS4_PKT3_PKT4_S7_PT5_21rocsparse_index_base_b.private_seg_size, 0
	.set _ZN9rocsparseL21csrmvn_general_kernelILj256ELj4Eli21rocsparse_complex_numIfES1_IdES3_S3_EEvbT2_NS_24const_host_device_scalarIT6_EEPKT1_SA_PKS4_PKT3_PKT4_S7_PT5_21rocsparse_index_base_b.uses_vcc, 1
	.set _ZN9rocsparseL21csrmvn_general_kernelILj256ELj4Eli21rocsparse_complex_numIfES1_IdES3_S3_EEvbT2_NS_24const_host_device_scalarIT6_EEPKT1_SA_PKS4_PKT3_PKT4_S7_PT5_21rocsparse_index_base_b.uses_flat_scratch, 0
	.set _ZN9rocsparseL21csrmvn_general_kernelILj256ELj4Eli21rocsparse_complex_numIfES1_IdES3_S3_EEvbT2_NS_24const_host_device_scalarIT6_EEPKT1_SA_PKS4_PKT3_PKT4_S7_PT5_21rocsparse_index_base_b.has_dyn_sized_stack, 0
	.set _ZN9rocsparseL21csrmvn_general_kernelILj256ELj4Eli21rocsparse_complex_numIfES1_IdES3_S3_EEvbT2_NS_24const_host_device_scalarIT6_EEPKT1_SA_PKS4_PKT3_PKT4_S7_PT5_21rocsparse_index_base_b.has_recursion, 0
	.set _ZN9rocsparseL21csrmvn_general_kernelILj256ELj4Eli21rocsparse_complex_numIfES1_IdES3_S3_EEvbT2_NS_24const_host_device_scalarIT6_EEPKT1_SA_PKS4_PKT3_PKT4_S7_PT5_21rocsparse_index_base_b.has_indirect_call, 0
	.section	.AMDGPU.csdata,"",@progbits
; Kernel info:
; codeLenInByte = 968
; TotalNumSgprs: 24
; NumVgprs: 36
; ScratchSize: 0
; MemoryBound: 0
; FloatMode: 240
; IeeeMode: 1
; LDSByteSize: 0 bytes/workgroup (compile time only)
; SGPRBlocks: 0
; VGPRBlocks: 2
; NumSGPRsForWavesPerEU: 24
; NumVGPRsForWavesPerEU: 36
; NamedBarCnt: 0
; Occupancy: 16
; WaveLimiterHint : 1
; COMPUTE_PGM_RSRC2:SCRATCH_EN: 0
; COMPUTE_PGM_RSRC2:USER_SGPR: 2
; COMPUTE_PGM_RSRC2:TRAP_HANDLER: 0
; COMPUTE_PGM_RSRC2:TGID_X_EN: 1
; COMPUTE_PGM_RSRC2:TGID_Y_EN: 0
; COMPUTE_PGM_RSRC2:TGID_Z_EN: 0
; COMPUTE_PGM_RSRC2:TIDIG_COMP_CNT: 0
	.section	.text._ZN9rocsparseL21csrmvn_general_kernelILj256ELj8Eli21rocsparse_complex_numIfES1_IdES3_S3_EEvbT2_NS_24const_host_device_scalarIT6_EEPKT1_SA_PKS4_PKT3_PKT4_S7_PT5_21rocsparse_index_base_b,"axG",@progbits,_ZN9rocsparseL21csrmvn_general_kernelILj256ELj8Eli21rocsparse_complex_numIfES1_IdES3_S3_EEvbT2_NS_24const_host_device_scalarIT6_EEPKT1_SA_PKS4_PKT3_PKT4_S7_PT5_21rocsparse_index_base_b,comdat
	.globl	_ZN9rocsparseL21csrmvn_general_kernelILj256ELj8Eli21rocsparse_complex_numIfES1_IdES3_S3_EEvbT2_NS_24const_host_device_scalarIT6_EEPKT1_SA_PKS4_PKT3_PKT4_S7_PT5_21rocsparse_index_base_b ; -- Begin function _ZN9rocsparseL21csrmvn_general_kernelILj256ELj8Eli21rocsparse_complex_numIfES1_IdES3_S3_EEvbT2_NS_24const_host_device_scalarIT6_EEPKT1_SA_PKS4_PKT3_PKT4_S7_PT5_21rocsparse_index_base_b
	.p2align	8
	.type	_ZN9rocsparseL21csrmvn_general_kernelILj256ELj8Eli21rocsparse_complex_numIfES1_IdES3_S3_EEvbT2_NS_24const_host_device_scalarIT6_EEPKT1_SA_PKS4_PKT3_PKT4_S7_PT5_21rocsparse_index_base_b,@function
_ZN9rocsparseL21csrmvn_general_kernelILj256ELj8Eli21rocsparse_complex_numIfES1_IdES3_S3_EEvbT2_NS_24const_host_device_scalarIT6_EEPKT1_SA_PKS4_PKT3_PKT4_S7_PT5_21rocsparse_index_base_b: ; @_ZN9rocsparseL21csrmvn_general_kernelILj256ELj8Eli21rocsparse_complex_numIfES1_IdES3_S3_EEvbT2_NS_24const_host_device_scalarIT6_EEPKT1_SA_PKS4_PKT3_PKT4_S7_PT5_21rocsparse_index_base_b
; %bb.0:
	s_clause 0x1
	s_load_b64 s[12:13], s[0:1], 0x58
	s_load_b64 s[2:3], s[0:1], 0x8
	v_mov_b32_e32 v1, 0
	s_add_nc_u64 s[4:5], s[0:1], 8
	s_load_b64 s[6:7], s[0:1], 0x40
	s_wait_kmcnt 0x0
	s_bitcmp1_b32 s13, 0
	s_cselect_b32 s3, s5, s3
	s_cselect_b32 s2, s4, s2
	flat_load_b128 v[2:5], v1, s[2:3]
	s_wait_xcnt 0x0
	s_add_nc_u64 s[2:3], s[0:1], 64
	s_delay_alu instid0(SALU_CYCLE_1)
	s_cselect_b32 s3, s3, s7
	s_cselect_b32 s2, s2, s6
	flat_load_b128 v[6:9], v1, s[2:3]
	s_wait_loadcnt_dscnt 0x101
	v_cmp_eq_f64_e32 vcc_lo, 0, v[2:3]
	s_wait_xcnt 0x0
	v_cmp_eq_f64_e64 s2, 0, v[4:5]
	s_and_b32 s4, vcc_lo, s2
	s_mov_b32 s2, -1
	s_and_saveexec_b32 s3, s4
	s_cbranch_execz .LBB376_2
; %bb.1:
	s_wait_loadcnt_dscnt 0x0
	v_cmp_neq_f64_e32 vcc_lo, 1.0, v[6:7]
	v_cmp_neq_f64_e64 s2, 0, v[8:9]
	s_or_b32 s2, vcc_lo, s2
	s_delay_alu instid0(SALU_CYCLE_1)
	s_or_not1_b32 s2, s2, exec_lo
.LBB376_2:
	s_or_b32 exec_lo, exec_lo, s3
	s_and_saveexec_b32 s3, s2
	s_cbranch_execz .LBB376_14
; %bb.3:
	s_bfe_u32 s2, ttmp6, 0x4000c
	s_load_b64 s[14:15], s[0:1], 0x0
	s_add_co_i32 s2, s2, 1
	s_and_b32 s3, ttmp6, 15
	s_mul_i32 s2, ttmp9, s2
	s_getreg_b32 s4, hwreg(HW_REG_IB_STS2, 6, 4)
	s_add_co_i32 s3, s3, s2
	s_cmp_eq_u32 s4, 0
	s_mov_b32 s13, 0
	s_cselect_b32 s2, ttmp9, s3
	s_delay_alu instid0(SALU_CYCLE_1) | instskip(NEXT) | instid1(VALU_DEP_1)
	v_lshl_or_b32 v1, s2, 8, v0
	v_lshrrev_b32_e32 v14, 3, v1
	s_wait_kmcnt 0x0
	s_delay_alu instid0(VALU_DEP_1)
	v_cmp_gt_i32_e32 vcc_lo, s15, v14
	s_and_b32 exec_lo, exec_lo, vcc_lo
	s_cbranch_execz .LBB376_14
; %bb.4:
	v_dual_mov_b32 v11, 0 :: v_dual_bitop2_b32 v10, 7, v0 bitop3:0x40
	v_mbcnt_lo_u32_b32 v12, -1, 0
	s_wait_loadcnt_dscnt 0x0
	v_cmp_neq_f64_e64 s2, 0, v[6:7]
	v_cmp_neq_f64_e64 s3, 0, v[8:9]
	s_clause 0x1
	s_load_b32 s21, s[0:1], 0x60
	s_load_b256 s[4:11], s[0:1], 0x18
	v_sub_nc_u64_e64 v[0:1], v[10:11], s[12:13]
	v_xor_b32_e32 v11, 2, v12
	v_xor_b32_e32 v13, 4, v12
	s_clause 0x1
	s_load_b64 s[16:17], s[0:1], 0x50
	s_load_b64 s[18:19], s[0:1], 0x38
	v_cmp_eq_u32_e32 vcc_lo, 7, v10
	s_mov_b32 s20, s12
	s_wait_xcnt 0x0
	v_cmp_gt_i32_e64 s0, 32, v13
	s_delay_alu instid0(VALU_DEP_1) | instskip(SKIP_1) | instid1(VALU_DEP_2)
	v_dual_cndmask_b32 v10, v12, v13, s0 :: v_dual_bitop2_b32 v15, 1, v12 bitop3:0x14
	v_cmp_gt_i32_e64 s0, 32, v11
	v_lshlrev_b32_e32 v24, 2, v10
	s_wait_kmcnt 0x0
	s_lshl_b32 s1, s21, 5
	v_cndmask_b32_e64 v11, v12, v11, s0
	v_cmp_gt_i32_e64 s0, 32, v15
	s_bitcmp1_b32 s14, 0
	s_add_nc_u64 s[10:11], s[10:11], 4
	s_cselect_b32 s14, -1, 0
	s_ashr_i32 s21, s12, 31
	v_cndmask_b32_e64 v12, v12, v15, s0
	v_lshlrev_b32_e32 v25, 2, v11
	s_lshl_b64 s[20:21], s[20:21], 4
	s_delay_alu instid0(SALU_CYCLE_1) | instskip(NEXT) | instid1(VALU_DEP_2)
	s_sub_nc_u64 s[18:19], s[18:19], s[20:21]
	v_lshlrev_b32_e32 v26, 2, v12
	s_or_b32 s2, s2, s3
	s_mov_b32 s3, s13
	s_branch .LBB376_7
.LBB376_5:                              ;   in Loop: Header=BB376_7 Depth=1
	s_wait_xcnt 0x0
	s_or_b32 exec_lo, exec_lo, s20
	global_store_b128 v[16:17], v[10:13], off
.LBB376_6:                              ;   in Loop: Header=BB376_7 Depth=1
	s_wait_xcnt 0x0
	s_or_b32 exec_lo, exec_lo, s0
	v_add_nc_u32_e32 v14, s1, v14
	s_delay_alu instid0(VALU_DEP_1) | instskip(SKIP_1) | instid1(SALU_CYCLE_1)
	v_cmp_le_i32_e64 s0, s15, v14
	s_or_b32 s3, s0, s3
	s_and_not1_b32 exec_lo, exec_lo, s3
	s_cbranch_execz .LBB376_14
.LBB376_7:                              ; =>This Loop Header: Depth=1
                                        ;     Child Loop BB376_9 Depth 2
	s_clause 0x1
	global_load_b64 v[10:11], v14, s[6:7] scale_offset
	global_load_b64 v[12:13], v14, s[4:5] scale_offset
	s_mov_b32 s20, exec_lo
	s_wait_loadcnt_dscnt 0x100
	v_sub_nc_u64_e64 v[16:17], v[10:11], s[12:13]
	s_wait_loadcnt 0x0
	v_add_nc_u64_e32 v[18:19], v[12:13], v[0:1]
	v_mov_b64_e32 v[10:11], 0
	v_mov_b64_e32 v[12:13], 0
	s_wait_xcnt 0x0
	s_delay_alu instid0(VALU_DEP_3)
	v_cmpx_lt_i64_e64 v[18:19], v[16:17]
	s_cbranch_execz .LBB376_11
; %bb.8:                                ;   in Loop: Header=BB376_7 Depth=1
	v_mov_b64_e32 v[10:11], 0
	v_mov_b64_e32 v[12:13], 0
	v_lshl_add_u64 v[20:21], v[18:19], 3, s[10:11]
	v_lshl_add_u64 v[22:23], v[18:19], 2, s[8:9]
	s_mov_b32 s21, 0
.LBB376_9:                              ;   Parent Loop BB376_7 Depth=1
                                        ; =>  This Inner Loop Header: Depth=2
	global_load_b32 v15, v[22:23], off
	global_load_b64 v[32:33], v[20:21], off offset:-4
	v_add_nc_u64_e32 v[18:19], 8, v[18:19]
	s_wait_xcnt 0x0
	v_add_nc_u64_e32 v[20:21], 64, v[20:21]
	v_add_nc_u64_e32 v[22:23], 32, v[22:23]
	s_delay_alu instid0(VALU_DEP_3)
	v_cmp_ge_i64_e64 s0, v[18:19], v[16:17]
	s_or_b32 s21, s0, s21
	s_wait_loadcnt 0x1
	global_load_b128 v[28:31], v15, s[18:19] scale_offset
	s_wait_loadcnt 0x1
	s_wait_xcnt 0x0
	v_cndmask_b32_e64 v15, v33, -v33, s14
	v_cvt_f64_f32_e32 v[32:33], v32
	s_delay_alu instid0(VALU_DEP_2) | instskip(NEXT) | instid1(VALU_DEP_1)
	v_cvt_f64_f32_e32 v[34:35], v15
	v_mul_f64_e64 v[36:37], -v[4:5], v[34:35]
	v_mul_f64_e32 v[34:35], v[2:3], v[34:35]
	s_delay_alu instid0(VALU_DEP_2) | instskip(NEXT) | instid1(VALU_DEP_2)
	v_fmac_f64_e32 v[36:37], v[2:3], v[32:33]
	v_fmac_f64_e32 v[34:35], v[4:5], v[32:33]
	s_wait_loadcnt 0x0
	s_delay_alu instid0(VALU_DEP_2) | instskip(NEXT) | instid1(VALU_DEP_2)
	v_fmac_f64_e32 v[12:13], v[36:37], v[28:29]
	v_fmac_f64_e32 v[10:11], v[34:35], v[28:29]
	s_delay_alu instid0(VALU_DEP_2) | instskip(NEXT) | instid1(VALU_DEP_2)
	v_fma_f64 v[12:13], -v[34:35], v[30:31], v[12:13]
	v_fmac_f64_e32 v[10:11], v[36:37], v[30:31]
	s_and_not1_b32 exec_lo, exec_lo, s21
	s_cbranch_execnz .LBB376_9
; %bb.10:                               ;   in Loop: Header=BB376_7 Depth=1
	s_or_b32 exec_lo, exec_lo, s21
.LBB376_11:                             ;   in Loop: Header=BB376_7 Depth=1
	s_delay_alu instid0(SALU_CYCLE_1)
	s_or_b32 exec_lo, exec_lo, s20
	ds_bpermute_b32 v16, v24, v12
	ds_bpermute_b32 v17, v24, v13
	;; [unrolled: 1-line block ×4, first 2 shown]
	s_wait_dscnt 0x2
	v_dual_add_f64 v[12:13], v[12:13], v[16:17] :: v_dual_ashrrev_i32 v15, 31, v14
	s_wait_dscnt 0x0
	v_add_f64_e32 v[16:17], v[10:11], v[18:19]
	ds_bpermute_b32 v10, v25, v12
	ds_bpermute_b32 v11, v25, v13
	;; [unrolled: 1-line block ×4, first 2 shown]
	s_wait_dscnt 0x2
	v_add_f64_e32 v[10:11], v[12:13], v[10:11]
	s_wait_dscnt 0x0
	v_add_f64_e32 v[12:13], v[16:17], v[18:19]
	ds_bpermute_b32 v18, v26, v10
	ds_bpermute_b32 v19, v26, v11
	;; [unrolled: 1-line block ×4, first 2 shown]
	s_and_saveexec_b32 s0, vcc_lo
	s_cbranch_execz .LBB376_6
; %bb.12:                               ;   in Loop: Header=BB376_7 Depth=1
	s_wait_dscnt 0x2
	v_add_f64_e32 v[10:11], v[10:11], v[18:19]
	s_wait_dscnt 0x0
	v_add_f64_e32 v[12:13], v[12:13], v[16:17]
	v_lshl_add_u64 v[16:17], v[14:15], 4, s[16:17]
	s_and_saveexec_b32 s20, s2
	s_cbranch_execz .LBB376_5
; %bb.13:                               ;   in Loop: Header=BB376_7 Depth=1
	global_load_b128 v[18:21], v[16:17], off
	s_wait_loadcnt 0x0
	v_fmac_f64_e32 v[10:11], v[6:7], v[18:19]
	v_fmac_f64_e32 v[12:13], v[8:9], v[18:19]
	s_delay_alu instid0(VALU_DEP_2) | instskip(NEXT) | instid1(VALU_DEP_2)
	v_fma_f64 v[10:11], -v[8:9], v[20:21], v[10:11]
	v_fmac_f64_e32 v[12:13], v[6:7], v[20:21]
	s_branch .LBB376_5
.LBB376_14:
	s_endpgm
	.section	.rodata,"a",@progbits
	.p2align	6, 0x0
	.amdhsa_kernel _ZN9rocsparseL21csrmvn_general_kernelILj256ELj8Eli21rocsparse_complex_numIfES1_IdES3_S3_EEvbT2_NS_24const_host_device_scalarIT6_EEPKT1_SA_PKS4_PKT3_PKT4_S7_PT5_21rocsparse_index_base_b
		.amdhsa_group_segment_fixed_size 0
		.amdhsa_private_segment_fixed_size 0
		.amdhsa_kernarg_size 352
		.amdhsa_user_sgpr_count 2
		.amdhsa_user_sgpr_dispatch_ptr 0
		.amdhsa_user_sgpr_queue_ptr 0
		.amdhsa_user_sgpr_kernarg_segment_ptr 1
		.amdhsa_user_sgpr_dispatch_id 0
		.amdhsa_user_sgpr_kernarg_preload_length 0
		.amdhsa_user_sgpr_kernarg_preload_offset 0
		.amdhsa_user_sgpr_private_segment_size 0
		.amdhsa_wavefront_size32 1
		.amdhsa_uses_dynamic_stack 0
		.amdhsa_enable_private_segment 0
		.amdhsa_system_sgpr_workgroup_id_x 1
		.amdhsa_system_sgpr_workgroup_id_y 0
		.amdhsa_system_sgpr_workgroup_id_z 0
		.amdhsa_system_sgpr_workgroup_info 0
		.amdhsa_system_vgpr_workitem_id 0
		.amdhsa_next_free_vgpr 38
		.amdhsa_next_free_sgpr 22
		.amdhsa_named_barrier_count 0
		.amdhsa_reserve_vcc 1
		.amdhsa_float_round_mode_32 0
		.amdhsa_float_round_mode_16_64 0
		.amdhsa_float_denorm_mode_32 3
		.amdhsa_float_denorm_mode_16_64 3
		.amdhsa_fp16_overflow 0
		.amdhsa_memory_ordered 1
		.amdhsa_forward_progress 1
		.amdhsa_inst_pref_size 9
		.amdhsa_round_robin_scheduling 0
		.amdhsa_exception_fp_ieee_invalid_op 0
		.amdhsa_exception_fp_denorm_src 0
		.amdhsa_exception_fp_ieee_div_zero 0
		.amdhsa_exception_fp_ieee_overflow 0
		.amdhsa_exception_fp_ieee_underflow 0
		.amdhsa_exception_fp_ieee_inexact 0
		.amdhsa_exception_int_div_zero 0
	.end_amdhsa_kernel
	.section	.text._ZN9rocsparseL21csrmvn_general_kernelILj256ELj8Eli21rocsparse_complex_numIfES1_IdES3_S3_EEvbT2_NS_24const_host_device_scalarIT6_EEPKT1_SA_PKS4_PKT3_PKT4_S7_PT5_21rocsparse_index_base_b,"axG",@progbits,_ZN9rocsparseL21csrmvn_general_kernelILj256ELj8Eli21rocsparse_complex_numIfES1_IdES3_S3_EEvbT2_NS_24const_host_device_scalarIT6_EEPKT1_SA_PKS4_PKT3_PKT4_S7_PT5_21rocsparse_index_base_b,comdat
.Lfunc_end376:
	.size	_ZN9rocsparseL21csrmvn_general_kernelILj256ELj8Eli21rocsparse_complex_numIfES1_IdES3_S3_EEvbT2_NS_24const_host_device_scalarIT6_EEPKT1_SA_PKS4_PKT3_PKT4_S7_PT5_21rocsparse_index_base_b, .Lfunc_end376-_ZN9rocsparseL21csrmvn_general_kernelILj256ELj8Eli21rocsparse_complex_numIfES1_IdES3_S3_EEvbT2_NS_24const_host_device_scalarIT6_EEPKT1_SA_PKS4_PKT3_PKT4_S7_PT5_21rocsparse_index_base_b
                                        ; -- End function
	.set _ZN9rocsparseL21csrmvn_general_kernelILj256ELj8Eli21rocsparse_complex_numIfES1_IdES3_S3_EEvbT2_NS_24const_host_device_scalarIT6_EEPKT1_SA_PKS4_PKT3_PKT4_S7_PT5_21rocsparse_index_base_b.num_vgpr, 38
	.set _ZN9rocsparseL21csrmvn_general_kernelILj256ELj8Eli21rocsparse_complex_numIfES1_IdES3_S3_EEvbT2_NS_24const_host_device_scalarIT6_EEPKT1_SA_PKS4_PKT3_PKT4_S7_PT5_21rocsparse_index_base_b.num_agpr, 0
	.set _ZN9rocsparseL21csrmvn_general_kernelILj256ELj8Eli21rocsparse_complex_numIfES1_IdES3_S3_EEvbT2_NS_24const_host_device_scalarIT6_EEPKT1_SA_PKS4_PKT3_PKT4_S7_PT5_21rocsparse_index_base_b.numbered_sgpr, 22
	.set _ZN9rocsparseL21csrmvn_general_kernelILj256ELj8Eli21rocsparse_complex_numIfES1_IdES3_S3_EEvbT2_NS_24const_host_device_scalarIT6_EEPKT1_SA_PKS4_PKT3_PKT4_S7_PT5_21rocsparse_index_base_b.num_named_barrier, 0
	.set _ZN9rocsparseL21csrmvn_general_kernelILj256ELj8Eli21rocsparse_complex_numIfES1_IdES3_S3_EEvbT2_NS_24const_host_device_scalarIT6_EEPKT1_SA_PKS4_PKT3_PKT4_S7_PT5_21rocsparse_index_base_b.private_seg_size, 0
	.set _ZN9rocsparseL21csrmvn_general_kernelILj256ELj8Eli21rocsparse_complex_numIfES1_IdES3_S3_EEvbT2_NS_24const_host_device_scalarIT6_EEPKT1_SA_PKS4_PKT3_PKT4_S7_PT5_21rocsparse_index_base_b.uses_vcc, 1
	.set _ZN9rocsparseL21csrmvn_general_kernelILj256ELj8Eli21rocsparse_complex_numIfES1_IdES3_S3_EEvbT2_NS_24const_host_device_scalarIT6_EEPKT1_SA_PKS4_PKT3_PKT4_S7_PT5_21rocsparse_index_base_b.uses_flat_scratch, 0
	.set _ZN9rocsparseL21csrmvn_general_kernelILj256ELj8Eli21rocsparse_complex_numIfES1_IdES3_S3_EEvbT2_NS_24const_host_device_scalarIT6_EEPKT1_SA_PKS4_PKT3_PKT4_S7_PT5_21rocsparse_index_base_b.has_dyn_sized_stack, 0
	.set _ZN9rocsparseL21csrmvn_general_kernelILj256ELj8Eli21rocsparse_complex_numIfES1_IdES3_S3_EEvbT2_NS_24const_host_device_scalarIT6_EEPKT1_SA_PKS4_PKT3_PKT4_S7_PT5_21rocsparse_index_base_b.has_recursion, 0
	.set _ZN9rocsparseL21csrmvn_general_kernelILj256ELj8Eli21rocsparse_complex_numIfES1_IdES3_S3_EEvbT2_NS_24const_host_device_scalarIT6_EEPKT1_SA_PKS4_PKT3_PKT4_S7_PT5_21rocsparse_index_base_b.has_indirect_call, 0
	.section	.AMDGPU.csdata,"",@progbits
; Kernel info:
; codeLenInByte = 1044
; TotalNumSgprs: 24
; NumVgprs: 38
; ScratchSize: 0
; MemoryBound: 0
; FloatMode: 240
; IeeeMode: 1
; LDSByteSize: 0 bytes/workgroup (compile time only)
; SGPRBlocks: 0
; VGPRBlocks: 2
; NumSGPRsForWavesPerEU: 24
; NumVGPRsForWavesPerEU: 38
; NamedBarCnt: 0
; Occupancy: 16
; WaveLimiterHint : 1
; COMPUTE_PGM_RSRC2:SCRATCH_EN: 0
; COMPUTE_PGM_RSRC2:USER_SGPR: 2
; COMPUTE_PGM_RSRC2:TRAP_HANDLER: 0
; COMPUTE_PGM_RSRC2:TGID_X_EN: 1
; COMPUTE_PGM_RSRC2:TGID_Y_EN: 0
; COMPUTE_PGM_RSRC2:TGID_Z_EN: 0
; COMPUTE_PGM_RSRC2:TIDIG_COMP_CNT: 0
	.section	.text._ZN9rocsparseL21csrmvn_general_kernelILj256ELj16Eli21rocsparse_complex_numIfES1_IdES3_S3_EEvbT2_NS_24const_host_device_scalarIT6_EEPKT1_SA_PKS4_PKT3_PKT4_S7_PT5_21rocsparse_index_base_b,"axG",@progbits,_ZN9rocsparseL21csrmvn_general_kernelILj256ELj16Eli21rocsparse_complex_numIfES1_IdES3_S3_EEvbT2_NS_24const_host_device_scalarIT6_EEPKT1_SA_PKS4_PKT3_PKT4_S7_PT5_21rocsparse_index_base_b,comdat
	.globl	_ZN9rocsparseL21csrmvn_general_kernelILj256ELj16Eli21rocsparse_complex_numIfES1_IdES3_S3_EEvbT2_NS_24const_host_device_scalarIT6_EEPKT1_SA_PKS4_PKT3_PKT4_S7_PT5_21rocsparse_index_base_b ; -- Begin function _ZN9rocsparseL21csrmvn_general_kernelILj256ELj16Eli21rocsparse_complex_numIfES1_IdES3_S3_EEvbT2_NS_24const_host_device_scalarIT6_EEPKT1_SA_PKS4_PKT3_PKT4_S7_PT5_21rocsparse_index_base_b
	.p2align	8
	.type	_ZN9rocsparseL21csrmvn_general_kernelILj256ELj16Eli21rocsparse_complex_numIfES1_IdES3_S3_EEvbT2_NS_24const_host_device_scalarIT6_EEPKT1_SA_PKS4_PKT3_PKT4_S7_PT5_21rocsparse_index_base_b,@function
_ZN9rocsparseL21csrmvn_general_kernelILj256ELj16Eli21rocsparse_complex_numIfES1_IdES3_S3_EEvbT2_NS_24const_host_device_scalarIT6_EEPKT1_SA_PKS4_PKT3_PKT4_S7_PT5_21rocsparse_index_base_b: ; @_ZN9rocsparseL21csrmvn_general_kernelILj256ELj16Eli21rocsparse_complex_numIfES1_IdES3_S3_EEvbT2_NS_24const_host_device_scalarIT6_EEPKT1_SA_PKS4_PKT3_PKT4_S7_PT5_21rocsparse_index_base_b
; %bb.0:
	s_clause 0x1
	s_load_b64 s[12:13], s[0:1], 0x58
	s_load_b64 s[2:3], s[0:1], 0x8
	v_mov_b32_e32 v1, 0
	s_add_nc_u64 s[4:5], s[0:1], 8
	s_load_b64 s[6:7], s[0:1], 0x40
	s_wait_kmcnt 0x0
	s_bitcmp1_b32 s13, 0
	s_cselect_b32 s3, s5, s3
	s_cselect_b32 s2, s4, s2
	flat_load_b128 v[2:5], v1, s[2:3]
	s_wait_xcnt 0x0
	s_add_nc_u64 s[2:3], s[0:1], 64
	s_delay_alu instid0(SALU_CYCLE_1)
	s_cselect_b32 s3, s3, s7
	s_cselect_b32 s2, s2, s6
	flat_load_b128 v[6:9], v1, s[2:3]
	s_wait_loadcnt_dscnt 0x101
	v_cmp_eq_f64_e32 vcc_lo, 0, v[2:3]
	s_wait_xcnt 0x0
	v_cmp_eq_f64_e64 s2, 0, v[4:5]
	s_and_b32 s4, vcc_lo, s2
	s_mov_b32 s2, -1
	s_and_saveexec_b32 s3, s4
	s_cbranch_execz .LBB377_2
; %bb.1:
	s_wait_loadcnt_dscnt 0x0
	v_cmp_neq_f64_e32 vcc_lo, 1.0, v[6:7]
	v_cmp_neq_f64_e64 s2, 0, v[8:9]
	s_or_b32 s2, vcc_lo, s2
	s_delay_alu instid0(SALU_CYCLE_1)
	s_or_not1_b32 s2, s2, exec_lo
.LBB377_2:
	s_or_b32 exec_lo, exec_lo, s3
	s_and_saveexec_b32 s3, s2
	s_cbranch_execz .LBB377_14
; %bb.3:
	s_bfe_u32 s2, ttmp6, 0x4000c
	s_load_b64 s[14:15], s[0:1], 0x0
	s_add_co_i32 s2, s2, 1
	s_and_b32 s3, ttmp6, 15
	s_mul_i32 s2, ttmp9, s2
	s_getreg_b32 s4, hwreg(HW_REG_IB_STS2, 6, 4)
	s_add_co_i32 s3, s3, s2
	s_cmp_eq_u32 s4, 0
	s_mov_b32 s13, 0
	s_cselect_b32 s2, ttmp9, s3
	s_delay_alu instid0(SALU_CYCLE_1) | instskip(NEXT) | instid1(VALU_DEP_1)
	v_lshl_or_b32 v1, s2, 8, v0
	v_lshrrev_b32_e32 v14, 4, v1
	s_wait_kmcnt 0x0
	s_delay_alu instid0(VALU_DEP_1)
	v_cmp_gt_i32_e32 vcc_lo, s15, v14
	s_and_b32 exec_lo, exec_lo, vcc_lo
	s_cbranch_execz .LBB377_14
; %bb.4:
	v_dual_mov_b32 v11, 0 :: v_dual_bitop2_b32 v10, 15, v0 bitop3:0x40
	v_mbcnt_lo_u32_b32 v12, -1, 0
	s_wait_loadcnt_dscnt 0x0
	v_cmp_neq_f64_e64 s2, 0, v[6:7]
	v_cmp_neq_f64_e64 s3, 0, v[8:9]
	s_load_b32 s21, s[0:1], 0x60
	v_sub_nc_u64_e64 v[0:1], v[10:11], s[12:13]
	v_xor_b32_e32 v11, 4, v12
	v_xor_b32_e32 v13, 8, v12
	s_clause 0x2
	s_load_b256 s[4:11], s[0:1], 0x18
	s_load_b64 s[16:17], s[0:1], 0x50
	s_load_b64 s[18:19], s[0:1], 0x38
	s_mov_b32 s20, s12
	v_cmp_gt_i32_e32 vcc_lo, 32, v13
	v_dual_cndmask_b32 v13, v12, v13, vcc_lo :: v_dual_bitop2_b32 v15, 2, v12 bitop3:0x14
	v_cmp_gt_i32_e32 vcc_lo, 32, v11
	s_delay_alu instid0(VALU_DEP_2) | instskip(NEXT) | instid1(VALU_DEP_3)
	v_dual_cndmask_b32 v11, v12, v11 :: v_dual_lshlrev_b32 v24, 2, v13
	v_cmp_gt_i32_e32 vcc_lo, 32, v15
	v_xor_b32_e32 v16, 1, v12
	s_wait_kmcnt 0x0
	s_lshl_b32 s1, s21, 4
	s_bitcmp1_b32 s14, 0
	v_lshlrev_b32_e32 v25, 2, v11
	v_cndmask_b32_e32 v15, v12, v15, vcc_lo
	v_cmp_gt_i32_e32 vcc_lo, 32, v16
	s_cselect_b32 s14, -1, 0
	s_ashr_i32 s21, s12, 31
	s_delay_alu instid0(SALU_CYCLE_1) | instskip(SKIP_4) | instid1(VALU_DEP_1)
	s_lshl_b64 s[20:21], s[20:21], 4
	v_dual_cndmask_b32 v12, v12, v16, vcc_lo :: v_dual_lshlrev_b32 v26, 2, v15
	s_sub_nc_u64 s[18:19], s[18:19], s[20:21]
	s_or_b32 s20, s2, s3
	s_add_nc_u64 s[2:3], s[10:11], 4
	v_lshlrev_b32_e32 v27, 2, v12
	s_mov_b32 s10, s13
	v_cmp_eq_u32_e32 vcc_lo, 15, v10
	s_branch .LBB377_7
.LBB377_5:                              ;   in Loop: Header=BB377_7 Depth=1
	s_wait_xcnt 0x0
	s_or_b32 exec_lo, exec_lo, s11
	global_store_b128 v[16:17], v[10:13], off
.LBB377_6:                              ;   in Loop: Header=BB377_7 Depth=1
	s_wait_xcnt 0x0
	s_or_b32 exec_lo, exec_lo, s0
	v_add_nc_u32_e32 v14, s1, v14
	s_delay_alu instid0(VALU_DEP_1) | instskip(SKIP_1) | instid1(SALU_CYCLE_1)
	v_cmp_le_i32_e64 s0, s15, v14
	s_or_b32 s10, s0, s10
	s_and_not1_b32 exec_lo, exec_lo, s10
	s_cbranch_execz .LBB377_14
.LBB377_7:                              ; =>This Loop Header: Depth=1
                                        ;     Child Loop BB377_9 Depth 2
	s_clause 0x1
	global_load_b64 v[10:11], v14, s[6:7] scale_offset
	global_load_b64 v[12:13], v14, s[4:5] scale_offset
	s_mov_b32 s11, exec_lo
	s_wait_loadcnt_dscnt 0x100
	v_sub_nc_u64_e64 v[16:17], v[10:11], s[12:13]
	s_wait_loadcnt 0x0
	v_add_nc_u64_e32 v[18:19], v[12:13], v[0:1]
	v_mov_b64_e32 v[10:11], 0
	v_mov_b64_e32 v[12:13], 0
	s_wait_xcnt 0x0
	s_delay_alu instid0(VALU_DEP_3)
	v_cmpx_lt_i64_e64 v[18:19], v[16:17]
	s_cbranch_execz .LBB377_11
; %bb.8:                                ;   in Loop: Header=BB377_7 Depth=1
	v_mov_b64_e32 v[10:11], 0
	v_mov_b64_e32 v[12:13], 0
	v_lshl_add_u64 v[20:21], v[18:19], 3, s[2:3]
	v_lshl_add_u64 v[22:23], v[18:19], 2, s[8:9]
	s_mov_b32 s21, 0
.LBB377_9:                              ;   Parent Loop BB377_7 Depth=1
                                        ; =>  This Inner Loop Header: Depth=2
	global_load_b32 v15, v[22:23], off
	global_load_b64 v[32:33], v[20:21], off offset:-4
	v_add_nc_u64_e32 v[18:19], 16, v[18:19]
	s_wait_xcnt 0x0
	v_add_nc_u64_e32 v[20:21], 0x80, v[20:21]
	v_add_nc_u64_e32 v[22:23], 64, v[22:23]
	s_delay_alu instid0(VALU_DEP_3)
	v_cmp_ge_i64_e64 s0, v[18:19], v[16:17]
	s_or_b32 s21, s0, s21
	s_wait_loadcnt 0x1
	global_load_b128 v[28:31], v15, s[18:19] scale_offset
	s_wait_loadcnt 0x1
	s_wait_xcnt 0x0
	v_cndmask_b32_e64 v15, v33, -v33, s14
	v_cvt_f64_f32_e32 v[32:33], v32
	s_delay_alu instid0(VALU_DEP_2) | instskip(NEXT) | instid1(VALU_DEP_1)
	v_cvt_f64_f32_e32 v[34:35], v15
	v_mul_f64_e64 v[36:37], -v[4:5], v[34:35]
	v_mul_f64_e32 v[34:35], v[2:3], v[34:35]
	s_delay_alu instid0(VALU_DEP_2) | instskip(NEXT) | instid1(VALU_DEP_2)
	v_fmac_f64_e32 v[36:37], v[2:3], v[32:33]
	v_fmac_f64_e32 v[34:35], v[4:5], v[32:33]
	s_wait_loadcnt 0x0
	s_delay_alu instid0(VALU_DEP_2) | instskip(NEXT) | instid1(VALU_DEP_2)
	v_fmac_f64_e32 v[12:13], v[36:37], v[28:29]
	v_fmac_f64_e32 v[10:11], v[34:35], v[28:29]
	s_delay_alu instid0(VALU_DEP_2) | instskip(NEXT) | instid1(VALU_DEP_2)
	v_fma_f64 v[12:13], -v[34:35], v[30:31], v[12:13]
	v_fmac_f64_e32 v[10:11], v[36:37], v[30:31]
	s_and_not1_b32 exec_lo, exec_lo, s21
	s_cbranch_execnz .LBB377_9
; %bb.10:                               ;   in Loop: Header=BB377_7 Depth=1
	s_or_b32 exec_lo, exec_lo, s21
.LBB377_11:                             ;   in Loop: Header=BB377_7 Depth=1
	s_delay_alu instid0(SALU_CYCLE_1)
	s_or_b32 exec_lo, exec_lo, s11
	ds_bpermute_b32 v16, v24, v12
	ds_bpermute_b32 v17, v24, v13
	;; [unrolled: 1-line block ×4, first 2 shown]
	s_wait_dscnt 0x2
	v_dual_add_f64 v[12:13], v[12:13], v[16:17] :: v_dual_ashrrev_i32 v15, 31, v14
	s_wait_dscnt 0x0
	v_add_f64_e32 v[10:11], v[10:11], v[18:19]
	ds_bpermute_b32 v16, v25, v12
	ds_bpermute_b32 v17, v25, v13
	;; [unrolled: 1-line block ×4, first 2 shown]
	s_wait_dscnt 0x2
	v_add_f64_e32 v[12:13], v[12:13], v[16:17]
	s_wait_dscnt 0x0
	v_add_f64_e32 v[16:17], v[10:11], v[18:19]
	ds_bpermute_b32 v10, v26, v12
	ds_bpermute_b32 v11, v26, v13
	;; [unrolled: 1-line block ×4, first 2 shown]
	s_wait_dscnt 0x2
	v_add_f64_e32 v[10:11], v[12:13], v[10:11]
	s_wait_dscnt 0x0
	v_add_f64_e32 v[12:13], v[16:17], v[18:19]
	ds_bpermute_b32 v18, v27, v10
	ds_bpermute_b32 v19, v27, v11
	;; [unrolled: 1-line block ×4, first 2 shown]
	s_and_saveexec_b32 s0, vcc_lo
	s_cbranch_execz .LBB377_6
; %bb.12:                               ;   in Loop: Header=BB377_7 Depth=1
	s_wait_dscnt 0x2
	v_add_f64_e32 v[10:11], v[10:11], v[18:19]
	s_wait_dscnt 0x0
	v_add_f64_e32 v[12:13], v[12:13], v[16:17]
	v_lshl_add_u64 v[16:17], v[14:15], 4, s[16:17]
	s_and_saveexec_b32 s11, s20
	s_cbranch_execz .LBB377_5
; %bb.13:                               ;   in Loop: Header=BB377_7 Depth=1
	global_load_b128 v[18:21], v[16:17], off
	s_wait_loadcnt 0x0
	v_fmac_f64_e32 v[10:11], v[6:7], v[18:19]
	v_fmac_f64_e32 v[12:13], v[8:9], v[18:19]
	s_delay_alu instid0(VALU_DEP_2) | instskip(NEXT) | instid1(VALU_DEP_2)
	v_fma_f64 v[10:11], -v[8:9], v[20:21], v[10:11]
	v_fmac_f64_e32 v[12:13], v[6:7], v[20:21]
	s_branch .LBB377_5
.LBB377_14:
	s_endpgm
	.section	.rodata,"a",@progbits
	.p2align	6, 0x0
	.amdhsa_kernel _ZN9rocsparseL21csrmvn_general_kernelILj256ELj16Eli21rocsparse_complex_numIfES1_IdES3_S3_EEvbT2_NS_24const_host_device_scalarIT6_EEPKT1_SA_PKS4_PKT3_PKT4_S7_PT5_21rocsparse_index_base_b
		.amdhsa_group_segment_fixed_size 0
		.amdhsa_private_segment_fixed_size 0
		.amdhsa_kernarg_size 352
		.amdhsa_user_sgpr_count 2
		.amdhsa_user_sgpr_dispatch_ptr 0
		.amdhsa_user_sgpr_queue_ptr 0
		.amdhsa_user_sgpr_kernarg_segment_ptr 1
		.amdhsa_user_sgpr_dispatch_id 0
		.amdhsa_user_sgpr_kernarg_preload_length 0
		.amdhsa_user_sgpr_kernarg_preload_offset 0
		.amdhsa_user_sgpr_private_segment_size 0
		.amdhsa_wavefront_size32 1
		.amdhsa_uses_dynamic_stack 0
		.amdhsa_enable_private_segment 0
		.amdhsa_system_sgpr_workgroup_id_x 1
		.amdhsa_system_sgpr_workgroup_id_y 0
		.amdhsa_system_sgpr_workgroup_id_z 0
		.amdhsa_system_sgpr_workgroup_info 0
		.amdhsa_system_vgpr_workitem_id 0
		.amdhsa_next_free_vgpr 38
		.amdhsa_next_free_sgpr 22
		.amdhsa_named_barrier_count 0
		.amdhsa_reserve_vcc 1
		.amdhsa_float_round_mode_32 0
		.amdhsa_float_round_mode_16_64 0
		.amdhsa_float_denorm_mode_32 3
		.amdhsa_float_denorm_mode_16_64 3
		.amdhsa_fp16_overflow 0
		.amdhsa_memory_ordered 1
		.amdhsa_forward_progress 1
		.amdhsa_inst_pref_size 9
		.amdhsa_round_robin_scheduling 0
		.amdhsa_exception_fp_ieee_invalid_op 0
		.amdhsa_exception_fp_denorm_src 0
		.amdhsa_exception_fp_ieee_div_zero 0
		.amdhsa_exception_fp_ieee_overflow 0
		.amdhsa_exception_fp_ieee_underflow 0
		.amdhsa_exception_fp_ieee_inexact 0
		.amdhsa_exception_int_div_zero 0
	.end_amdhsa_kernel
	.section	.text._ZN9rocsparseL21csrmvn_general_kernelILj256ELj16Eli21rocsparse_complex_numIfES1_IdES3_S3_EEvbT2_NS_24const_host_device_scalarIT6_EEPKT1_SA_PKS4_PKT3_PKT4_S7_PT5_21rocsparse_index_base_b,"axG",@progbits,_ZN9rocsparseL21csrmvn_general_kernelILj256ELj16Eli21rocsparse_complex_numIfES1_IdES3_S3_EEvbT2_NS_24const_host_device_scalarIT6_EEPKT1_SA_PKS4_PKT3_PKT4_S7_PT5_21rocsparse_index_base_b,comdat
.Lfunc_end377:
	.size	_ZN9rocsparseL21csrmvn_general_kernelILj256ELj16Eli21rocsparse_complex_numIfES1_IdES3_S3_EEvbT2_NS_24const_host_device_scalarIT6_EEPKT1_SA_PKS4_PKT3_PKT4_S7_PT5_21rocsparse_index_base_b, .Lfunc_end377-_ZN9rocsparseL21csrmvn_general_kernelILj256ELj16Eli21rocsparse_complex_numIfES1_IdES3_S3_EEvbT2_NS_24const_host_device_scalarIT6_EEPKT1_SA_PKS4_PKT3_PKT4_S7_PT5_21rocsparse_index_base_b
                                        ; -- End function
	.set _ZN9rocsparseL21csrmvn_general_kernelILj256ELj16Eli21rocsparse_complex_numIfES1_IdES3_S3_EEvbT2_NS_24const_host_device_scalarIT6_EEPKT1_SA_PKS4_PKT3_PKT4_S7_PT5_21rocsparse_index_base_b.num_vgpr, 38
	.set _ZN9rocsparseL21csrmvn_general_kernelILj256ELj16Eli21rocsparse_complex_numIfES1_IdES3_S3_EEvbT2_NS_24const_host_device_scalarIT6_EEPKT1_SA_PKS4_PKT3_PKT4_S7_PT5_21rocsparse_index_base_b.num_agpr, 0
	.set _ZN9rocsparseL21csrmvn_general_kernelILj256ELj16Eli21rocsparse_complex_numIfES1_IdES3_S3_EEvbT2_NS_24const_host_device_scalarIT6_EEPKT1_SA_PKS4_PKT3_PKT4_S7_PT5_21rocsparse_index_base_b.numbered_sgpr, 22
	.set _ZN9rocsparseL21csrmvn_general_kernelILj256ELj16Eli21rocsparse_complex_numIfES1_IdES3_S3_EEvbT2_NS_24const_host_device_scalarIT6_EEPKT1_SA_PKS4_PKT3_PKT4_S7_PT5_21rocsparse_index_base_b.num_named_barrier, 0
	.set _ZN9rocsparseL21csrmvn_general_kernelILj256ELj16Eli21rocsparse_complex_numIfES1_IdES3_S3_EEvbT2_NS_24const_host_device_scalarIT6_EEPKT1_SA_PKS4_PKT3_PKT4_S7_PT5_21rocsparse_index_base_b.private_seg_size, 0
	.set _ZN9rocsparseL21csrmvn_general_kernelILj256ELj16Eli21rocsparse_complex_numIfES1_IdES3_S3_EEvbT2_NS_24const_host_device_scalarIT6_EEPKT1_SA_PKS4_PKT3_PKT4_S7_PT5_21rocsparse_index_base_b.uses_vcc, 1
	.set _ZN9rocsparseL21csrmvn_general_kernelILj256ELj16Eli21rocsparse_complex_numIfES1_IdES3_S3_EEvbT2_NS_24const_host_device_scalarIT6_EEPKT1_SA_PKS4_PKT3_PKT4_S7_PT5_21rocsparse_index_base_b.uses_flat_scratch, 0
	.set _ZN9rocsparseL21csrmvn_general_kernelILj256ELj16Eli21rocsparse_complex_numIfES1_IdES3_S3_EEvbT2_NS_24const_host_device_scalarIT6_EEPKT1_SA_PKS4_PKT3_PKT4_S7_PT5_21rocsparse_index_base_b.has_dyn_sized_stack, 0
	.set _ZN9rocsparseL21csrmvn_general_kernelILj256ELj16Eli21rocsparse_complex_numIfES1_IdES3_S3_EEvbT2_NS_24const_host_device_scalarIT6_EEPKT1_SA_PKS4_PKT3_PKT4_S7_PT5_21rocsparse_index_base_b.has_recursion, 0
	.set _ZN9rocsparseL21csrmvn_general_kernelILj256ELj16Eli21rocsparse_complex_numIfES1_IdES3_S3_EEvbT2_NS_24const_host_device_scalarIT6_EEPKT1_SA_PKS4_PKT3_PKT4_S7_PT5_21rocsparse_index_base_b.has_indirect_call, 0
	.section	.AMDGPU.csdata,"",@progbits
; Kernel info:
; codeLenInByte = 1088
; TotalNumSgprs: 24
; NumVgprs: 38
; ScratchSize: 0
; MemoryBound: 0
; FloatMode: 240
; IeeeMode: 1
; LDSByteSize: 0 bytes/workgroup (compile time only)
; SGPRBlocks: 0
; VGPRBlocks: 2
; NumSGPRsForWavesPerEU: 24
; NumVGPRsForWavesPerEU: 38
; NamedBarCnt: 0
; Occupancy: 16
; WaveLimiterHint : 1
; COMPUTE_PGM_RSRC2:SCRATCH_EN: 0
; COMPUTE_PGM_RSRC2:USER_SGPR: 2
; COMPUTE_PGM_RSRC2:TRAP_HANDLER: 0
; COMPUTE_PGM_RSRC2:TGID_X_EN: 1
; COMPUTE_PGM_RSRC2:TGID_Y_EN: 0
; COMPUTE_PGM_RSRC2:TGID_Z_EN: 0
; COMPUTE_PGM_RSRC2:TIDIG_COMP_CNT: 0
	.section	.text._ZN9rocsparseL21csrmvn_general_kernelILj256ELj32Eli21rocsparse_complex_numIfES1_IdES3_S3_EEvbT2_NS_24const_host_device_scalarIT6_EEPKT1_SA_PKS4_PKT3_PKT4_S7_PT5_21rocsparse_index_base_b,"axG",@progbits,_ZN9rocsparseL21csrmvn_general_kernelILj256ELj32Eli21rocsparse_complex_numIfES1_IdES3_S3_EEvbT2_NS_24const_host_device_scalarIT6_EEPKT1_SA_PKS4_PKT3_PKT4_S7_PT5_21rocsparse_index_base_b,comdat
	.globl	_ZN9rocsparseL21csrmvn_general_kernelILj256ELj32Eli21rocsparse_complex_numIfES1_IdES3_S3_EEvbT2_NS_24const_host_device_scalarIT6_EEPKT1_SA_PKS4_PKT3_PKT4_S7_PT5_21rocsparse_index_base_b ; -- Begin function _ZN9rocsparseL21csrmvn_general_kernelILj256ELj32Eli21rocsparse_complex_numIfES1_IdES3_S3_EEvbT2_NS_24const_host_device_scalarIT6_EEPKT1_SA_PKS4_PKT3_PKT4_S7_PT5_21rocsparse_index_base_b
	.p2align	8
	.type	_ZN9rocsparseL21csrmvn_general_kernelILj256ELj32Eli21rocsparse_complex_numIfES1_IdES3_S3_EEvbT2_NS_24const_host_device_scalarIT6_EEPKT1_SA_PKS4_PKT3_PKT4_S7_PT5_21rocsparse_index_base_b,@function
_ZN9rocsparseL21csrmvn_general_kernelILj256ELj32Eli21rocsparse_complex_numIfES1_IdES3_S3_EEvbT2_NS_24const_host_device_scalarIT6_EEPKT1_SA_PKS4_PKT3_PKT4_S7_PT5_21rocsparse_index_base_b: ; @_ZN9rocsparseL21csrmvn_general_kernelILj256ELj32Eli21rocsparse_complex_numIfES1_IdES3_S3_EEvbT2_NS_24const_host_device_scalarIT6_EEPKT1_SA_PKS4_PKT3_PKT4_S7_PT5_21rocsparse_index_base_b
; %bb.0:
	s_clause 0x1
	s_load_b64 s[12:13], s[0:1], 0x58
	s_load_b64 s[2:3], s[0:1], 0x8
	v_mov_b32_e32 v1, 0
	s_add_nc_u64 s[4:5], s[0:1], 8
	s_load_b64 s[6:7], s[0:1], 0x40
	s_wait_kmcnt 0x0
	s_bitcmp1_b32 s13, 0
	s_cselect_b32 s3, s5, s3
	s_cselect_b32 s2, s4, s2
	flat_load_b128 v[2:5], v1, s[2:3]
	s_wait_xcnt 0x0
	s_add_nc_u64 s[2:3], s[0:1], 64
	s_delay_alu instid0(SALU_CYCLE_1)
	s_cselect_b32 s3, s3, s7
	s_cselect_b32 s2, s2, s6
	flat_load_b128 v[6:9], v1, s[2:3]
	s_wait_loadcnt_dscnt 0x101
	v_cmp_eq_f64_e32 vcc_lo, 0, v[2:3]
	s_wait_xcnt 0x0
	v_cmp_eq_f64_e64 s2, 0, v[4:5]
	s_and_b32 s4, vcc_lo, s2
	s_mov_b32 s2, -1
	s_and_saveexec_b32 s3, s4
	s_cbranch_execz .LBB378_2
; %bb.1:
	s_wait_loadcnt_dscnt 0x0
	v_cmp_neq_f64_e32 vcc_lo, 1.0, v[6:7]
	v_cmp_neq_f64_e64 s2, 0, v[8:9]
	s_or_b32 s2, vcc_lo, s2
	s_delay_alu instid0(SALU_CYCLE_1)
	s_or_not1_b32 s2, s2, exec_lo
.LBB378_2:
	s_or_b32 exec_lo, exec_lo, s3
	s_and_saveexec_b32 s3, s2
	s_cbranch_execz .LBB378_14
; %bb.3:
	s_bfe_u32 s2, ttmp6, 0x4000c
	s_load_b64 s[14:15], s[0:1], 0x0
	s_add_co_i32 s2, s2, 1
	s_and_b32 s3, ttmp6, 15
	s_mul_i32 s2, ttmp9, s2
	s_getreg_b32 s4, hwreg(HW_REG_IB_STS2, 6, 4)
	s_add_co_i32 s3, s3, s2
	s_cmp_eq_u32 s4, 0
	s_mov_b32 s13, 0
	s_cselect_b32 s2, ttmp9, s3
	s_delay_alu instid0(SALU_CYCLE_1) | instskip(NEXT) | instid1(VALU_DEP_1)
	v_lshl_or_b32 v1, s2, 8, v0
	v_lshrrev_b32_e32 v14, 5, v1
	s_wait_kmcnt 0x0
	s_delay_alu instid0(VALU_DEP_1)
	v_cmp_gt_i32_e32 vcc_lo, s15, v14
	s_and_b32 exec_lo, exec_lo, vcc_lo
	s_cbranch_execz .LBB378_14
; %bb.4:
	v_dual_mov_b32 v11, 0 :: v_dual_bitop2_b32 v10, 31, v0 bitop3:0x40
	v_mbcnt_lo_u32_b32 v12, -1, 0
	s_wait_loadcnt_dscnt 0x0
	v_cmp_neq_f64_e64 s2, 0, v[6:7]
	v_cmp_neq_f64_e64 s3, 0, v[8:9]
	s_load_b32 s21, s[0:1], 0x60
	v_sub_nc_u64_e64 v[0:1], v[10:11], s[12:13]
	v_xor_b32_e32 v13, 8, v12
	v_xor_b32_e32 v11, 16, v12
	s_clause 0x2
	s_load_b64 s[16:17], s[0:1], 0x50
	s_load_b64 s[18:19], s[0:1], 0x38
	s_load_b256 s[4:11], s[0:1], 0x18
	s_mov_b32 s20, s12
	v_cmp_gt_i32_e32 vcc_lo, 32, v11
	v_dual_cndmask_b32 v11, v12, v11, vcc_lo :: v_dual_bitop2_b32 v17, 1, v12 bitop3:0x14
	v_cmp_gt_i32_e32 vcc_lo, 32, v13
	s_delay_alu instid0(VALU_DEP_2)
	v_dual_lshlrev_b32 v24, 2, v11 :: v_dual_bitop2_b32 v15, 4, v12 bitop3:0x14
	v_cndmask_b32_e32 v13, v12, v13, vcc_lo
	s_wait_kmcnt 0x0
	s_lshl_b32 s1, s21, 3
	s_bitcmp1_b32 s14, 0
	v_cmp_gt_i32_e32 vcc_lo, 32, v15
	v_xor_b32_e32 v16, 2, v12
	s_cselect_b32 s14, -1, 0
	s_ashr_i32 s21, s12, 31
	v_dual_lshlrev_b32 v25, 2, v13 :: v_dual_cndmask_b32 v15, v12, v15, vcc_lo
	s_delay_alu instid0(VALU_DEP_2) | instskip(SKIP_1) | instid1(SALU_CYCLE_1)
	v_cmp_gt_i32_e32 vcc_lo, 32, v16
	s_lshl_b64 s[20:21], s[20:21], 4
	s_sub_nc_u64 s[18:19], s[18:19], s[20:21]
	s_or_b32 s20, s2, s3
	v_cndmask_b32_e32 v16, v12, v16, vcc_lo
	v_cmp_gt_i32_e32 vcc_lo, 32, v17
	v_lshlrev_b32_e32 v26, 2, v15
	s_add_nc_u64 s[2:3], s[10:11], 4
	s_mov_b32 s10, s13
	v_dual_cndmask_b32 v12, v12, v17 :: v_dual_lshlrev_b32 v27, 2, v16
	v_cmp_eq_u32_e32 vcc_lo, 31, v10
	s_delay_alu instid0(VALU_DEP_2)
	v_lshlrev_b32_e32 v28, 2, v12
	s_branch .LBB378_7
.LBB378_5:                              ;   in Loop: Header=BB378_7 Depth=1
	s_wait_xcnt 0x0
	s_or_b32 exec_lo, exec_lo, s11
	global_store_b128 v[16:17], v[10:13], off
.LBB378_6:                              ;   in Loop: Header=BB378_7 Depth=1
	s_wait_xcnt 0x0
	s_or_b32 exec_lo, exec_lo, s0
	v_add_nc_u32_e32 v14, s1, v14
	s_delay_alu instid0(VALU_DEP_1) | instskip(SKIP_1) | instid1(SALU_CYCLE_1)
	v_cmp_le_i32_e64 s0, s15, v14
	s_or_b32 s10, s0, s10
	s_and_not1_b32 exec_lo, exec_lo, s10
	s_cbranch_execz .LBB378_14
.LBB378_7:                              ; =>This Loop Header: Depth=1
                                        ;     Child Loop BB378_9 Depth 2
	s_clause 0x1
	global_load_b64 v[10:11], v14, s[6:7] scale_offset
	global_load_b64 v[12:13], v14, s[4:5] scale_offset
	s_mov_b32 s11, exec_lo
	s_wait_loadcnt_dscnt 0x100
	v_sub_nc_u64_e64 v[16:17], v[10:11], s[12:13]
	s_wait_loadcnt 0x0
	v_add_nc_u64_e32 v[18:19], v[12:13], v[0:1]
	v_mov_b64_e32 v[10:11], 0
	v_mov_b64_e32 v[12:13], 0
	s_wait_xcnt 0x0
	s_delay_alu instid0(VALU_DEP_3)
	v_cmpx_lt_i64_e64 v[18:19], v[16:17]
	s_cbranch_execz .LBB378_11
; %bb.8:                                ;   in Loop: Header=BB378_7 Depth=1
	v_mov_b64_e32 v[10:11], 0
	v_mov_b64_e32 v[12:13], 0
	v_lshl_add_u64 v[20:21], v[18:19], 3, s[2:3]
	v_lshl_add_u64 v[22:23], v[18:19], 2, s[8:9]
	s_mov_b32 s21, 0
.LBB378_9:                              ;   Parent Loop BB378_7 Depth=1
                                        ; =>  This Inner Loop Header: Depth=2
	global_load_b32 v15, v[22:23], off
	global_load_b64 v[34:35], v[20:21], off offset:-4
	v_add_nc_u64_e32 v[18:19], 32, v[18:19]
	s_wait_xcnt 0x0
	v_add_nc_u64_e32 v[20:21], 0x100, v[20:21]
	v_add_nc_u64_e32 v[22:23], 0x80, v[22:23]
	s_delay_alu instid0(VALU_DEP_3)
	v_cmp_ge_i64_e64 s0, v[18:19], v[16:17]
	s_or_b32 s21, s0, s21
	s_wait_loadcnt 0x1
	global_load_b128 v[30:33], v15, s[18:19] scale_offset
	s_wait_loadcnt 0x1
	s_wait_xcnt 0x0
	v_cndmask_b32_e64 v15, v35, -v35, s14
	v_cvt_f64_f32_e32 v[34:35], v34
	s_delay_alu instid0(VALU_DEP_2) | instskip(NEXT) | instid1(VALU_DEP_1)
	v_cvt_f64_f32_e32 v[36:37], v15
	v_mul_f64_e64 v[38:39], -v[4:5], v[36:37]
	v_mul_f64_e32 v[36:37], v[2:3], v[36:37]
	s_delay_alu instid0(VALU_DEP_2) | instskip(NEXT) | instid1(VALU_DEP_2)
	v_fmac_f64_e32 v[38:39], v[2:3], v[34:35]
	v_fmac_f64_e32 v[36:37], v[4:5], v[34:35]
	s_wait_loadcnt 0x0
	s_delay_alu instid0(VALU_DEP_2) | instskip(NEXT) | instid1(VALU_DEP_2)
	v_fmac_f64_e32 v[12:13], v[38:39], v[30:31]
	v_fmac_f64_e32 v[10:11], v[36:37], v[30:31]
	s_delay_alu instid0(VALU_DEP_2) | instskip(NEXT) | instid1(VALU_DEP_2)
	v_fma_f64 v[12:13], -v[36:37], v[32:33], v[12:13]
	v_fmac_f64_e32 v[10:11], v[38:39], v[32:33]
	s_and_not1_b32 exec_lo, exec_lo, s21
	s_cbranch_execnz .LBB378_9
; %bb.10:                               ;   in Loop: Header=BB378_7 Depth=1
	s_or_b32 exec_lo, exec_lo, s21
.LBB378_11:                             ;   in Loop: Header=BB378_7 Depth=1
	s_delay_alu instid0(SALU_CYCLE_1)
	s_or_b32 exec_lo, exec_lo, s11
	ds_bpermute_b32 v16, v24, v12
	ds_bpermute_b32 v17, v24, v13
	;; [unrolled: 1-line block ×4, first 2 shown]
	s_wait_dscnt 0x2
	v_dual_add_f64 v[12:13], v[12:13], v[16:17] :: v_dual_ashrrev_i32 v15, 31, v14
	s_wait_dscnt 0x0
	v_add_f64_e32 v[10:11], v[10:11], v[18:19]
	ds_bpermute_b32 v16, v25, v12
	ds_bpermute_b32 v17, v25, v13
	ds_bpermute_b32 v18, v25, v10
	ds_bpermute_b32 v19, v25, v11
	s_wait_dscnt 0x2
	v_add_f64_e32 v[12:13], v[12:13], v[16:17]
	s_wait_dscnt 0x0
	v_add_f64_e32 v[10:11], v[10:11], v[18:19]
	ds_bpermute_b32 v16, v26, v12
	ds_bpermute_b32 v17, v26, v13
	ds_bpermute_b32 v18, v26, v10
	ds_bpermute_b32 v19, v26, v11
	s_wait_dscnt 0x2
	v_add_f64_e32 v[12:13], v[12:13], v[16:17]
	;; [unrolled: 8-line block ×3, first 2 shown]
	s_wait_dscnt 0x0
	v_add_f64_e32 v[12:13], v[16:17], v[18:19]
	ds_bpermute_b32 v18, v28, v10
	ds_bpermute_b32 v19, v28, v11
	;; [unrolled: 1-line block ×4, first 2 shown]
	s_and_saveexec_b32 s0, vcc_lo
	s_cbranch_execz .LBB378_6
; %bb.12:                               ;   in Loop: Header=BB378_7 Depth=1
	s_wait_dscnt 0x2
	v_add_f64_e32 v[10:11], v[10:11], v[18:19]
	s_wait_dscnt 0x0
	v_add_f64_e32 v[12:13], v[12:13], v[16:17]
	v_lshl_add_u64 v[16:17], v[14:15], 4, s[16:17]
	s_and_saveexec_b32 s11, s20
	s_cbranch_execz .LBB378_5
; %bb.13:                               ;   in Loop: Header=BB378_7 Depth=1
	global_load_b128 v[18:21], v[16:17], off
	s_wait_loadcnt 0x0
	v_fmac_f64_e32 v[10:11], v[6:7], v[18:19]
	v_fmac_f64_e32 v[12:13], v[8:9], v[18:19]
	s_delay_alu instid0(VALU_DEP_2) | instskip(NEXT) | instid1(VALU_DEP_2)
	v_fma_f64 v[10:11], -v[8:9], v[20:21], v[10:11]
	v_fmac_f64_e32 v[12:13], v[6:7], v[20:21]
	s_branch .LBB378_5
.LBB378_14:
	s_endpgm
	.section	.rodata,"a",@progbits
	.p2align	6, 0x0
	.amdhsa_kernel _ZN9rocsparseL21csrmvn_general_kernelILj256ELj32Eli21rocsparse_complex_numIfES1_IdES3_S3_EEvbT2_NS_24const_host_device_scalarIT6_EEPKT1_SA_PKS4_PKT3_PKT4_S7_PT5_21rocsparse_index_base_b
		.amdhsa_group_segment_fixed_size 0
		.amdhsa_private_segment_fixed_size 0
		.amdhsa_kernarg_size 352
		.amdhsa_user_sgpr_count 2
		.amdhsa_user_sgpr_dispatch_ptr 0
		.amdhsa_user_sgpr_queue_ptr 0
		.amdhsa_user_sgpr_kernarg_segment_ptr 1
		.amdhsa_user_sgpr_dispatch_id 0
		.amdhsa_user_sgpr_kernarg_preload_length 0
		.amdhsa_user_sgpr_kernarg_preload_offset 0
		.amdhsa_user_sgpr_private_segment_size 0
		.amdhsa_wavefront_size32 1
		.amdhsa_uses_dynamic_stack 0
		.amdhsa_enable_private_segment 0
		.amdhsa_system_sgpr_workgroup_id_x 1
		.amdhsa_system_sgpr_workgroup_id_y 0
		.amdhsa_system_sgpr_workgroup_id_z 0
		.amdhsa_system_sgpr_workgroup_info 0
		.amdhsa_system_vgpr_workitem_id 0
		.amdhsa_next_free_vgpr 40
		.amdhsa_next_free_sgpr 22
		.amdhsa_named_barrier_count 0
		.amdhsa_reserve_vcc 1
		.amdhsa_float_round_mode_32 0
		.amdhsa_float_round_mode_16_64 0
		.amdhsa_float_denorm_mode_32 3
		.amdhsa_float_denorm_mode_16_64 3
		.amdhsa_fp16_overflow 0
		.amdhsa_memory_ordered 1
		.amdhsa_forward_progress 1
		.amdhsa_inst_pref_size 10
		.amdhsa_round_robin_scheduling 0
		.amdhsa_exception_fp_ieee_invalid_op 0
		.amdhsa_exception_fp_denorm_src 0
		.amdhsa_exception_fp_ieee_div_zero 0
		.amdhsa_exception_fp_ieee_overflow 0
		.amdhsa_exception_fp_ieee_underflow 0
		.amdhsa_exception_fp_ieee_inexact 0
		.amdhsa_exception_int_div_zero 0
	.end_amdhsa_kernel
	.section	.text._ZN9rocsparseL21csrmvn_general_kernelILj256ELj32Eli21rocsparse_complex_numIfES1_IdES3_S3_EEvbT2_NS_24const_host_device_scalarIT6_EEPKT1_SA_PKS4_PKT3_PKT4_S7_PT5_21rocsparse_index_base_b,"axG",@progbits,_ZN9rocsparseL21csrmvn_general_kernelILj256ELj32Eli21rocsparse_complex_numIfES1_IdES3_S3_EEvbT2_NS_24const_host_device_scalarIT6_EEPKT1_SA_PKS4_PKT3_PKT4_S7_PT5_21rocsparse_index_base_b,comdat
.Lfunc_end378:
	.size	_ZN9rocsparseL21csrmvn_general_kernelILj256ELj32Eli21rocsparse_complex_numIfES1_IdES3_S3_EEvbT2_NS_24const_host_device_scalarIT6_EEPKT1_SA_PKS4_PKT3_PKT4_S7_PT5_21rocsparse_index_base_b, .Lfunc_end378-_ZN9rocsparseL21csrmvn_general_kernelILj256ELj32Eli21rocsparse_complex_numIfES1_IdES3_S3_EEvbT2_NS_24const_host_device_scalarIT6_EEPKT1_SA_PKS4_PKT3_PKT4_S7_PT5_21rocsparse_index_base_b
                                        ; -- End function
	.set _ZN9rocsparseL21csrmvn_general_kernelILj256ELj32Eli21rocsparse_complex_numIfES1_IdES3_S3_EEvbT2_NS_24const_host_device_scalarIT6_EEPKT1_SA_PKS4_PKT3_PKT4_S7_PT5_21rocsparse_index_base_b.num_vgpr, 40
	.set _ZN9rocsparseL21csrmvn_general_kernelILj256ELj32Eli21rocsparse_complex_numIfES1_IdES3_S3_EEvbT2_NS_24const_host_device_scalarIT6_EEPKT1_SA_PKS4_PKT3_PKT4_S7_PT5_21rocsparse_index_base_b.num_agpr, 0
	.set _ZN9rocsparseL21csrmvn_general_kernelILj256ELj32Eli21rocsparse_complex_numIfES1_IdES3_S3_EEvbT2_NS_24const_host_device_scalarIT6_EEPKT1_SA_PKS4_PKT3_PKT4_S7_PT5_21rocsparse_index_base_b.numbered_sgpr, 22
	.set _ZN9rocsparseL21csrmvn_general_kernelILj256ELj32Eli21rocsparse_complex_numIfES1_IdES3_S3_EEvbT2_NS_24const_host_device_scalarIT6_EEPKT1_SA_PKS4_PKT3_PKT4_S7_PT5_21rocsparse_index_base_b.num_named_barrier, 0
	.set _ZN9rocsparseL21csrmvn_general_kernelILj256ELj32Eli21rocsparse_complex_numIfES1_IdES3_S3_EEvbT2_NS_24const_host_device_scalarIT6_EEPKT1_SA_PKS4_PKT3_PKT4_S7_PT5_21rocsparse_index_base_b.private_seg_size, 0
	.set _ZN9rocsparseL21csrmvn_general_kernelILj256ELj32Eli21rocsparse_complex_numIfES1_IdES3_S3_EEvbT2_NS_24const_host_device_scalarIT6_EEPKT1_SA_PKS4_PKT3_PKT4_S7_PT5_21rocsparse_index_base_b.uses_vcc, 1
	.set _ZN9rocsparseL21csrmvn_general_kernelILj256ELj32Eli21rocsparse_complex_numIfES1_IdES3_S3_EEvbT2_NS_24const_host_device_scalarIT6_EEPKT1_SA_PKS4_PKT3_PKT4_S7_PT5_21rocsparse_index_base_b.uses_flat_scratch, 0
	.set _ZN9rocsparseL21csrmvn_general_kernelILj256ELj32Eli21rocsparse_complex_numIfES1_IdES3_S3_EEvbT2_NS_24const_host_device_scalarIT6_EEPKT1_SA_PKS4_PKT3_PKT4_S7_PT5_21rocsparse_index_base_b.has_dyn_sized_stack, 0
	.set _ZN9rocsparseL21csrmvn_general_kernelILj256ELj32Eli21rocsparse_complex_numIfES1_IdES3_S3_EEvbT2_NS_24const_host_device_scalarIT6_EEPKT1_SA_PKS4_PKT3_PKT4_S7_PT5_21rocsparse_index_base_b.has_recursion, 0
	.set _ZN9rocsparseL21csrmvn_general_kernelILj256ELj32Eli21rocsparse_complex_numIfES1_IdES3_S3_EEvbT2_NS_24const_host_device_scalarIT6_EEPKT1_SA_PKS4_PKT3_PKT4_S7_PT5_21rocsparse_index_base_b.has_indirect_call, 0
	.section	.AMDGPU.csdata,"",@progbits
; Kernel info:
; codeLenInByte = 1164
; TotalNumSgprs: 24
; NumVgprs: 40
; ScratchSize: 0
; MemoryBound: 0
; FloatMode: 240
; IeeeMode: 1
; LDSByteSize: 0 bytes/workgroup (compile time only)
; SGPRBlocks: 0
; VGPRBlocks: 2
; NumSGPRsForWavesPerEU: 24
; NumVGPRsForWavesPerEU: 40
; NamedBarCnt: 0
; Occupancy: 16
; WaveLimiterHint : 1
; COMPUTE_PGM_RSRC2:SCRATCH_EN: 0
; COMPUTE_PGM_RSRC2:USER_SGPR: 2
; COMPUTE_PGM_RSRC2:TRAP_HANDLER: 0
; COMPUTE_PGM_RSRC2:TGID_X_EN: 1
; COMPUTE_PGM_RSRC2:TGID_Y_EN: 0
; COMPUTE_PGM_RSRC2:TGID_Z_EN: 0
; COMPUTE_PGM_RSRC2:TIDIG_COMP_CNT: 0
	.section	.text._ZN9rocsparseL21csrmvn_general_kernelILj256ELj64Eli21rocsparse_complex_numIfES1_IdES3_S3_EEvbT2_NS_24const_host_device_scalarIT6_EEPKT1_SA_PKS4_PKT3_PKT4_S7_PT5_21rocsparse_index_base_b,"axG",@progbits,_ZN9rocsparseL21csrmvn_general_kernelILj256ELj64Eli21rocsparse_complex_numIfES1_IdES3_S3_EEvbT2_NS_24const_host_device_scalarIT6_EEPKT1_SA_PKS4_PKT3_PKT4_S7_PT5_21rocsparse_index_base_b,comdat
	.globl	_ZN9rocsparseL21csrmvn_general_kernelILj256ELj64Eli21rocsparse_complex_numIfES1_IdES3_S3_EEvbT2_NS_24const_host_device_scalarIT6_EEPKT1_SA_PKS4_PKT3_PKT4_S7_PT5_21rocsparse_index_base_b ; -- Begin function _ZN9rocsparseL21csrmvn_general_kernelILj256ELj64Eli21rocsparse_complex_numIfES1_IdES3_S3_EEvbT2_NS_24const_host_device_scalarIT6_EEPKT1_SA_PKS4_PKT3_PKT4_S7_PT5_21rocsparse_index_base_b
	.p2align	8
	.type	_ZN9rocsparseL21csrmvn_general_kernelILj256ELj64Eli21rocsparse_complex_numIfES1_IdES3_S3_EEvbT2_NS_24const_host_device_scalarIT6_EEPKT1_SA_PKS4_PKT3_PKT4_S7_PT5_21rocsparse_index_base_b,@function
_ZN9rocsparseL21csrmvn_general_kernelILj256ELj64Eli21rocsparse_complex_numIfES1_IdES3_S3_EEvbT2_NS_24const_host_device_scalarIT6_EEPKT1_SA_PKS4_PKT3_PKT4_S7_PT5_21rocsparse_index_base_b: ; @_ZN9rocsparseL21csrmvn_general_kernelILj256ELj64Eli21rocsparse_complex_numIfES1_IdES3_S3_EEvbT2_NS_24const_host_device_scalarIT6_EEPKT1_SA_PKS4_PKT3_PKT4_S7_PT5_21rocsparse_index_base_b
; %bb.0:
	s_clause 0x1
	s_load_b64 s[12:13], s[0:1], 0x58
	s_load_b64 s[2:3], s[0:1], 0x8
	v_mov_b32_e32 v1, 0
	s_add_nc_u64 s[4:5], s[0:1], 8
	s_load_b64 s[6:7], s[0:1], 0x40
	s_wait_kmcnt 0x0
	s_bitcmp1_b32 s13, 0
	s_cselect_b32 s3, s5, s3
	s_cselect_b32 s2, s4, s2
	flat_load_b128 v[2:5], v1, s[2:3]
	s_wait_xcnt 0x0
	s_add_nc_u64 s[2:3], s[0:1], 64
	s_delay_alu instid0(SALU_CYCLE_1)
	s_cselect_b32 s3, s3, s7
	s_cselect_b32 s2, s2, s6
	flat_load_b128 v[6:9], v1, s[2:3]
	s_wait_loadcnt_dscnt 0x101
	v_cmp_eq_f64_e32 vcc_lo, 0, v[2:3]
	s_wait_xcnt 0x0
	v_cmp_eq_f64_e64 s2, 0, v[4:5]
	s_and_b32 s4, vcc_lo, s2
	s_mov_b32 s2, -1
	s_and_saveexec_b32 s3, s4
	s_cbranch_execz .LBB379_2
; %bb.1:
	s_wait_loadcnt_dscnt 0x0
	v_cmp_neq_f64_e32 vcc_lo, 1.0, v[6:7]
	v_cmp_neq_f64_e64 s2, 0, v[8:9]
	s_or_b32 s2, vcc_lo, s2
	s_delay_alu instid0(SALU_CYCLE_1)
	s_or_not1_b32 s2, s2, exec_lo
.LBB379_2:
	s_or_b32 exec_lo, exec_lo, s3
	s_and_saveexec_b32 s3, s2
	s_cbranch_execz .LBB379_14
; %bb.3:
	s_bfe_u32 s4, ttmp6, 0x4000c
	s_load_b64 s[2:3], s[0:1], 0x0
	s_add_co_i32 s4, s4, 1
	s_and_b32 s5, ttmp6, 15
	s_mul_i32 s4, ttmp9, s4
	s_getreg_b32 s6, hwreg(HW_REG_IB_STS2, 6, 4)
	s_add_co_i32 s5, s5, s4
	s_cmp_eq_u32 s6, 0
	s_mov_b32 s13, 0
	s_cselect_b32 s4, ttmp9, s5
	s_delay_alu instid0(SALU_CYCLE_1) | instskip(NEXT) | instid1(VALU_DEP_1)
	v_lshl_or_b32 v1, s4, 8, v0
	v_lshrrev_b32_e32 v14, 6, v1
	s_wait_kmcnt 0x0
	s_delay_alu instid0(VALU_DEP_1)
	v_cmp_gt_i32_e32 vcc_lo, s3, v14
	s_and_b32 exec_lo, exec_lo, vcc_lo
	s_cbranch_execz .LBB379_14
; %bb.4:
	v_dual_mov_b32 v11, 0 :: v_dual_bitop2_b32 v10, 63, v0 bitop3:0x40
	v_mbcnt_lo_u32_b32 v12, -1, 0
	s_clause 0x3
	s_load_b32 s18, s[0:1], 0x60
	s_load_b256 s[4:11], s[0:1], 0x18
	s_load_b64 s[14:15], s[0:1], 0x50
	s_load_b64 s[16:17], s[0:1], 0x38
	s_wait_loadcnt_dscnt 0x0
	v_cmp_neq_f64_e64 s0, 0, v[6:7]
	v_cmp_neq_f64_e64 s1, 0, v[8:9]
	v_sub_nc_u64_e64 v[0:1], v[10:11], s[12:13]
	v_xor_b32_e32 v13, 16, v12
	v_or_b32_e32 v11, 32, v12
	s_mov_b32 s20, s12
	s_mov_b32 s19, s13
	s_delay_alu instid0(VALU_DEP_1)
	v_cmp_gt_i32_e32 vcc_lo, 32, v11
	v_dual_cndmask_b32 v11, v12, v11, vcc_lo :: v_dual_bitop2_b32 v15, 8, v12 bitop3:0x14
	v_cmp_gt_i32_e32 vcc_lo, 32, v13
	s_wait_kmcnt 0x0
	s_lshl_b32 s18, s18, 2
	s_bitcmp1_b32 s2, 0
	v_lshlrev_b32_e32 v24, 2, v11
	s_cselect_b32 s2, -1, 0
	v_cndmask_b32_e32 v13, v12, v13, vcc_lo
	v_cmp_gt_i32_e32 vcc_lo, 32, v15
	v_xor_b32_e32 v16, 4, v12
	s_ashr_i32 s21, s12, 31
	s_add_nc_u64 s[10:11], s[10:11], 4
	v_dual_lshlrev_b32 v25, 2, v13 :: v_dual_cndmask_b32 v11, v12, v15, vcc_lo
	v_xor_b32_e32 v15, 1, v12
	v_xor_b32_e32 v17, 2, v12
	v_cmp_gt_i32_e32 vcc_lo, 32, v16
	s_lshl_b64 s[20:21], s[20:21], 4
	s_delay_alu instid0(SALU_CYCLE_1) | instskip(SKIP_3) | instid1(VALU_DEP_2)
	s_sub_nc_u64 s[16:17], s[16:17], s[20:21]
	s_or_b32 s1, s0, s1
	v_cndmask_b32_e32 v16, v12, v16, vcc_lo
	v_cmp_gt_i32_e32 vcc_lo, 32, v17
	v_dual_lshlrev_b32 v26, 2, v11 :: v_dual_lshlrev_b32 v27, 2, v16
	v_cndmask_b32_e32 v17, v12, v17, vcc_lo
	v_cmp_gt_i32_e32 vcc_lo, 32, v15
	s_delay_alu instid0(VALU_DEP_2) | instskip(SKIP_1) | instid1(VALU_DEP_2)
	v_dual_cndmask_b32 v12, v12, v15, vcc_lo :: v_dual_lshlrev_b32 v28, 2, v17
	v_cmp_eq_u32_e32 vcc_lo, 63, v10
	v_lshlrev_b32_e32 v29, 2, v12
	s_branch .LBB379_7
.LBB379_5:                              ;   in Loop: Header=BB379_7 Depth=1
	s_wait_xcnt 0x0
	s_or_b32 exec_lo, exec_lo, s20
	global_store_b128 v[16:17], v[10:13], off
.LBB379_6:                              ;   in Loop: Header=BB379_7 Depth=1
	s_wait_xcnt 0x0
	s_or_b32 exec_lo, exec_lo, s0
	v_add_nc_u32_e32 v14, s18, v14
	s_delay_alu instid0(VALU_DEP_1) | instskip(SKIP_1) | instid1(SALU_CYCLE_1)
	v_cmp_le_i32_e64 s0, s3, v14
	s_or_b32 s19, s0, s19
	s_and_not1_b32 exec_lo, exec_lo, s19
	s_cbranch_execz .LBB379_14
.LBB379_7:                              ; =>This Loop Header: Depth=1
                                        ;     Child Loop BB379_9 Depth 2
	s_clause 0x1
	global_load_b64 v[10:11], v14, s[6:7] scale_offset
	global_load_b64 v[12:13], v14, s[4:5] scale_offset
	s_mov_b32 s20, exec_lo
	s_wait_loadcnt_dscnt 0x100
	v_sub_nc_u64_e64 v[16:17], v[10:11], s[12:13]
	s_wait_loadcnt 0x0
	v_add_nc_u64_e32 v[18:19], v[12:13], v[0:1]
	v_mov_b64_e32 v[10:11], 0
	v_mov_b64_e32 v[12:13], 0
	s_wait_xcnt 0x0
	s_delay_alu instid0(VALU_DEP_3)
	v_cmpx_lt_i64_e64 v[18:19], v[16:17]
	s_cbranch_execz .LBB379_11
; %bb.8:                                ;   in Loop: Header=BB379_7 Depth=1
	v_mov_b64_e32 v[10:11], 0
	v_mov_b64_e32 v[12:13], 0
	v_lshl_add_u64 v[20:21], v[18:19], 3, s[10:11]
	v_lshl_add_u64 v[22:23], v[18:19], 2, s[8:9]
	s_mov_b32 s21, 0
.LBB379_9:                              ;   Parent Loop BB379_7 Depth=1
                                        ; =>  This Inner Loop Header: Depth=2
	global_load_b32 v15, v[22:23], off
	global_load_b64 v[34:35], v[20:21], off offset:-4
	v_add_nc_u64_e32 v[18:19], 64, v[18:19]
	s_wait_xcnt 0x0
	v_add_nc_u64_e32 v[20:21], 0x200, v[20:21]
	v_add_nc_u64_e32 v[22:23], 0x100, v[22:23]
	s_delay_alu instid0(VALU_DEP_3)
	v_cmp_ge_i64_e64 s0, v[18:19], v[16:17]
	s_or_b32 s21, s0, s21
	s_wait_loadcnt 0x1
	global_load_b128 v[30:33], v15, s[16:17] scale_offset
	s_wait_loadcnt 0x1
	s_wait_xcnt 0x0
	v_cndmask_b32_e64 v15, v35, -v35, s2
	v_cvt_f64_f32_e32 v[34:35], v34
	s_delay_alu instid0(VALU_DEP_2) | instskip(NEXT) | instid1(VALU_DEP_1)
	v_cvt_f64_f32_e32 v[36:37], v15
	v_mul_f64_e64 v[38:39], -v[4:5], v[36:37]
	v_mul_f64_e32 v[36:37], v[2:3], v[36:37]
	s_delay_alu instid0(VALU_DEP_2) | instskip(NEXT) | instid1(VALU_DEP_2)
	v_fmac_f64_e32 v[38:39], v[2:3], v[34:35]
	v_fmac_f64_e32 v[36:37], v[4:5], v[34:35]
	s_wait_loadcnt 0x0
	s_delay_alu instid0(VALU_DEP_2) | instskip(NEXT) | instid1(VALU_DEP_2)
	v_fmac_f64_e32 v[12:13], v[38:39], v[30:31]
	v_fmac_f64_e32 v[10:11], v[36:37], v[30:31]
	s_delay_alu instid0(VALU_DEP_2) | instskip(NEXT) | instid1(VALU_DEP_2)
	v_fma_f64 v[12:13], -v[36:37], v[32:33], v[12:13]
	v_fmac_f64_e32 v[10:11], v[38:39], v[32:33]
	s_and_not1_b32 exec_lo, exec_lo, s21
	s_cbranch_execnz .LBB379_9
; %bb.10:                               ;   in Loop: Header=BB379_7 Depth=1
	s_or_b32 exec_lo, exec_lo, s21
.LBB379_11:                             ;   in Loop: Header=BB379_7 Depth=1
	s_delay_alu instid0(SALU_CYCLE_1)
	s_or_b32 exec_lo, exec_lo, s20
	ds_bpermute_b32 v16, v24, v12
	ds_bpermute_b32 v17, v24, v13
	;; [unrolled: 1-line block ×4, first 2 shown]
	s_wait_dscnt 0x2
	v_dual_add_f64 v[12:13], v[12:13], v[16:17] :: v_dual_ashrrev_i32 v15, 31, v14
	s_wait_dscnt 0x0
	v_add_f64_e32 v[10:11], v[10:11], v[18:19]
	ds_bpermute_b32 v16, v25, v12
	ds_bpermute_b32 v17, v25, v13
	ds_bpermute_b32 v18, v25, v10
	ds_bpermute_b32 v19, v25, v11
	s_wait_dscnt 0x2
	v_add_f64_e32 v[12:13], v[12:13], v[16:17]
	s_wait_dscnt 0x0
	v_add_f64_e32 v[10:11], v[10:11], v[18:19]
	ds_bpermute_b32 v16, v26, v12
	ds_bpermute_b32 v17, v26, v13
	ds_bpermute_b32 v18, v26, v10
	ds_bpermute_b32 v19, v26, v11
	s_wait_dscnt 0x2
	v_add_f64_e32 v[12:13], v[12:13], v[16:17]
	;; [unrolled: 8-line block ×4, first 2 shown]
	s_wait_dscnt 0x0
	v_add_f64_e32 v[12:13], v[16:17], v[18:19]
	ds_bpermute_b32 v18, v29, v10
	ds_bpermute_b32 v19, v29, v11
	;; [unrolled: 1-line block ×4, first 2 shown]
	s_and_saveexec_b32 s0, vcc_lo
	s_cbranch_execz .LBB379_6
; %bb.12:                               ;   in Loop: Header=BB379_7 Depth=1
	s_wait_dscnt 0x2
	v_add_f64_e32 v[10:11], v[10:11], v[18:19]
	s_wait_dscnt 0x0
	v_add_f64_e32 v[12:13], v[12:13], v[16:17]
	v_lshl_add_u64 v[16:17], v[14:15], 4, s[14:15]
	s_and_saveexec_b32 s20, s1
	s_cbranch_execz .LBB379_5
; %bb.13:                               ;   in Loop: Header=BB379_7 Depth=1
	global_load_b128 v[18:21], v[16:17], off
	s_wait_loadcnt 0x0
	v_fmac_f64_e32 v[10:11], v[6:7], v[18:19]
	v_fmac_f64_e32 v[12:13], v[8:9], v[18:19]
	s_delay_alu instid0(VALU_DEP_2) | instskip(NEXT) | instid1(VALU_DEP_2)
	v_fma_f64 v[10:11], -v[8:9], v[20:21], v[10:11]
	v_fmac_f64_e32 v[12:13], v[6:7], v[20:21]
	s_branch .LBB379_5
.LBB379_14:
	s_endpgm
	.section	.rodata,"a",@progbits
	.p2align	6, 0x0
	.amdhsa_kernel _ZN9rocsparseL21csrmvn_general_kernelILj256ELj64Eli21rocsparse_complex_numIfES1_IdES3_S3_EEvbT2_NS_24const_host_device_scalarIT6_EEPKT1_SA_PKS4_PKT3_PKT4_S7_PT5_21rocsparse_index_base_b
		.amdhsa_group_segment_fixed_size 0
		.amdhsa_private_segment_fixed_size 0
		.amdhsa_kernarg_size 352
		.amdhsa_user_sgpr_count 2
		.amdhsa_user_sgpr_dispatch_ptr 0
		.amdhsa_user_sgpr_queue_ptr 0
		.amdhsa_user_sgpr_kernarg_segment_ptr 1
		.amdhsa_user_sgpr_dispatch_id 0
		.amdhsa_user_sgpr_kernarg_preload_length 0
		.amdhsa_user_sgpr_kernarg_preload_offset 0
		.amdhsa_user_sgpr_private_segment_size 0
		.amdhsa_wavefront_size32 1
		.amdhsa_uses_dynamic_stack 0
		.amdhsa_enable_private_segment 0
		.amdhsa_system_sgpr_workgroup_id_x 1
		.amdhsa_system_sgpr_workgroup_id_y 0
		.amdhsa_system_sgpr_workgroup_id_z 0
		.amdhsa_system_sgpr_workgroup_info 0
		.amdhsa_system_vgpr_workitem_id 0
		.amdhsa_next_free_vgpr 40
		.amdhsa_next_free_sgpr 22
		.amdhsa_named_barrier_count 0
		.amdhsa_reserve_vcc 1
		.amdhsa_float_round_mode_32 0
		.amdhsa_float_round_mode_16_64 0
		.amdhsa_float_denorm_mode_32 3
		.amdhsa_float_denorm_mode_16_64 3
		.amdhsa_fp16_overflow 0
		.amdhsa_memory_ordered 1
		.amdhsa_forward_progress 1
		.amdhsa_inst_pref_size 10
		.amdhsa_round_robin_scheduling 0
		.amdhsa_exception_fp_ieee_invalid_op 0
		.amdhsa_exception_fp_denorm_src 0
		.amdhsa_exception_fp_ieee_div_zero 0
		.amdhsa_exception_fp_ieee_overflow 0
		.amdhsa_exception_fp_ieee_underflow 0
		.amdhsa_exception_fp_ieee_inexact 0
		.amdhsa_exception_int_div_zero 0
	.end_amdhsa_kernel
	.section	.text._ZN9rocsparseL21csrmvn_general_kernelILj256ELj64Eli21rocsparse_complex_numIfES1_IdES3_S3_EEvbT2_NS_24const_host_device_scalarIT6_EEPKT1_SA_PKS4_PKT3_PKT4_S7_PT5_21rocsparse_index_base_b,"axG",@progbits,_ZN9rocsparseL21csrmvn_general_kernelILj256ELj64Eli21rocsparse_complex_numIfES1_IdES3_S3_EEvbT2_NS_24const_host_device_scalarIT6_EEPKT1_SA_PKS4_PKT3_PKT4_S7_PT5_21rocsparse_index_base_b,comdat
.Lfunc_end379:
	.size	_ZN9rocsparseL21csrmvn_general_kernelILj256ELj64Eli21rocsparse_complex_numIfES1_IdES3_S3_EEvbT2_NS_24const_host_device_scalarIT6_EEPKT1_SA_PKS4_PKT3_PKT4_S7_PT5_21rocsparse_index_base_b, .Lfunc_end379-_ZN9rocsparseL21csrmvn_general_kernelILj256ELj64Eli21rocsparse_complex_numIfES1_IdES3_S3_EEvbT2_NS_24const_host_device_scalarIT6_EEPKT1_SA_PKS4_PKT3_PKT4_S7_PT5_21rocsparse_index_base_b
                                        ; -- End function
	.set _ZN9rocsparseL21csrmvn_general_kernelILj256ELj64Eli21rocsparse_complex_numIfES1_IdES3_S3_EEvbT2_NS_24const_host_device_scalarIT6_EEPKT1_SA_PKS4_PKT3_PKT4_S7_PT5_21rocsparse_index_base_b.num_vgpr, 40
	.set _ZN9rocsparseL21csrmvn_general_kernelILj256ELj64Eli21rocsparse_complex_numIfES1_IdES3_S3_EEvbT2_NS_24const_host_device_scalarIT6_EEPKT1_SA_PKS4_PKT3_PKT4_S7_PT5_21rocsparse_index_base_b.num_agpr, 0
	.set _ZN9rocsparseL21csrmvn_general_kernelILj256ELj64Eli21rocsparse_complex_numIfES1_IdES3_S3_EEvbT2_NS_24const_host_device_scalarIT6_EEPKT1_SA_PKS4_PKT3_PKT4_S7_PT5_21rocsparse_index_base_b.numbered_sgpr, 22
	.set _ZN9rocsparseL21csrmvn_general_kernelILj256ELj64Eli21rocsparse_complex_numIfES1_IdES3_S3_EEvbT2_NS_24const_host_device_scalarIT6_EEPKT1_SA_PKS4_PKT3_PKT4_S7_PT5_21rocsparse_index_base_b.num_named_barrier, 0
	.set _ZN9rocsparseL21csrmvn_general_kernelILj256ELj64Eli21rocsparse_complex_numIfES1_IdES3_S3_EEvbT2_NS_24const_host_device_scalarIT6_EEPKT1_SA_PKS4_PKT3_PKT4_S7_PT5_21rocsparse_index_base_b.private_seg_size, 0
	.set _ZN9rocsparseL21csrmvn_general_kernelILj256ELj64Eli21rocsparse_complex_numIfES1_IdES3_S3_EEvbT2_NS_24const_host_device_scalarIT6_EEPKT1_SA_PKS4_PKT3_PKT4_S7_PT5_21rocsparse_index_base_b.uses_vcc, 1
	.set _ZN9rocsparseL21csrmvn_general_kernelILj256ELj64Eli21rocsparse_complex_numIfES1_IdES3_S3_EEvbT2_NS_24const_host_device_scalarIT6_EEPKT1_SA_PKS4_PKT3_PKT4_S7_PT5_21rocsparse_index_base_b.uses_flat_scratch, 0
	.set _ZN9rocsparseL21csrmvn_general_kernelILj256ELj64Eli21rocsparse_complex_numIfES1_IdES3_S3_EEvbT2_NS_24const_host_device_scalarIT6_EEPKT1_SA_PKS4_PKT3_PKT4_S7_PT5_21rocsparse_index_base_b.has_dyn_sized_stack, 0
	.set _ZN9rocsparseL21csrmvn_general_kernelILj256ELj64Eli21rocsparse_complex_numIfES1_IdES3_S3_EEvbT2_NS_24const_host_device_scalarIT6_EEPKT1_SA_PKS4_PKT3_PKT4_S7_PT5_21rocsparse_index_base_b.has_recursion, 0
	.set _ZN9rocsparseL21csrmvn_general_kernelILj256ELj64Eli21rocsparse_complex_numIfES1_IdES3_S3_EEvbT2_NS_24const_host_device_scalarIT6_EEPKT1_SA_PKS4_PKT3_PKT4_S7_PT5_21rocsparse_index_base_b.has_indirect_call, 0
	.section	.AMDGPU.csdata,"",@progbits
; Kernel info:
; codeLenInByte = 1232
; TotalNumSgprs: 24
; NumVgprs: 40
; ScratchSize: 0
; MemoryBound: 0
; FloatMode: 240
; IeeeMode: 1
; LDSByteSize: 0 bytes/workgroup (compile time only)
; SGPRBlocks: 0
; VGPRBlocks: 2
; NumSGPRsForWavesPerEU: 24
; NumVGPRsForWavesPerEU: 40
; NamedBarCnt: 0
; Occupancy: 16
; WaveLimiterHint : 1
; COMPUTE_PGM_RSRC2:SCRATCH_EN: 0
; COMPUTE_PGM_RSRC2:USER_SGPR: 2
; COMPUTE_PGM_RSRC2:TRAP_HANDLER: 0
; COMPUTE_PGM_RSRC2:TGID_X_EN: 1
; COMPUTE_PGM_RSRC2:TGID_Y_EN: 0
; COMPUTE_PGM_RSRC2:TGID_Z_EN: 0
; COMPUTE_PGM_RSRC2:TIDIG_COMP_CNT: 0
	.section	.text._ZN9rocsparseL21csrmvt_general_kernelILj256ELj4Eli21rocsparse_complex_numIfES1_IdES3_S3_EEvbbT2_NS_24const_host_device_scalarIT6_EEPKT1_SA_PKS4_PKT3_PKT4_PT5_21rocsparse_index_base_b,"axG",@progbits,_ZN9rocsparseL21csrmvt_general_kernelILj256ELj4Eli21rocsparse_complex_numIfES1_IdES3_S3_EEvbbT2_NS_24const_host_device_scalarIT6_EEPKT1_SA_PKS4_PKT3_PKT4_PT5_21rocsparse_index_base_b,comdat
	.globl	_ZN9rocsparseL21csrmvt_general_kernelILj256ELj4Eli21rocsparse_complex_numIfES1_IdES3_S3_EEvbbT2_NS_24const_host_device_scalarIT6_EEPKT1_SA_PKS4_PKT3_PKT4_PT5_21rocsparse_index_base_b ; -- Begin function _ZN9rocsparseL21csrmvt_general_kernelILj256ELj4Eli21rocsparse_complex_numIfES1_IdES3_S3_EEvbbT2_NS_24const_host_device_scalarIT6_EEPKT1_SA_PKS4_PKT3_PKT4_PT5_21rocsparse_index_base_b
	.p2align	8
	.type	_ZN9rocsparseL21csrmvt_general_kernelILj256ELj4Eli21rocsparse_complex_numIfES1_IdES3_S3_EEvbbT2_NS_24const_host_device_scalarIT6_EEPKT1_SA_PKS4_PKT3_PKT4_PT5_21rocsparse_index_base_b,@function
_ZN9rocsparseL21csrmvt_general_kernelILj256ELj4Eli21rocsparse_complex_numIfES1_IdES3_S3_EEvbbT2_NS_24const_host_device_scalarIT6_EEPKT1_SA_PKS4_PKT3_PKT4_PT5_21rocsparse_index_base_b: ; @_ZN9rocsparseL21csrmvt_general_kernelILj256ELj4Eli21rocsparse_complex_numIfES1_IdES3_S3_EEvbbT2_NS_24const_host_device_scalarIT6_EEPKT1_SA_PKS4_PKT3_PKT4_PT5_21rocsparse_index_base_b
; %bb.0:
	s_clause 0x1
	s_load_b64 s[16:17], s[0:1], 0x48
	s_load_b64 s[2:3], s[0:1], 0x8
	v_mov_b32_e32 v1, 0
	s_add_nc_u64 s[4:5], s[0:1], 8
	s_wait_kmcnt 0x0
	s_bitcmp1_b32 s17, 0
	s_cselect_b32 s3, s5, s3
	s_cselect_b32 s2, s4, s2
	flat_load_b128 v[2:5], v1, s[2:3]
	s_wait_loadcnt_dscnt 0x0
	v_cmp_neq_f64_e32 vcc_lo, 0, v[2:3]
	v_cmp_neq_f64_e64 s2, 0, v[4:5]
	s_or_b32 s2, vcc_lo, s2
	s_delay_alu instid0(SALU_CYCLE_1)
	s_and_saveexec_b32 s3, s2
	s_cbranch_execz .LBB380_18
; %bb.1:
	s_clause 0x3
	s_load_b32 s4, s[0:1], 0x0
	s_load_b64 s[2:3], s[0:1], 0x0
	s_load_b32 s17, s[0:1], 0x50
	s_load_b128 s[12:15], s[0:1], 0x38
	s_wait_kmcnt 0x0
	s_and_b32 s18, s4, 1
	s_bitcmp1_b32 s2, 8
	s_load_b256 s[4:11], s[0:1], 0x18
	s_cselect_b32 s2, -1, 0
	s_wait_xcnt 0x0
	s_bfe_u32 s0, ttmp6, 0x4000c
	s_and_b32 s1, ttmp6, 15
	s_add_co_i32 s0, s0, 1
	s_lshl_b32 s20, s17, 6
	s_mul_i32 s0, ttmp9, s0
	s_getreg_b32 s17, hwreg(HW_REG_IB_STS2, 6, 4)
	s_add_co_i32 s1, s1, s0
	s_cmp_eq_u32 s17, 0
	s_cselect_b32 s0, ttmp9, s1
	s_cmp_eq_u32 s18, 0
	v_lshl_or_b32 v1, s0, 8, v0
	s_mov_b32 s1, -1
	s_delay_alu instid0(VALU_DEP_1) | instskip(NEXT) | instid1(VALU_DEP_1)
	v_dual_lshrrev_b32 v6, 2, v1 :: v_dual_bitop2_b32 v0, 3, v0 bitop3:0x40
	v_cmp_gt_i32_e64 s0, s3, v6
	s_cbranch_scc0 .LBB380_9
; %bb.2:
	s_and_saveexec_b32 s1, s0
	s_cbranch_execz .LBB380_8
; %bb.3:
	v_dual_mov_b32 v1, 0 :: v_dual_mov_b32 v10, v6
	s_mov_b32 s17, 0
	s_wait_kmcnt 0x0
	s_add_nc_u64 s[18:19], s[10:11], 4
	s_mov_b32 s21, s17
	v_sub_nc_u64_e64 v[8:9], v[0:1], s[16:17]
	s_branch .LBB380_5
.LBB380_4:                              ;   in Loop: Header=BB380_5 Depth=1
	s_or_b32 exec_lo, exec_lo, s22
	v_add_nc_u32_e32 v10, s20, v10
	s_delay_alu instid0(VALU_DEP_1) | instskip(SKIP_1) | instid1(SALU_CYCLE_1)
	v_cmp_le_i32_e32 vcc_lo, s3, v10
	s_or_b32 s21, vcc_lo, s21
	s_and_not1_b32 exec_lo, exec_lo, s21
	s_cbranch_execz .LBB380_8
.LBB380_5:                              ; =>This Loop Header: Depth=1
                                        ;     Child Loop BB380_7 Depth 2
	s_clause 0x1
	global_load_b64 v[12:13], v10, s[6:7] scale_offset
	global_load_b64 v[14:15], v10, s[4:5] scale_offset
	s_mov_b32 s22, exec_lo
	s_wait_loadcnt 0x1
	v_sub_nc_u64_e64 v[12:13], v[12:13], s[16:17]
	s_wait_loadcnt 0x0
	v_add_nc_u64_e32 v[14:15], v[14:15], v[8:9]
	s_wait_xcnt 0x0
	s_delay_alu instid0(VALU_DEP_1)
	v_cmpx_lt_i64_e64 v[14:15], v[12:13]
	s_cbranch_execz .LBB380_4
; %bb.6:                                ;   in Loop: Header=BB380_5 Depth=1
	v_ashrrev_i32_e32 v11, 31, v10
	s_mov_b32 s23, 0
	s_delay_alu instid0(VALU_DEP_1)
	v_lshl_add_u64 v[16:17], v[10:11], 4, s[12:13]
	global_load_b128 v[20:23], v[16:17], off
	s_wait_loadcnt 0x0
	s_wait_xcnt 0x0
	v_mul_f64_e64 v[16:17], v[22:23], -v[4:5]
	v_mul_f64_e32 v[18:19], v[2:3], v[22:23]
	v_lshl_add_u64 v[22:23], v[14:15], 3, s[18:19]
	s_delay_alu instid0(VALU_DEP_3) | instskip(NEXT) | instid1(VALU_DEP_3)
	v_fmac_f64_e32 v[16:17], v[2:3], v[20:21]
	v_fmac_f64_e32 v[18:19], v[4:5], v[20:21]
	v_lshl_add_u64 v[20:21], v[14:15], 2, s[8:9]
.LBB380_7:                              ;   Parent Loop BB380_5 Depth=1
                                        ; =>  This Inner Loop Header: Depth=2
	global_load_b64 v[24:25], v[22:23], off offset:-4
	global_load_b32 v1, v[20:21], off
	v_add_nc_u64_e32 v[14:15], 4, v[14:15]
	s_wait_xcnt 0x0
	v_add_nc_u64_e32 v[20:21], 16, v[20:21]
	v_add_nc_u64_e32 v[22:23], 32, v[22:23]
	s_delay_alu instid0(VALU_DEP_3) | instskip(SKIP_4) | instid1(VALU_DEP_2)
	v_cmp_ge_i64_e32 vcc_lo, v[14:15], v[12:13]
	s_or_b32 s23, vcc_lo, s23
	s_wait_loadcnt 0x1
	v_cndmask_b32_e64 v7, v25, -v25, s2
	v_cvt_f64_f32_e32 v[24:25], v24
	v_cvt_f64_f32_e32 v[26:27], v7
	s_delay_alu instid0(VALU_DEP_1) | instskip(SKIP_1) | instid1(VALU_DEP_2)
	v_mul_f64_e64 v[28:29], -v[18:19], v[26:27]
	v_mul_f64_e32 v[26:27], v[16:17], v[26:27]
	v_fmac_f64_e32 v[28:29], v[16:17], v[24:25]
	s_delay_alu instid0(VALU_DEP_2) | instskip(SKIP_2) | instid1(VALU_DEP_1)
	v_fmac_f64_e32 v[26:27], v[18:19], v[24:25]
	s_wait_loadcnt 0x0
	v_subrev_nc_u32_e32 v24, s16, v1
	v_ashrrev_i32_e32 v25, 31, v24
	s_delay_alu instid0(VALU_DEP_1)
	v_lshl_add_u64 v[24:25], v[24:25], 4, s[14:15]
	global_atomic_add_f64 v[24:25], v[28:29], off scope:SCOPE_DEV
	s_wait_xcnt 0x0
	global_atomic_add_f64 v[24:25], v[26:27], off offset:8 scope:SCOPE_DEV
	s_wait_xcnt 0x0
	s_and_not1_b32 exec_lo, exec_lo, s23
	s_cbranch_execnz .LBB380_7
	s_branch .LBB380_4
.LBB380_8:
	s_or_b32 exec_lo, exec_lo, s1
	s_mov_b32 s1, 0
.LBB380_9:
	s_delay_alu instid0(SALU_CYCLE_1)
	s_and_not1_b32 vcc_lo, exec_lo, s1
	s_cbranch_vccnz .LBB380_18
; %bb.10:
	s_and_b32 exec_lo, exec_lo, s0
	s_cbranch_execz .LBB380_18
; %bb.11:
	v_mov_b32_e32 v1, 0
	s_mov_b32 s17, 0
	s_wait_kmcnt 0x0
	s_add_nc_u64 s[0:1], s[10:11], 4
	s_mov_b32 s10, s17
	v_sub_nc_u64_e64 v[0:1], v[0:1], s[16:17]
	s_branch .LBB380_13
.LBB380_12:                             ;   in Loop: Header=BB380_13 Depth=1
	s_or_b32 exec_lo, exec_lo, s11
	v_add_nc_u32_e32 v6, s20, v6
	s_delay_alu instid0(VALU_DEP_1) | instskip(SKIP_1) | instid1(SALU_CYCLE_1)
	v_cmp_le_i32_e32 vcc_lo, s3, v6
	s_or_b32 s10, vcc_lo, s10
	s_and_not1_b32 exec_lo, exec_lo, s10
	s_cbranch_execz .LBB380_18
.LBB380_13:                             ; =>This Loop Header: Depth=1
                                        ;     Child Loop BB380_16 Depth 2
	s_clause 0x1
	global_load_b64 v[8:9], v6, s[6:7] scale_offset
	global_load_b64 v[10:11], v6, s[4:5] scale_offset
	s_mov_b32 s11, exec_lo
	s_wait_loadcnt 0x1
	v_sub_nc_u64_e64 v[8:9], v[8:9], s[16:17]
	s_wait_loadcnt 0x0
	v_add_nc_u64_e32 v[10:11], v[10:11], v[0:1]
	s_wait_xcnt 0x0
	s_delay_alu instid0(VALU_DEP_1)
	v_cmpx_lt_i64_e64 v[10:11], v[8:9]
	s_cbranch_execz .LBB380_12
; %bb.14:                               ;   in Loop: Header=BB380_13 Depth=1
	v_ashrrev_i32_e32 v7, 31, v6
	s_mov_b32 s18, 0
	s_delay_alu instid0(VALU_DEP_1)
	v_lshl_add_u64 v[12:13], v[6:7], 4, s[12:13]
	global_load_b128 v[16:19], v[12:13], off
	s_wait_loadcnt 0x0
	v_mul_f64_e64 v[12:13], v[18:19], -v[4:5]
	v_mul_f64_e32 v[14:15], v[2:3], v[18:19]
	v_lshl_add_u64 v[18:19], v[10:11], 3, s[0:1]
	s_delay_alu instid0(VALU_DEP_3) | instskip(NEXT) | instid1(VALU_DEP_3)
	v_fmac_f64_e32 v[12:13], v[2:3], v[16:17]
	v_fmac_f64_e32 v[14:15], v[4:5], v[16:17]
	v_lshl_add_u64 v[16:17], v[10:11], 2, s[8:9]
	s_branch .LBB380_16
.LBB380_15:                             ;   in Loop: Header=BB380_16 Depth=2
	s_wait_xcnt 0x0
	s_or_b32 exec_lo, exec_lo, s19
	v_add_nc_u64_e32 v[10:11], 4, v[10:11]
	v_add_nc_u64_e32 v[16:17], 16, v[16:17]
	;; [unrolled: 1-line block ×3, first 2 shown]
	s_delay_alu instid0(VALU_DEP_3) | instskip(SKIP_1) | instid1(SALU_CYCLE_1)
	v_cmp_ge_i64_e32 vcc_lo, v[10:11], v[8:9]
	s_or_b32 s18, vcc_lo, s18
	s_and_not1_b32 exec_lo, exec_lo, s18
	s_cbranch_execz .LBB380_12
.LBB380_16:                             ;   Parent Loop BB380_13 Depth=1
                                        ; =>  This Inner Loop Header: Depth=2
	global_load_b32 v7, v[16:17], off
	s_mov_b32 s19, exec_lo
	s_wait_loadcnt 0x0
	v_subrev_nc_u32_e32 v20, s16, v7
	s_wait_xcnt 0x0
	s_delay_alu instid0(VALU_DEP_1)
	v_cmpx_ne_u32_e64 v20, v6
	s_cbranch_execz .LBB380_15
; %bb.17:                               ;   in Loop: Header=BB380_16 Depth=2
	global_load_b64 v[22:23], v[18:19], off offset:-4
	v_ashrrev_i32_e32 v21, 31, v20
	s_delay_alu instid0(VALU_DEP_1) | instskip(SKIP_3) | instid1(VALU_DEP_2)
	v_lshl_add_u64 v[20:21], v[20:21], 4, s[14:15]
	s_wait_loadcnt 0x0
	v_cndmask_b32_e64 v7, v23, -v23, s2
	v_cvt_f64_f32_e32 v[22:23], v22
	v_cvt_f64_f32_e32 v[24:25], v7
	s_delay_alu instid0(VALU_DEP_1) | instskip(SKIP_1) | instid1(VALU_DEP_2)
	v_mul_f64_e64 v[26:27], -v[14:15], v[24:25]
	v_mul_f64_e32 v[24:25], v[12:13], v[24:25]
	v_fmac_f64_e32 v[26:27], v[12:13], v[22:23]
	s_delay_alu instid0(VALU_DEP_2)
	v_fmac_f64_e32 v[24:25], v[14:15], v[22:23]
	s_wait_xcnt 0x0
	global_atomic_add_f64 v[20:21], v[26:27], off scope:SCOPE_DEV
	s_wait_xcnt 0x0
	global_atomic_add_f64 v[20:21], v[24:25], off offset:8 scope:SCOPE_DEV
	s_branch .LBB380_15
.LBB380_18:
	s_endpgm
	.section	.rodata,"a",@progbits
	.p2align	6, 0x0
	.amdhsa_kernel _ZN9rocsparseL21csrmvt_general_kernelILj256ELj4Eli21rocsparse_complex_numIfES1_IdES3_S3_EEvbbT2_NS_24const_host_device_scalarIT6_EEPKT1_SA_PKS4_PKT3_PKT4_PT5_21rocsparse_index_base_b
		.amdhsa_group_segment_fixed_size 0
		.amdhsa_private_segment_fixed_size 0
		.amdhsa_kernarg_size 336
		.amdhsa_user_sgpr_count 2
		.amdhsa_user_sgpr_dispatch_ptr 0
		.amdhsa_user_sgpr_queue_ptr 0
		.amdhsa_user_sgpr_kernarg_segment_ptr 1
		.amdhsa_user_sgpr_dispatch_id 0
		.amdhsa_user_sgpr_kernarg_preload_length 0
		.amdhsa_user_sgpr_kernarg_preload_offset 0
		.amdhsa_user_sgpr_private_segment_size 0
		.amdhsa_wavefront_size32 1
		.amdhsa_uses_dynamic_stack 0
		.amdhsa_enable_private_segment 0
		.amdhsa_system_sgpr_workgroup_id_x 1
		.amdhsa_system_sgpr_workgroup_id_y 0
		.amdhsa_system_sgpr_workgroup_id_z 0
		.amdhsa_system_sgpr_workgroup_info 0
		.amdhsa_system_vgpr_workitem_id 0
		.amdhsa_next_free_vgpr 30
		.amdhsa_next_free_sgpr 24
		.amdhsa_named_barrier_count 0
		.amdhsa_reserve_vcc 1
		.amdhsa_float_round_mode_32 0
		.amdhsa_float_round_mode_16_64 0
		.amdhsa_float_denorm_mode_32 3
		.amdhsa_float_denorm_mode_16_64 3
		.amdhsa_fp16_overflow 0
		.amdhsa_memory_ordered 1
		.amdhsa_forward_progress 1
		.amdhsa_inst_pref_size 9
		.amdhsa_round_robin_scheduling 0
		.amdhsa_exception_fp_ieee_invalid_op 0
		.amdhsa_exception_fp_denorm_src 0
		.amdhsa_exception_fp_ieee_div_zero 0
		.amdhsa_exception_fp_ieee_overflow 0
		.amdhsa_exception_fp_ieee_underflow 0
		.amdhsa_exception_fp_ieee_inexact 0
		.amdhsa_exception_int_div_zero 0
	.end_amdhsa_kernel
	.section	.text._ZN9rocsparseL21csrmvt_general_kernelILj256ELj4Eli21rocsparse_complex_numIfES1_IdES3_S3_EEvbbT2_NS_24const_host_device_scalarIT6_EEPKT1_SA_PKS4_PKT3_PKT4_PT5_21rocsparse_index_base_b,"axG",@progbits,_ZN9rocsparseL21csrmvt_general_kernelILj256ELj4Eli21rocsparse_complex_numIfES1_IdES3_S3_EEvbbT2_NS_24const_host_device_scalarIT6_EEPKT1_SA_PKS4_PKT3_PKT4_PT5_21rocsparse_index_base_b,comdat
.Lfunc_end380:
	.size	_ZN9rocsparseL21csrmvt_general_kernelILj256ELj4Eli21rocsparse_complex_numIfES1_IdES3_S3_EEvbbT2_NS_24const_host_device_scalarIT6_EEPKT1_SA_PKS4_PKT3_PKT4_PT5_21rocsparse_index_base_b, .Lfunc_end380-_ZN9rocsparseL21csrmvt_general_kernelILj256ELj4Eli21rocsparse_complex_numIfES1_IdES3_S3_EEvbbT2_NS_24const_host_device_scalarIT6_EEPKT1_SA_PKS4_PKT3_PKT4_PT5_21rocsparse_index_base_b
                                        ; -- End function
	.set _ZN9rocsparseL21csrmvt_general_kernelILj256ELj4Eli21rocsparse_complex_numIfES1_IdES3_S3_EEvbbT2_NS_24const_host_device_scalarIT6_EEPKT1_SA_PKS4_PKT3_PKT4_PT5_21rocsparse_index_base_b.num_vgpr, 30
	.set _ZN9rocsparseL21csrmvt_general_kernelILj256ELj4Eli21rocsparse_complex_numIfES1_IdES3_S3_EEvbbT2_NS_24const_host_device_scalarIT6_EEPKT1_SA_PKS4_PKT3_PKT4_PT5_21rocsparse_index_base_b.num_agpr, 0
	.set _ZN9rocsparseL21csrmvt_general_kernelILj256ELj4Eli21rocsparse_complex_numIfES1_IdES3_S3_EEvbbT2_NS_24const_host_device_scalarIT6_EEPKT1_SA_PKS4_PKT3_PKT4_PT5_21rocsparse_index_base_b.numbered_sgpr, 24
	.set _ZN9rocsparseL21csrmvt_general_kernelILj256ELj4Eli21rocsparse_complex_numIfES1_IdES3_S3_EEvbbT2_NS_24const_host_device_scalarIT6_EEPKT1_SA_PKS4_PKT3_PKT4_PT5_21rocsparse_index_base_b.num_named_barrier, 0
	.set _ZN9rocsparseL21csrmvt_general_kernelILj256ELj4Eli21rocsparse_complex_numIfES1_IdES3_S3_EEvbbT2_NS_24const_host_device_scalarIT6_EEPKT1_SA_PKS4_PKT3_PKT4_PT5_21rocsparse_index_base_b.private_seg_size, 0
	.set _ZN9rocsparseL21csrmvt_general_kernelILj256ELj4Eli21rocsparse_complex_numIfES1_IdES3_S3_EEvbbT2_NS_24const_host_device_scalarIT6_EEPKT1_SA_PKS4_PKT3_PKT4_PT5_21rocsparse_index_base_b.uses_vcc, 1
	.set _ZN9rocsparseL21csrmvt_general_kernelILj256ELj4Eli21rocsparse_complex_numIfES1_IdES3_S3_EEvbbT2_NS_24const_host_device_scalarIT6_EEPKT1_SA_PKS4_PKT3_PKT4_PT5_21rocsparse_index_base_b.uses_flat_scratch, 0
	.set _ZN9rocsparseL21csrmvt_general_kernelILj256ELj4Eli21rocsparse_complex_numIfES1_IdES3_S3_EEvbbT2_NS_24const_host_device_scalarIT6_EEPKT1_SA_PKS4_PKT3_PKT4_PT5_21rocsparse_index_base_b.has_dyn_sized_stack, 0
	.set _ZN9rocsparseL21csrmvt_general_kernelILj256ELj4Eli21rocsparse_complex_numIfES1_IdES3_S3_EEvbbT2_NS_24const_host_device_scalarIT6_EEPKT1_SA_PKS4_PKT3_PKT4_PT5_21rocsparse_index_base_b.has_recursion, 0
	.set _ZN9rocsparseL21csrmvt_general_kernelILj256ELj4Eli21rocsparse_complex_numIfES1_IdES3_S3_EEvbbT2_NS_24const_host_device_scalarIT6_EEPKT1_SA_PKS4_PKT3_PKT4_PT5_21rocsparse_index_base_b.has_indirect_call, 0
	.section	.AMDGPU.csdata,"",@progbits
; Kernel info:
; codeLenInByte = 1068
; TotalNumSgprs: 26
; NumVgprs: 30
; ScratchSize: 0
; MemoryBound: 0
; FloatMode: 240
; IeeeMode: 1
; LDSByteSize: 0 bytes/workgroup (compile time only)
; SGPRBlocks: 0
; VGPRBlocks: 1
; NumSGPRsForWavesPerEU: 26
; NumVGPRsForWavesPerEU: 30
; NamedBarCnt: 0
; Occupancy: 16
; WaveLimiterHint : 1
; COMPUTE_PGM_RSRC2:SCRATCH_EN: 0
; COMPUTE_PGM_RSRC2:USER_SGPR: 2
; COMPUTE_PGM_RSRC2:TRAP_HANDLER: 0
; COMPUTE_PGM_RSRC2:TGID_X_EN: 1
; COMPUTE_PGM_RSRC2:TGID_Y_EN: 0
; COMPUTE_PGM_RSRC2:TGID_Z_EN: 0
; COMPUTE_PGM_RSRC2:TIDIG_COMP_CNT: 0
	.section	.text._ZN9rocsparseL21csrmvt_general_kernelILj256ELj8Eli21rocsparse_complex_numIfES1_IdES3_S3_EEvbbT2_NS_24const_host_device_scalarIT6_EEPKT1_SA_PKS4_PKT3_PKT4_PT5_21rocsparse_index_base_b,"axG",@progbits,_ZN9rocsparseL21csrmvt_general_kernelILj256ELj8Eli21rocsparse_complex_numIfES1_IdES3_S3_EEvbbT2_NS_24const_host_device_scalarIT6_EEPKT1_SA_PKS4_PKT3_PKT4_PT5_21rocsparse_index_base_b,comdat
	.globl	_ZN9rocsparseL21csrmvt_general_kernelILj256ELj8Eli21rocsparse_complex_numIfES1_IdES3_S3_EEvbbT2_NS_24const_host_device_scalarIT6_EEPKT1_SA_PKS4_PKT3_PKT4_PT5_21rocsparse_index_base_b ; -- Begin function _ZN9rocsparseL21csrmvt_general_kernelILj256ELj8Eli21rocsparse_complex_numIfES1_IdES3_S3_EEvbbT2_NS_24const_host_device_scalarIT6_EEPKT1_SA_PKS4_PKT3_PKT4_PT5_21rocsparse_index_base_b
	.p2align	8
	.type	_ZN9rocsparseL21csrmvt_general_kernelILj256ELj8Eli21rocsparse_complex_numIfES1_IdES3_S3_EEvbbT2_NS_24const_host_device_scalarIT6_EEPKT1_SA_PKS4_PKT3_PKT4_PT5_21rocsparse_index_base_b,@function
_ZN9rocsparseL21csrmvt_general_kernelILj256ELj8Eli21rocsparse_complex_numIfES1_IdES3_S3_EEvbbT2_NS_24const_host_device_scalarIT6_EEPKT1_SA_PKS4_PKT3_PKT4_PT5_21rocsparse_index_base_b: ; @_ZN9rocsparseL21csrmvt_general_kernelILj256ELj8Eli21rocsparse_complex_numIfES1_IdES3_S3_EEvbbT2_NS_24const_host_device_scalarIT6_EEPKT1_SA_PKS4_PKT3_PKT4_PT5_21rocsparse_index_base_b
; %bb.0:
	s_clause 0x1
	s_load_b64 s[16:17], s[0:1], 0x48
	s_load_b64 s[2:3], s[0:1], 0x8
	v_mov_b32_e32 v1, 0
	s_add_nc_u64 s[4:5], s[0:1], 8
	s_wait_kmcnt 0x0
	s_bitcmp1_b32 s17, 0
	s_cselect_b32 s3, s5, s3
	s_cselect_b32 s2, s4, s2
	flat_load_b128 v[2:5], v1, s[2:3]
	s_wait_loadcnt_dscnt 0x0
	v_cmp_neq_f64_e32 vcc_lo, 0, v[2:3]
	v_cmp_neq_f64_e64 s2, 0, v[4:5]
	s_or_b32 s2, vcc_lo, s2
	s_delay_alu instid0(SALU_CYCLE_1)
	s_and_saveexec_b32 s3, s2
	s_cbranch_execz .LBB381_18
; %bb.1:
	s_clause 0x3
	s_load_b32 s4, s[0:1], 0x0
	s_load_b64 s[2:3], s[0:1], 0x0
	s_load_b32 s17, s[0:1], 0x50
	s_load_b128 s[12:15], s[0:1], 0x38
	s_wait_kmcnt 0x0
	s_and_b32 s18, s4, 1
	s_bitcmp1_b32 s2, 8
	s_load_b256 s[4:11], s[0:1], 0x18
	s_cselect_b32 s2, -1, 0
	s_wait_xcnt 0x0
	s_bfe_u32 s0, ttmp6, 0x4000c
	s_and_b32 s1, ttmp6, 15
	s_add_co_i32 s0, s0, 1
	s_lshl_b32 s20, s17, 5
	s_mul_i32 s0, ttmp9, s0
	s_getreg_b32 s17, hwreg(HW_REG_IB_STS2, 6, 4)
	s_add_co_i32 s1, s1, s0
	s_cmp_eq_u32 s17, 0
	s_cselect_b32 s0, ttmp9, s1
	s_cmp_eq_u32 s18, 0
	v_lshl_or_b32 v1, s0, 8, v0
	s_mov_b32 s1, -1
	s_delay_alu instid0(VALU_DEP_1) | instskip(NEXT) | instid1(VALU_DEP_1)
	v_dual_lshrrev_b32 v6, 3, v1 :: v_dual_bitop2_b32 v0, 7, v0 bitop3:0x40
	v_cmp_gt_i32_e64 s0, s3, v6
	s_cbranch_scc0 .LBB381_9
; %bb.2:
	s_and_saveexec_b32 s1, s0
	s_cbranch_execz .LBB381_8
; %bb.3:
	v_dual_mov_b32 v1, 0 :: v_dual_mov_b32 v10, v6
	s_mov_b32 s17, 0
	s_wait_kmcnt 0x0
	s_add_nc_u64 s[18:19], s[10:11], 4
	s_mov_b32 s21, s17
	v_sub_nc_u64_e64 v[8:9], v[0:1], s[16:17]
	s_branch .LBB381_5
.LBB381_4:                              ;   in Loop: Header=BB381_5 Depth=1
	s_or_b32 exec_lo, exec_lo, s22
	v_add_nc_u32_e32 v10, s20, v10
	s_delay_alu instid0(VALU_DEP_1) | instskip(SKIP_1) | instid1(SALU_CYCLE_1)
	v_cmp_le_i32_e32 vcc_lo, s3, v10
	s_or_b32 s21, vcc_lo, s21
	s_and_not1_b32 exec_lo, exec_lo, s21
	s_cbranch_execz .LBB381_8
.LBB381_5:                              ; =>This Loop Header: Depth=1
                                        ;     Child Loop BB381_7 Depth 2
	s_clause 0x1
	global_load_b64 v[12:13], v10, s[6:7] scale_offset
	global_load_b64 v[14:15], v10, s[4:5] scale_offset
	s_mov_b32 s22, exec_lo
	s_wait_loadcnt 0x1
	v_sub_nc_u64_e64 v[12:13], v[12:13], s[16:17]
	s_wait_loadcnt 0x0
	v_add_nc_u64_e32 v[14:15], v[14:15], v[8:9]
	s_wait_xcnt 0x0
	s_delay_alu instid0(VALU_DEP_1)
	v_cmpx_lt_i64_e64 v[14:15], v[12:13]
	s_cbranch_execz .LBB381_4
; %bb.6:                                ;   in Loop: Header=BB381_5 Depth=1
	v_ashrrev_i32_e32 v11, 31, v10
	s_mov_b32 s23, 0
	s_delay_alu instid0(VALU_DEP_1)
	v_lshl_add_u64 v[16:17], v[10:11], 4, s[12:13]
	global_load_b128 v[20:23], v[16:17], off
	s_wait_loadcnt 0x0
	s_wait_xcnt 0x0
	v_mul_f64_e64 v[16:17], v[22:23], -v[4:5]
	v_mul_f64_e32 v[18:19], v[2:3], v[22:23]
	v_lshl_add_u64 v[22:23], v[14:15], 3, s[18:19]
	s_delay_alu instid0(VALU_DEP_3) | instskip(NEXT) | instid1(VALU_DEP_3)
	v_fmac_f64_e32 v[16:17], v[2:3], v[20:21]
	v_fmac_f64_e32 v[18:19], v[4:5], v[20:21]
	v_lshl_add_u64 v[20:21], v[14:15], 2, s[8:9]
.LBB381_7:                              ;   Parent Loop BB381_5 Depth=1
                                        ; =>  This Inner Loop Header: Depth=2
	global_load_b64 v[24:25], v[22:23], off offset:-4
	global_load_b32 v1, v[20:21], off
	v_add_nc_u64_e32 v[14:15], 8, v[14:15]
	s_wait_xcnt 0x0
	v_add_nc_u64_e32 v[20:21], 32, v[20:21]
	v_add_nc_u64_e32 v[22:23], 64, v[22:23]
	s_delay_alu instid0(VALU_DEP_3) | instskip(SKIP_4) | instid1(VALU_DEP_2)
	v_cmp_ge_i64_e32 vcc_lo, v[14:15], v[12:13]
	s_or_b32 s23, vcc_lo, s23
	s_wait_loadcnt 0x1
	v_cndmask_b32_e64 v7, v25, -v25, s2
	v_cvt_f64_f32_e32 v[24:25], v24
	v_cvt_f64_f32_e32 v[26:27], v7
	s_delay_alu instid0(VALU_DEP_1) | instskip(SKIP_1) | instid1(VALU_DEP_2)
	v_mul_f64_e64 v[28:29], -v[18:19], v[26:27]
	v_mul_f64_e32 v[26:27], v[16:17], v[26:27]
	v_fmac_f64_e32 v[28:29], v[16:17], v[24:25]
	s_delay_alu instid0(VALU_DEP_2) | instskip(SKIP_2) | instid1(VALU_DEP_1)
	v_fmac_f64_e32 v[26:27], v[18:19], v[24:25]
	s_wait_loadcnt 0x0
	v_subrev_nc_u32_e32 v24, s16, v1
	v_ashrrev_i32_e32 v25, 31, v24
	s_delay_alu instid0(VALU_DEP_1)
	v_lshl_add_u64 v[24:25], v[24:25], 4, s[14:15]
	global_atomic_add_f64 v[24:25], v[28:29], off scope:SCOPE_DEV
	s_wait_xcnt 0x0
	global_atomic_add_f64 v[24:25], v[26:27], off offset:8 scope:SCOPE_DEV
	s_wait_xcnt 0x0
	s_and_not1_b32 exec_lo, exec_lo, s23
	s_cbranch_execnz .LBB381_7
	s_branch .LBB381_4
.LBB381_8:
	s_or_b32 exec_lo, exec_lo, s1
	s_mov_b32 s1, 0
.LBB381_9:
	s_delay_alu instid0(SALU_CYCLE_1)
	s_and_not1_b32 vcc_lo, exec_lo, s1
	s_cbranch_vccnz .LBB381_18
; %bb.10:
	s_and_b32 exec_lo, exec_lo, s0
	s_cbranch_execz .LBB381_18
; %bb.11:
	v_mov_b32_e32 v1, 0
	s_mov_b32 s17, 0
	s_wait_kmcnt 0x0
	s_add_nc_u64 s[0:1], s[10:11], 4
	s_mov_b32 s10, s17
	v_sub_nc_u64_e64 v[0:1], v[0:1], s[16:17]
	s_branch .LBB381_13
.LBB381_12:                             ;   in Loop: Header=BB381_13 Depth=1
	s_or_b32 exec_lo, exec_lo, s11
	v_add_nc_u32_e32 v6, s20, v6
	s_delay_alu instid0(VALU_DEP_1) | instskip(SKIP_1) | instid1(SALU_CYCLE_1)
	v_cmp_le_i32_e32 vcc_lo, s3, v6
	s_or_b32 s10, vcc_lo, s10
	s_and_not1_b32 exec_lo, exec_lo, s10
	s_cbranch_execz .LBB381_18
.LBB381_13:                             ; =>This Loop Header: Depth=1
                                        ;     Child Loop BB381_16 Depth 2
	s_clause 0x1
	global_load_b64 v[8:9], v6, s[6:7] scale_offset
	global_load_b64 v[10:11], v6, s[4:5] scale_offset
	s_mov_b32 s11, exec_lo
	s_wait_loadcnt 0x1
	v_sub_nc_u64_e64 v[8:9], v[8:9], s[16:17]
	s_wait_loadcnt 0x0
	v_add_nc_u64_e32 v[10:11], v[10:11], v[0:1]
	s_wait_xcnt 0x0
	s_delay_alu instid0(VALU_DEP_1)
	v_cmpx_lt_i64_e64 v[10:11], v[8:9]
	s_cbranch_execz .LBB381_12
; %bb.14:                               ;   in Loop: Header=BB381_13 Depth=1
	v_ashrrev_i32_e32 v7, 31, v6
	s_mov_b32 s18, 0
	s_delay_alu instid0(VALU_DEP_1)
	v_lshl_add_u64 v[12:13], v[6:7], 4, s[12:13]
	global_load_b128 v[16:19], v[12:13], off
	s_wait_loadcnt 0x0
	v_mul_f64_e64 v[12:13], v[18:19], -v[4:5]
	v_mul_f64_e32 v[14:15], v[2:3], v[18:19]
	v_lshl_add_u64 v[18:19], v[10:11], 3, s[0:1]
	s_delay_alu instid0(VALU_DEP_3) | instskip(NEXT) | instid1(VALU_DEP_3)
	v_fmac_f64_e32 v[12:13], v[2:3], v[16:17]
	v_fmac_f64_e32 v[14:15], v[4:5], v[16:17]
	v_lshl_add_u64 v[16:17], v[10:11], 2, s[8:9]
	s_branch .LBB381_16
.LBB381_15:                             ;   in Loop: Header=BB381_16 Depth=2
	s_wait_xcnt 0x0
	s_or_b32 exec_lo, exec_lo, s19
	v_add_nc_u64_e32 v[10:11], 8, v[10:11]
	v_add_nc_u64_e32 v[16:17], 32, v[16:17]
	;; [unrolled: 1-line block ×3, first 2 shown]
	s_delay_alu instid0(VALU_DEP_3) | instskip(SKIP_1) | instid1(SALU_CYCLE_1)
	v_cmp_ge_i64_e32 vcc_lo, v[10:11], v[8:9]
	s_or_b32 s18, vcc_lo, s18
	s_and_not1_b32 exec_lo, exec_lo, s18
	s_cbranch_execz .LBB381_12
.LBB381_16:                             ;   Parent Loop BB381_13 Depth=1
                                        ; =>  This Inner Loop Header: Depth=2
	global_load_b32 v7, v[16:17], off
	s_mov_b32 s19, exec_lo
	s_wait_loadcnt 0x0
	v_subrev_nc_u32_e32 v20, s16, v7
	s_wait_xcnt 0x0
	s_delay_alu instid0(VALU_DEP_1)
	v_cmpx_ne_u32_e64 v20, v6
	s_cbranch_execz .LBB381_15
; %bb.17:                               ;   in Loop: Header=BB381_16 Depth=2
	global_load_b64 v[22:23], v[18:19], off offset:-4
	v_ashrrev_i32_e32 v21, 31, v20
	s_delay_alu instid0(VALU_DEP_1) | instskip(SKIP_3) | instid1(VALU_DEP_2)
	v_lshl_add_u64 v[20:21], v[20:21], 4, s[14:15]
	s_wait_loadcnt 0x0
	v_cndmask_b32_e64 v7, v23, -v23, s2
	v_cvt_f64_f32_e32 v[22:23], v22
	v_cvt_f64_f32_e32 v[24:25], v7
	s_delay_alu instid0(VALU_DEP_1) | instskip(SKIP_1) | instid1(VALU_DEP_2)
	v_mul_f64_e64 v[26:27], -v[14:15], v[24:25]
	v_mul_f64_e32 v[24:25], v[12:13], v[24:25]
	v_fmac_f64_e32 v[26:27], v[12:13], v[22:23]
	s_delay_alu instid0(VALU_DEP_2)
	v_fmac_f64_e32 v[24:25], v[14:15], v[22:23]
	s_wait_xcnt 0x0
	global_atomic_add_f64 v[20:21], v[26:27], off scope:SCOPE_DEV
	s_wait_xcnt 0x0
	global_atomic_add_f64 v[20:21], v[24:25], off offset:8 scope:SCOPE_DEV
	s_branch .LBB381_15
.LBB381_18:
	s_endpgm
	.section	.rodata,"a",@progbits
	.p2align	6, 0x0
	.amdhsa_kernel _ZN9rocsparseL21csrmvt_general_kernelILj256ELj8Eli21rocsparse_complex_numIfES1_IdES3_S3_EEvbbT2_NS_24const_host_device_scalarIT6_EEPKT1_SA_PKS4_PKT3_PKT4_PT5_21rocsparse_index_base_b
		.amdhsa_group_segment_fixed_size 0
		.amdhsa_private_segment_fixed_size 0
		.amdhsa_kernarg_size 336
		.amdhsa_user_sgpr_count 2
		.amdhsa_user_sgpr_dispatch_ptr 0
		.amdhsa_user_sgpr_queue_ptr 0
		.amdhsa_user_sgpr_kernarg_segment_ptr 1
		.amdhsa_user_sgpr_dispatch_id 0
		.amdhsa_user_sgpr_kernarg_preload_length 0
		.amdhsa_user_sgpr_kernarg_preload_offset 0
		.amdhsa_user_sgpr_private_segment_size 0
		.amdhsa_wavefront_size32 1
		.amdhsa_uses_dynamic_stack 0
		.amdhsa_enable_private_segment 0
		.amdhsa_system_sgpr_workgroup_id_x 1
		.amdhsa_system_sgpr_workgroup_id_y 0
		.amdhsa_system_sgpr_workgroup_id_z 0
		.amdhsa_system_sgpr_workgroup_info 0
		.amdhsa_system_vgpr_workitem_id 0
		.amdhsa_next_free_vgpr 30
		.amdhsa_next_free_sgpr 24
		.amdhsa_named_barrier_count 0
		.amdhsa_reserve_vcc 1
		.amdhsa_float_round_mode_32 0
		.amdhsa_float_round_mode_16_64 0
		.amdhsa_float_denorm_mode_32 3
		.amdhsa_float_denorm_mode_16_64 3
		.amdhsa_fp16_overflow 0
		.amdhsa_memory_ordered 1
		.amdhsa_forward_progress 1
		.amdhsa_inst_pref_size 9
		.amdhsa_round_robin_scheduling 0
		.amdhsa_exception_fp_ieee_invalid_op 0
		.amdhsa_exception_fp_denorm_src 0
		.amdhsa_exception_fp_ieee_div_zero 0
		.amdhsa_exception_fp_ieee_overflow 0
		.amdhsa_exception_fp_ieee_underflow 0
		.amdhsa_exception_fp_ieee_inexact 0
		.amdhsa_exception_int_div_zero 0
	.end_amdhsa_kernel
	.section	.text._ZN9rocsparseL21csrmvt_general_kernelILj256ELj8Eli21rocsparse_complex_numIfES1_IdES3_S3_EEvbbT2_NS_24const_host_device_scalarIT6_EEPKT1_SA_PKS4_PKT3_PKT4_PT5_21rocsparse_index_base_b,"axG",@progbits,_ZN9rocsparseL21csrmvt_general_kernelILj256ELj8Eli21rocsparse_complex_numIfES1_IdES3_S3_EEvbbT2_NS_24const_host_device_scalarIT6_EEPKT1_SA_PKS4_PKT3_PKT4_PT5_21rocsparse_index_base_b,comdat
.Lfunc_end381:
	.size	_ZN9rocsparseL21csrmvt_general_kernelILj256ELj8Eli21rocsparse_complex_numIfES1_IdES3_S3_EEvbbT2_NS_24const_host_device_scalarIT6_EEPKT1_SA_PKS4_PKT3_PKT4_PT5_21rocsparse_index_base_b, .Lfunc_end381-_ZN9rocsparseL21csrmvt_general_kernelILj256ELj8Eli21rocsparse_complex_numIfES1_IdES3_S3_EEvbbT2_NS_24const_host_device_scalarIT6_EEPKT1_SA_PKS4_PKT3_PKT4_PT5_21rocsparse_index_base_b
                                        ; -- End function
	.set _ZN9rocsparseL21csrmvt_general_kernelILj256ELj8Eli21rocsparse_complex_numIfES1_IdES3_S3_EEvbbT2_NS_24const_host_device_scalarIT6_EEPKT1_SA_PKS4_PKT3_PKT4_PT5_21rocsparse_index_base_b.num_vgpr, 30
	.set _ZN9rocsparseL21csrmvt_general_kernelILj256ELj8Eli21rocsparse_complex_numIfES1_IdES3_S3_EEvbbT2_NS_24const_host_device_scalarIT6_EEPKT1_SA_PKS4_PKT3_PKT4_PT5_21rocsparse_index_base_b.num_agpr, 0
	.set _ZN9rocsparseL21csrmvt_general_kernelILj256ELj8Eli21rocsparse_complex_numIfES1_IdES3_S3_EEvbbT2_NS_24const_host_device_scalarIT6_EEPKT1_SA_PKS4_PKT3_PKT4_PT5_21rocsparse_index_base_b.numbered_sgpr, 24
	.set _ZN9rocsparseL21csrmvt_general_kernelILj256ELj8Eli21rocsparse_complex_numIfES1_IdES3_S3_EEvbbT2_NS_24const_host_device_scalarIT6_EEPKT1_SA_PKS4_PKT3_PKT4_PT5_21rocsparse_index_base_b.num_named_barrier, 0
	.set _ZN9rocsparseL21csrmvt_general_kernelILj256ELj8Eli21rocsparse_complex_numIfES1_IdES3_S3_EEvbbT2_NS_24const_host_device_scalarIT6_EEPKT1_SA_PKS4_PKT3_PKT4_PT5_21rocsparse_index_base_b.private_seg_size, 0
	.set _ZN9rocsparseL21csrmvt_general_kernelILj256ELj8Eli21rocsparse_complex_numIfES1_IdES3_S3_EEvbbT2_NS_24const_host_device_scalarIT6_EEPKT1_SA_PKS4_PKT3_PKT4_PT5_21rocsparse_index_base_b.uses_vcc, 1
	.set _ZN9rocsparseL21csrmvt_general_kernelILj256ELj8Eli21rocsparse_complex_numIfES1_IdES3_S3_EEvbbT2_NS_24const_host_device_scalarIT6_EEPKT1_SA_PKS4_PKT3_PKT4_PT5_21rocsparse_index_base_b.uses_flat_scratch, 0
	.set _ZN9rocsparseL21csrmvt_general_kernelILj256ELj8Eli21rocsparse_complex_numIfES1_IdES3_S3_EEvbbT2_NS_24const_host_device_scalarIT6_EEPKT1_SA_PKS4_PKT3_PKT4_PT5_21rocsparse_index_base_b.has_dyn_sized_stack, 0
	.set _ZN9rocsparseL21csrmvt_general_kernelILj256ELj8Eli21rocsparse_complex_numIfES1_IdES3_S3_EEvbbT2_NS_24const_host_device_scalarIT6_EEPKT1_SA_PKS4_PKT3_PKT4_PT5_21rocsparse_index_base_b.has_recursion, 0
	.set _ZN9rocsparseL21csrmvt_general_kernelILj256ELj8Eli21rocsparse_complex_numIfES1_IdES3_S3_EEvbbT2_NS_24const_host_device_scalarIT6_EEPKT1_SA_PKS4_PKT3_PKT4_PT5_21rocsparse_index_base_b.has_indirect_call, 0
	.section	.AMDGPU.csdata,"",@progbits
; Kernel info:
; codeLenInByte = 1068
; TotalNumSgprs: 26
; NumVgprs: 30
; ScratchSize: 0
; MemoryBound: 0
; FloatMode: 240
; IeeeMode: 1
; LDSByteSize: 0 bytes/workgroup (compile time only)
; SGPRBlocks: 0
; VGPRBlocks: 1
; NumSGPRsForWavesPerEU: 26
; NumVGPRsForWavesPerEU: 30
; NamedBarCnt: 0
; Occupancy: 16
; WaveLimiterHint : 1
; COMPUTE_PGM_RSRC2:SCRATCH_EN: 0
; COMPUTE_PGM_RSRC2:USER_SGPR: 2
; COMPUTE_PGM_RSRC2:TRAP_HANDLER: 0
; COMPUTE_PGM_RSRC2:TGID_X_EN: 1
; COMPUTE_PGM_RSRC2:TGID_Y_EN: 0
; COMPUTE_PGM_RSRC2:TGID_Z_EN: 0
; COMPUTE_PGM_RSRC2:TIDIG_COMP_CNT: 0
	.section	.text._ZN9rocsparseL21csrmvt_general_kernelILj256ELj16Eli21rocsparse_complex_numIfES1_IdES3_S3_EEvbbT2_NS_24const_host_device_scalarIT6_EEPKT1_SA_PKS4_PKT3_PKT4_PT5_21rocsparse_index_base_b,"axG",@progbits,_ZN9rocsparseL21csrmvt_general_kernelILj256ELj16Eli21rocsparse_complex_numIfES1_IdES3_S3_EEvbbT2_NS_24const_host_device_scalarIT6_EEPKT1_SA_PKS4_PKT3_PKT4_PT5_21rocsparse_index_base_b,comdat
	.globl	_ZN9rocsparseL21csrmvt_general_kernelILj256ELj16Eli21rocsparse_complex_numIfES1_IdES3_S3_EEvbbT2_NS_24const_host_device_scalarIT6_EEPKT1_SA_PKS4_PKT3_PKT4_PT5_21rocsparse_index_base_b ; -- Begin function _ZN9rocsparseL21csrmvt_general_kernelILj256ELj16Eli21rocsparse_complex_numIfES1_IdES3_S3_EEvbbT2_NS_24const_host_device_scalarIT6_EEPKT1_SA_PKS4_PKT3_PKT4_PT5_21rocsparse_index_base_b
	.p2align	8
	.type	_ZN9rocsparseL21csrmvt_general_kernelILj256ELj16Eli21rocsparse_complex_numIfES1_IdES3_S3_EEvbbT2_NS_24const_host_device_scalarIT6_EEPKT1_SA_PKS4_PKT3_PKT4_PT5_21rocsparse_index_base_b,@function
_ZN9rocsparseL21csrmvt_general_kernelILj256ELj16Eli21rocsparse_complex_numIfES1_IdES3_S3_EEvbbT2_NS_24const_host_device_scalarIT6_EEPKT1_SA_PKS4_PKT3_PKT4_PT5_21rocsparse_index_base_b: ; @_ZN9rocsparseL21csrmvt_general_kernelILj256ELj16Eli21rocsparse_complex_numIfES1_IdES3_S3_EEvbbT2_NS_24const_host_device_scalarIT6_EEPKT1_SA_PKS4_PKT3_PKT4_PT5_21rocsparse_index_base_b
; %bb.0:
	s_clause 0x1
	s_load_b64 s[16:17], s[0:1], 0x48
	s_load_b64 s[2:3], s[0:1], 0x8
	v_mov_b32_e32 v1, 0
	s_add_nc_u64 s[4:5], s[0:1], 8
	s_wait_kmcnt 0x0
	s_bitcmp1_b32 s17, 0
	s_cselect_b32 s3, s5, s3
	s_cselect_b32 s2, s4, s2
	flat_load_b128 v[2:5], v1, s[2:3]
	s_wait_loadcnt_dscnt 0x0
	v_cmp_neq_f64_e32 vcc_lo, 0, v[2:3]
	v_cmp_neq_f64_e64 s2, 0, v[4:5]
	s_or_b32 s2, vcc_lo, s2
	s_delay_alu instid0(SALU_CYCLE_1)
	s_and_saveexec_b32 s3, s2
	s_cbranch_execz .LBB382_18
; %bb.1:
	s_clause 0x3
	s_load_b32 s4, s[0:1], 0x0
	s_load_b64 s[2:3], s[0:1], 0x0
	s_load_b32 s17, s[0:1], 0x50
	s_load_b128 s[12:15], s[0:1], 0x38
	s_wait_kmcnt 0x0
	s_and_b32 s18, s4, 1
	s_bitcmp1_b32 s2, 8
	s_load_b256 s[4:11], s[0:1], 0x18
	s_cselect_b32 s2, -1, 0
	s_wait_xcnt 0x0
	s_bfe_u32 s0, ttmp6, 0x4000c
	s_and_b32 s1, ttmp6, 15
	s_add_co_i32 s0, s0, 1
	s_lshl_b32 s20, s17, 4
	s_mul_i32 s0, ttmp9, s0
	s_getreg_b32 s17, hwreg(HW_REG_IB_STS2, 6, 4)
	s_add_co_i32 s1, s1, s0
	s_cmp_eq_u32 s17, 0
	s_cselect_b32 s0, ttmp9, s1
	s_cmp_eq_u32 s18, 0
	v_lshl_or_b32 v1, s0, 8, v0
	s_mov_b32 s1, -1
	s_delay_alu instid0(VALU_DEP_1) | instskip(NEXT) | instid1(VALU_DEP_1)
	v_dual_lshrrev_b32 v6, 4, v1 :: v_dual_bitop2_b32 v0, 15, v0 bitop3:0x40
	v_cmp_gt_i32_e64 s0, s3, v6
	s_cbranch_scc0 .LBB382_9
; %bb.2:
	s_and_saveexec_b32 s1, s0
	s_cbranch_execz .LBB382_8
; %bb.3:
	v_dual_mov_b32 v1, 0 :: v_dual_mov_b32 v10, v6
	s_mov_b32 s17, 0
	s_wait_kmcnt 0x0
	s_add_nc_u64 s[18:19], s[10:11], 4
	s_mov_b32 s21, s17
	v_sub_nc_u64_e64 v[8:9], v[0:1], s[16:17]
	s_branch .LBB382_5
.LBB382_4:                              ;   in Loop: Header=BB382_5 Depth=1
	s_or_b32 exec_lo, exec_lo, s22
	v_add_nc_u32_e32 v10, s20, v10
	s_delay_alu instid0(VALU_DEP_1) | instskip(SKIP_1) | instid1(SALU_CYCLE_1)
	v_cmp_le_i32_e32 vcc_lo, s3, v10
	s_or_b32 s21, vcc_lo, s21
	s_and_not1_b32 exec_lo, exec_lo, s21
	s_cbranch_execz .LBB382_8
.LBB382_5:                              ; =>This Loop Header: Depth=1
                                        ;     Child Loop BB382_7 Depth 2
	s_clause 0x1
	global_load_b64 v[12:13], v10, s[6:7] scale_offset
	global_load_b64 v[14:15], v10, s[4:5] scale_offset
	s_mov_b32 s22, exec_lo
	s_wait_loadcnt 0x1
	v_sub_nc_u64_e64 v[12:13], v[12:13], s[16:17]
	s_wait_loadcnt 0x0
	v_add_nc_u64_e32 v[14:15], v[14:15], v[8:9]
	s_wait_xcnt 0x0
	s_delay_alu instid0(VALU_DEP_1)
	v_cmpx_lt_i64_e64 v[14:15], v[12:13]
	s_cbranch_execz .LBB382_4
; %bb.6:                                ;   in Loop: Header=BB382_5 Depth=1
	v_ashrrev_i32_e32 v11, 31, v10
	s_mov_b32 s23, 0
	s_delay_alu instid0(VALU_DEP_1)
	v_lshl_add_u64 v[16:17], v[10:11], 4, s[12:13]
	global_load_b128 v[20:23], v[16:17], off
	s_wait_loadcnt 0x0
	s_wait_xcnt 0x0
	v_mul_f64_e64 v[16:17], v[22:23], -v[4:5]
	v_mul_f64_e32 v[18:19], v[2:3], v[22:23]
	v_lshl_add_u64 v[22:23], v[14:15], 3, s[18:19]
	s_delay_alu instid0(VALU_DEP_3) | instskip(NEXT) | instid1(VALU_DEP_3)
	v_fmac_f64_e32 v[16:17], v[2:3], v[20:21]
	v_fmac_f64_e32 v[18:19], v[4:5], v[20:21]
	v_lshl_add_u64 v[20:21], v[14:15], 2, s[8:9]
.LBB382_7:                              ;   Parent Loop BB382_5 Depth=1
                                        ; =>  This Inner Loop Header: Depth=2
	global_load_b64 v[24:25], v[22:23], off offset:-4
	global_load_b32 v1, v[20:21], off
	v_add_nc_u64_e32 v[14:15], 16, v[14:15]
	s_wait_xcnt 0x0
	v_add_nc_u64_e32 v[20:21], 64, v[20:21]
	v_add_nc_u64_e32 v[22:23], 0x80, v[22:23]
	s_delay_alu instid0(VALU_DEP_3) | instskip(SKIP_4) | instid1(VALU_DEP_2)
	v_cmp_ge_i64_e32 vcc_lo, v[14:15], v[12:13]
	s_or_b32 s23, vcc_lo, s23
	s_wait_loadcnt 0x1
	v_cndmask_b32_e64 v7, v25, -v25, s2
	v_cvt_f64_f32_e32 v[24:25], v24
	v_cvt_f64_f32_e32 v[26:27], v7
	s_delay_alu instid0(VALU_DEP_1) | instskip(SKIP_1) | instid1(VALU_DEP_2)
	v_mul_f64_e64 v[28:29], -v[18:19], v[26:27]
	v_mul_f64_e32 v[26:27], v[16:17], v[26:27]
	v_fmac_f64_e32 v[28:29], v[16:17], v[24:25]
	s_delay_alu instid0(VALU_DEP_2) | instskip(SKIP_2) | instid1(VALU_DEP_1)
	v_fmac_f64_e32 v[26:27], v[18:19], v[24:25]
	s_wait_loadcnt 0x0
	v_subrev_nc_u32_e32 v24, s16, v1
	v_ashrrev_i32_e32 v25, 31, v24
	s_delay_alu instid0(VALU_DEP_1)
	v_lshl_add_u64 v[24:25], v[24:25], 4, s[14:15]
	global_atomic_add_f64 v[24:25], v[28:29], off scope:SCOPE_DEV
	s_wait_xcnt 0x0
	global_atomic_add_f64 v[24:25], v[26:27], off offset:8 scope:SCOPE_DEV
	s_wait_xcnt 0x0
	s_and_not1_b32 exec_lo, exec_lo, s23
	s_cbranch_execnz .LBB382_7
	s_branch .LBB382_4
.LBB382_8:
	s_or_b32 exec_lo, exec_lo, s1
	s_mov_b32 s1, 0
.LBB382_9:
	s_delay_alu instid0(SALU_CYCLE_1)
	s_and_not1_b32 vcc_lo, exec_lo, s1
	s_cbranch_vccnz .LBB382_18
; %bb.10:
	s_and_b32 exec_lo, exec_lo, s0
	s_cbranch_execz .LBB382_18
; %bb.11:
	v_mov_b32_e32 v1, 0
	s_mov_b32 s17, 0
	s_wait_kmcnt 0x0
	s_add_nc_u64 s[0:1], s[10:11], 4
	s_mov_b32 s10, s17
	v_sub_nc_u64_e64 v[0:1], v[0:1], s[16:17]
	s_branch .LBB382_13
.LBB382_12:                             ;   in Loop: Header=BB382_13 Depth=1
	s_or_b32 exec_lo, exec_lo, s11
	v_add_nc_u32_e32 v6, s20, v6
	s_delay_alu instid0(VALU_DEP_1) | instskip(SKIP_1) | instid1(SALU_CYCLE_1)
	v_cmp_le_i32_e32 vcc_lo, s3, v6
	s_or_b32 s10, vcc_lo, s10
	s_and_not1_b32 exec_lo, exec_lo, s10
	s_cbranch_execz .LBB382_18
.LBB382_13:                             ; =>This Loop Header: Depth=1
                                        ;     Child Loop BB382_16 Depth 2
	s_clause 0x1
	global_load_b64 v[8:9], v6, s[6:7] scale_offset
	global_load_b64 v[10:11], v6, s[4:5] scale_offset
	s_mov_b32 s11, exec_lo
	s_wait_loadcnt 0x1
	v_sub_nc_u64_e64 v[8:9], v[8:9], s[16:17]
	s_wait_loadcnt 0x0
	v_add_nc_u64_e32 v[10:11], v[10:11], v[0:1]
	s_wait_xcnt 0x0
	s_delay_alu instid0(VALU_DEP_1)
	v_cmpx_lt_i64_e64 v[10:11], v[8:9]
	s_cbranch_execz .LBB382_12
; %bb.14:                               ;   in Loop: Header=BB382_13 Depth=1
	v_ashrrev_i32_e32 v7, 31, v6
	s_mov_b32 s18, 0
	s_delay_alu instid0(VALU_DEP_1)
	v_lshl_add_u64 v[12:13], v[6:7], 4, s[12:13]
	global_load_b128 v[16:19], v[12:13], off
	s_wait_loadcnt 0x0
	v_mul_f64_e64 v[12:13], v[18:19], -v[4:5]
	v_mul_f64_e32 v[14:15], v[2:3], v[18:19]
	v_lshl_add_u64 v[18:19], v[10:11], 3, s[0:1]
	s_delay_alu instid0(VALU_DEP_3) | instskip(NEXT) | instid1(VALU_DEP_3)
	v_fmac_f64_e32 v[12:13], v[2:3], v[16:17]
	v_fmac_f64_e32 v[14:15], v[4:5], v[16:17]
	v_lshl_add_u64 v[16:17], v[10:11], 2, s[8:9]
	s_branch .LBB382_16
.LBB382_15:                             ;   in Loop: Header=BB382_16 Depth=2
	s_wait_xcnt 0x0
	s_or_b32 exec_lo, exec_lo, s19
	v_add_nc_u64_e32 v[10:11], 16, v[10:11]
	v_add_nc_u64_e32 v[16:17], 64, v[16:17]
	;; [unrolled: 1-line block ×3, first 2 shown]
	s_delay_alu instid0(VALU_DEP_3) | instskip(SKIP_1) | instid1(SALU_CYCLE_1)
	v_cmp_ge_i64_e32 vcc_lo, v[10:11], v[8:9]
	s_or_b32 s18, vcc_lo, s18
	s_and_not1_b32 exec_lo, exec_lo, s18
	s_cbranch_execz .LBB382_12
.LBB382_16:                             ;   Parent Loop BB382_13 Depth=1
                                        ; =>  This Inner Loop Header: Depth=2
	global_load_b32 v7, v[16:17], off
	s_mov_b32 s19, exec_lo
	s_wait_loadcnt 0x0
	v_subrev_nc_u32_e32 v20, s16, v7
	s_wait_xcnt 0x0
	s_delay_alu instid0(VALU_DEP_1)
	v_cmpx_ne_u32_e64 v20, v6
	s_cbranch_execz .LBB382_15
; %bb.17:                               ;   in Loop: Header=BB382_16 Depth=2
	global_load_b64 v[22:23], v[18:19], off offset:-4
	v_ashrrev_i32_e32 v21, 31, v20
	s_delay_alu instid0(VALU_DEP_1) | instskip(SKIP_3) | instid1(VALU_DEP_2)
	v_lshl_add_u64 v[20:21], v[20:21], 4, s[14:15]
	s_wait_loadcnt 0x0
	v_cndmask_b32_e64 v7, v23, -v23, s2
	v_cvt_f64_f32_e32 v[22:23], v22
	v_cvt_f64_f32_e32 v[24:25], v7
	s_delay_alu instid0(VALU_DEP_1) | instskip(SKIP_1) | instid1(VALU_DEP_2)
	v_mul_f64_e64 v[26:27], -v[14:15], v[24:25]
	v_mul_f64_e32 v[24:25], v[12:13], v[24:25]
	v_fmac_f64_e32 v[26:27], v[12:13], v[22:23]
	s_delay_alu instid0(VALU_DEP_2)
	v_fmac_f64_e32 v[24:25], v[14:15], v[22:23]
	s_wait_xcnt 0x0
	global_atomic_add_f64 v[20:21], v[26:27], off scope:SCOPE_DEV
	s_wait_xcnt 0x0
	global_atomic_add_f64 v[20:21], v[24:25], off offset:8 scope:SCOPE_DEV
	s_branch .LBB382_15
.LBB382_18:
	s_endpgm
	.section	.rodata,"a",@progbits
	.p2align	6, 0x0
	.amdhsa_kernel _ZN9rocsparseL21csrmvt_general_kernelILj256ELj16Eli21rocsparse_complex_numIfES1_IdES3_S3_EEvbbT2_NS_24const_host_device_scalarIT6_EEPKT1_SA_PKS4_PKT3_PKT4_PT5_21rocsparse_index_base_b
		.amdhsa_group_segment_fixed_size 0
		.amdhsa_private_segment_fixed_size 0
		.amdhsa_kernarg_size 336
		.amdhsa_user_sgpr_count 2
		.amdhsa_user_sgpr_dispatch_ptr 0
		.amdhsa_user_sgpr_queue_ptr 0
		.amdhsa_user_sgpr_kernarg_segment_ptr 1
		.amdhsa_user_sgpr_dispatch_id 0
		.amdhsa_user_sgpr_kernarg_preload_length 0
		.amdhsa_user_sgpr_kernarg_preload_offset 0
		.amdhsa_user_sgpr_private_segment_size 0
		.amdhsa_wavefront_size32 1
		.amdhsa_uses_dynamic_stack 0
		.amdhsa_enable_private_segment 0
		.amdhsa_system_sgpr_workgroup_id_x 1
		.amdhsa_system_sgpr_workgroup_id_y 0
		.amdhsa_system_sgpr_workgroup_id_z 0
		.amdhsa_system_sgpr_workgroup_info 0
		.amdhsa_system_vgpr_workitem_id 0
		.amdhsa_next_free_vgpr 30
		.amdhsa_next_free_sgpr 24
		.amdhsa_named_barrier_count 0
		.amdhsa_reserve_vcc 1
		.amdhsa_float_round_mode_32 0
		.amdhsa_float_round_mode_16_64 0
		.amdhsa_float_denorm_mode_32 3
		.amdhsa_float_denorm_mode_16_64 3
		.amdhsa_fp16_overflow 0
		.amdhsa_memory_ordered 1
		.amdhsa_forward_progress 1
		.amdhsa_inst_pref_size 9
		.amdhsa_round_robin_scheduling 0
		.amdhsa_exception_fp_ieee_invalid_op 0
		.amdhsa_exception_fp_denorm_src 0
		.amdhsa_exception_fp_ieee_div_zero 0
		.amdhsa_exception_fp_ieee_overflow 0
		.amdhsa_exception_fp_ieee_underflow 0
		.amdhsa_exception_fp_ieee_inexact 0
		.amdhsa_exception_int_div_zero 0
	.end_amdhsa_kernel
	.section	.text._ZN9rocsparseL21csrmvt_general_kernelILj256ELj16Eli21rocsparse_complex_numIfES1_IdES3_S3_EEvbbT2_NS_24const_host_device_scalarIT6_EEPKT1_SA_PKS4_PKT3_PKT4_PT5_21rocsparse_index_base_b,"axG",@progbits,_ZN9rocsparseL21csrmvt_general_kernelILj256ELj16Eli21rocsparse_complex_numIfES1_IdES3_S3_EEvbbT2_NS_24const_host_device_scalarIT6_EEPKT1_SA_PKS4_PKT3_PKT4_PT5_21rocsparse_index_base_b,comdat
.Lfunc_end382:
	.size	_ZN9rocsparseL21csrmvt_general_kernelILj256ELj16Eli21rocsparse_complex_numIfES1_IdES3_S3_EEvbbT2_NS_24const_host_device_scalarIT6_EEPKT1_SA_PKS4_PKT3_PKT4_PT5_21rocsparse_index_base_b, .Lfunc_end382-_ZN9rocsparseL21csrmvt_general_kernelILj256ELj16Eli21rocsparse_complex_numIfES1_IdES3_S3_EEvbbT2_NS_24const_host_device_scalarIT6_EEPKT1_SA_PKS4_PKT3_PKT4_PT5_21rocsparse_index_base_b
                                        ; -- End function
	.set _ZN9rocsparseL21csrmvt_general_kernelILj256ELj16Eli21rocsparse_complex_numIfES1_IdES3_S3_EEvbbT2_NS_24const_host_device_scalarIT6_EEPKT1_SA_PKS4_PKT3_PKT4_PT5_21rocsparse_index_base_b.num_vgpr, 30
	.set _ZN9rocsparseL21csrmvt_general_kernelILj256ELj16Eli21rocsparse_complex_numIfES1_IdES3_S3_EEvbbT2_NS_24const_host_device_scalarIT6_EEPKT1_SA_PKS4_PKT3_PKT4_PT5_21rocsparse_index_base_b.num_agpr, 0
	.set _ZN9rocsparseL21csrmvt_general_kernelILj256ELj16Eli21rocsparse_complex_numIfES1_IdES3_S3_EEvbbT2_NS_24const_host_device_scalarIT6_EEPKT1_SA_PKS4_PKT3_PKT4_PT5_21rocsparse_index_base_b.numbered_sgpr, 24
	.set _ZN9rocsparseL21csrmvt_general_kernelILj256ELj16Eli21rocsparse_complex_numIfES1_IdES3_S3_EEvbbT2_NS_24const_host_device_scalarIT6_EEPKT1_SA_PKS4_PKT3_PKT4_PT5_21rocsparse_index_base_b.num_named_barrier, 0
	.set _ZN9rocsparseL21csrmvt_general_kernelILj256ELj16Eli21rocsparse_complex_numIfES1_IdES3_S3_EEvbbT2_NS_24const_host_device_scalarIT6_EEPKT1_SA_PKS4_PKT3_PKT4_PT5_21rocsparse_index_base_b.private_seg_size, 0
	.set _ZN9rocsparseL21csrmvt_general_kernelILj256ELj16Eli21rocsparse_complex_numIfES1_IdES3_S3_EEvbbT2_NS_24const_host_device_scalarIT6_EEPKT1_SA_PKS4_PKT3_PKT4_PT5_21rocsparse_index_base_b.uses_vcc, 1
	.set _ZN9rocsparseL21csrmvt_general_kernelILj256ELj16Eli21rocsparse_complex_numIfES1_IdES3_S3_EEvbbT2_NS_24const_host_device_scalarIT6_EEPKT1_SA_PKS4_PKT3_PKT4_PT5_21rocsparse_index_base_b.uses_flat_scratch, 0
	.set _ZN9rocsparseL21csrmvt_general_kernelILj256ELj16Eli21rocsparse_complex_numIfES1_IdES3_S3_EEvbbT2_NS_24const_host_device_scalarIT6_EEPKT1_SA_PKS4_PKT3_PKT4_PT5_21rocsparse_index_base_b.has_dyn_sized_stack, 0
	.set _ZN9rocsparseL21csrmvt_general_kernelILj256ELj16Eli21rocsparse_complex_numIfES1_IdES3_S3_EEvbbT2_NS_24const_host_device_scalarIT6_EEPKT1_SA_PKS4_PKT3_PKT4_PT5_21rocsparse_index_base_b.has_recursion, 0
	.set _ZN9rocsparseL21csrmvt_general_kernelILj256ELj16Eli21rocsparse_complex_numIfES1_IdES3_S3_EEvbbT2_NS_24const_host_device_scalarIT6_EEPKT1_SA_PKS4_PKT3_PKT4_PT5_21rocsparse_index_base_b.has_indirect_call, 0
	.section	.AMDGPU.csdata,"",@progbits
; Kernel info:
; codeLenInByte = 1076
; TotalNumSgprs: 26
; NumVgprs: 30
; ScratchSize: 0
; MemoryBound: 0
; FloatMode: 240
; IeeeMode: 1
; LDSByteSize: 0 bytes/workgroup (compile time only)
; SGPRBlocks: 0
; VGPRBlocks: 1
; NumSGPRsForWavesPerEU: 26
; NumVGPRsForWavesPerEU: 30
; NamedBarCnt: 0
; Occupancy: 16
; WaveLimiterHint : 1
; COMPUTE_PGM_RSRC2:SCRATCH_EN: 0
; COMPUTE_PGM_RSRC2:USER_SGPR: 2
; COMPUTE_PGM_RSRC2:TRAP_HANDLER: 0
; COMPUTE_PGM_RSRC2:TGID_X_EN: 1
; COMPUTE_PGM_RSRC2:TGID_Y_EN: 0
; COMPUTE_PGM_RSRC2:TGID_Z_EN: 0
; COMPUTE_PGM_RSRC2:TIDIG_COMP_CNT: 0
	.section	.text._ZN9rocsparseL21csrmvt_general_kernelILj256ELj32Eli21rocsparse_complex_numIfES1_IdES3_S3_EEvbbT2_NS_24const_host_device_scalarIT6_EEPKT1_SA_PKS4_PKT3_PKT4_PT5_21rocsparse_index_base_b,"axG",@progbits,_ZN9rocsparseL21csrmvt_general_kernelILj256ELj32Eli21rocsparse_complex_numIfES1_IdES3_S3_EEvbbT2_NS_24const_host_device_scalarIT6_EEPKT1_SA_PKS4_PKT3_PKT4_PT5_21rocsparse_index_base_b,comdat
	.globl	_ZN9rocsparseL21csrmvt_general_kernelILj256ELj32Eli21rocsparse_complex_numIfES1_IdES3_S3_EEvbbT2_NS_24const_host_device_scalarIT6_EEPKT1_SA_PKS4_PKT3_PKT4_PT5_21rocsparse_index_base_b ; -- Begin function _ZN9rocsparseL21csrmvt_general_kernelILj256ELj32Eli21rocsparse_complex_numIfES1_IdES3_S3_EEvbbT2_NS_24const_host_device_scalarIT6_EEPKT1_SA_PKS4_PKT3_PKT4_PT5_21rocsparse_index_base_b
	.p2align	8
	.type	_ZN9rocsparseL21csrmvt_general_kernelILj256ELj32Eli21rocsparse_complex_numIfES1_IdES3_S3_EEvbbT2_NS_24const_host_device_scalarIT6_EEPKT1_SA_PKS4_PKT3_PKT4_PT5_21rocsparse_index_base_b,@function
_ZN9rocsparseL21csrmvt_general_kernelILj256ELj32Eli21rocsparse_complex_numIfES1_IdES3_S3_EEvbbT2_NS_24const_host_device_scalarIT6_EEPKT1_SA_PKS4_PKT3_PKT4_PT5_21rocsparse_index_base_b: ; @_ZN9rocsparseL21csrmvt_general_kernelILj256ELj32Eli21rocsparse_complex_numIfES1_IdES3_S3_EEvbbT2_NS_24const_host_device_scalarIT6_EEPKT1_SA_PKS4_PKT3_PKT4_PT5_21rocsparse_index_base_b
; %bb.0:
	s_clause 0x1
	s_load_b64 s[16:17], s[0:1], 0x48
	s_load_b64 s[2:3], s[0:1], 0x8
	v_mov_b32_e32 v1, 0
	s_add_nc_u64 s[4:5], s[0:1], 8
	s_wait_kmcnt 0x0
	s_bitcmp1_b32 s17, 0
	s_cselect_b32 s3, s5, s3
	s_cselect_b32 s2, s4, s2
	flat_load_b128 v[2:5], v1, s[2:3]
	s_wait_loadcnt_dscnt 0x0
	v_cmp_neq_f64_e32 vcc_lo, 0, v[2:3]
	v_cmp_neq_f64_e64 s2, 0, v[4:5]
	s_or_b32 s2, vcc_lo, s2
	s_delay_alu instid0(SALU_CYCLE_1)
	s_and_saveexec_b32 s3, s2
	s_cbranch_execz .LBB383_18
; %bb.1:
	s_clause 0x3
	s_load_b32 s4, s[0:1], 0x0
	s_load_b64 s[2:3], s[0:1], 0x0
	s_load_b32 s17, s[0:1], 0x50
	s_load_b128 s[12:15], s[0:1], 0x38
	s_wait_kmcnt 0x0
	s_and_b32 s18, s4, 1
	s_bitcmp1_b32 s2, 8
	s_load_b256 s[4:11], s[0:1], 0x18
	s_cselect_b32 s2, -1, 0
	s_wait_xcnt 0x0
	s_bfe_u32 s0, ttmp6, 0x4000c
	s_and_b32 s1, ttmp6, 15
	s_add_co_i32 s0, s0, 1
	s_lshl_b32 s20, s17, 3
	s_mul_i32 s0, ttmp9, s0
	s_getreg_b32 s17, hwreg(HW_REG_IB_STS2, 6, 4)
	s_add_co_i32 s1, s1, s0
	s_cmp_eq_u32 s17, 0
	s_cselect_b32 s0, ttmp9, s1
	s_cmp_eq_u32 s18, 0
	v_lshl_or_b32 v1, s0, 8, v0
	s_mov_b32 s1, -1
	s_delay_alu instid0(VALU_DEP_1) | instskip(NEXT) | instid1(VALU_DEP_1)
	v_dual_lshrrev_b32 v6, 5, v1 :: v_dual_bitop2_b32 v0, 31, v0 bitop3:0x40
	v_cmp_gt_i32_e64 s0, s3, v6
	s_cbranch_scc0 .LBB383_9
; %bb.2:
	s_and_saveexec_b32 s1, s0
	s_cbranch_execz .LBB383_8
; %bb.3:
	v_dual_mov_b32 v1, 0 :: v_dual_mov_b32 v10, v6
	s_mov_b32 s17, 0
	s_wait_kmcnt 0x0
	s_add_nc_u64 s[18:19], s[10:11], 4
	s_mov_b32 s21, s17
	v_sub_nc_u64_e64 v[8:9], v[0:1], s[16:17]
	s_branch .LBB383_5
.LBB383_4:                              ;   in Loop: Header=BB383_5 Depth=1
	s_or_b32 exec_lo, exec_lo, s22
	v_add_nc_u32_e32 v10, s20, v10
	s_delay_alu instid0(VALU_DEP_1) | instskip(SKIP_1) | instid1(SALU_CYCLE_1)
	v_cmp_le_i32_e32 vcc_lo, s3, v10
	s_or_b32 s21, vcc_lo, s21
	s_and_not1_b32 exec_lo, exec_lo, s21
	s_cbranch_execz .LBB383_8
.LBB383_5:                              ; =>This Loop Header: Depth=1
                                        ;     Child Loop BB383_7 Depth 2
	s_clause 0x1
	global_load_b64 v[12:13], v10, s[6:7] scale_offset
	global_load_b64 v[14:15], v10, s[4:5] scale_offset
	s_mov_b32 s22, exec_lo
	s_wait_loadcnt 0x1
	v_sub_nc_u64_e64 v[12:13], v[12:13], s[16:17]
	s_wait_loadcnt 0x0
	v_add_nc_u64_e32 v[14:15], v[14:15], v[8:9]
	s_wait_xcnt 0x0
	s_delay_alu instid0(VALU_DEP_1)
	v_cmpx_lt_i64_e64 v[14:15], v[12:13]
	s_cbranch_execz .LBB383_4
; %bb.6:                                ;   in Loop: Header=BB383_5 Depth=1
	v_ashrrev_i32_e32 v11, 31, v10
	s_mov_b32 s23, 0
	s_delay_alu instid0(VALU_DEP_1)
	v_lshl_add_u64 v[16:17], v[10:11], 4, s[12:13]
	global_load_b128 v[20:23], v[16:17], off
	s_wait_loadcnt 0x0
	s_wait_xcnt 0x0
	v_mul_f64_e64 v[16:17], v[22:23], -v[4:5]
	v_mul_f64_e32 v[18:19], v[2:3], v[22:23]
	v_lshl_add_u64 v[22:23], v[14:15], 3, s[18:19]
	s_delay_alu instid0(VALU_DEP_3) | instskip(NEXT) | instid1(VALU_DEP_3)
	v_fmac_f64_e32 v[16:17], v[2:3], v[20:21]
	v_fmac_f64_e32 v[18:19], v[4:5], v[20:21]
	v_lshl_add_u64 v[20:21], v[14:15], 2, s[8:9]
.LBB383_7:                              ;   Parent Loop BB383_5 Depth=1
                                        ; =>  This Inner Loop Header: Depth=2
	global_load_b64 v[24:25], v[22:23], off offset:-4
	global_load_b32 v1, v[20:21], off
	v_add_nc_u64_e32 v[14:15], 32, v[14:15]
	s_wait_xcnt 0x0
	v_add_nc_u64_e32 v[20:21], 0x80, v[20:21]
	v_add_nc_u64_e32 v[22:23], 0x100, v[22:23]
	s_delay_alu instid0(VALU_DEP_3) | instskip(SKIP_4) | instid1(VALU_DEP_2)
	v_cmp_ge_i64_e32 vcc_lo, v[14:15], v[12:13]
	s_or_b32 s23, vcc_lo, s23
	s_wait_loadcnt 0x1
	v_cndmask_b32_e64 v7, v25, -v25, s2
	v_cvt_f64_f32_e32 v[24:25], v24
	v_cvt_f64_f32_e32 v[26:27], v7
	s_delay_alu instid0(VALU_DEP_1) | instskip(SKIP_1) | instid1(VALU_DEP_2)
	v_mul_f64_e64 v[28:29], -v[18:19], v[26:27]
	v_mul_f64_e32 v[26:27], v[16:17], v[26:27]
	v_fmac_f64_e32 v[28:29], v[16:17], v[24:25]
	s_delay_alu instid0(VALU_DEP_2) | instskip(SKIP_2) | instid1(VALU_DEP_1)
	v_fmac_f64_e32 v[26:27], v[18:19], v[24:25]
	s_wait_loadcnt 0x0
	v_subrev_nc_u32_e32 v24, s16, v1
	v_ashrrev_i32_e32 v25, 31, v24
	s_delay_alu instid0(VALU_DEP_1)
	v_lshl_add_u64 v[24:25], v[24:25], 4, s[14:15]
	global_atomic_add_f64 v[24:25], v[28:29], off scope:SCOPE_DEV
	s_wait_xcnt 0x0
	global_atomic_add_f64 v[24:25], v[26:27], off offset:8 scope:SCOPE_DEV
	s_wait_xcnt 0x0
	s_and_not1_b32 exec_lo, exec_lo, s23
	s_cbranch_execnz .LBB383_7
	s_branch .LBB383_4
.LBB383_8:
	s_or_b32 exec_lo, exec_lo, s1
	s_mov_b32 s1, 0
.LBB383_9:
	s_delay_alu instid0(SALU_CYCLE_1)
	s_and_not1_b32 vcc_lo, exec_lo, s1
	s_cbranch_vccnz .LBB383_18
; %bb.10:
	s_and_b32 exec_lo, exec_lo, s0
	s_cbranch_execz .LBB383_18
; %bb.11:
	v_mov_b32_e32 v1, 0
	s_mov_b32 s17, 0
	s_wait_kmcnt 0x0
	s_add_nc_u64 s[0:1], s[10:11], 4
	s_mov_b32 s10, s17
	v_sub_nc_u64_e64 v[0:1], v[0:1], s[16:17]
	s_branch .LBB383_13
.LBB383_12:                             ;   in Loop: Header=BB383_13 Depth=1
	s_or_b32 exec_lo, exec_lo, s11
	v_add_nc_u32_e32 v6, s20, v6
	s_delay_alu instid0(VALU_DEP_1) | instskip(SKIP_1) | instid1(SALU_CYCLE_1)
	v_cmp_le_i32_e32 vcc_lo, s3, v6
	s_or_b32 s10, vcc_lo, s10
	s_and_not1_b32 exec_lo, exec_lo, s10
	s_cbranch_execz .LBB383_18
.LBB383_13:                             ; =>This Loop Header: Depth=1
                                        ;     Child Loop BB383_16 Depth 2
	s_clause 0x1
	global_load_b64 v[8:9], v6, s[6:7] scale_offset
	global_load_b64 v[10:11], v6, s[4:5] scale_offset
	s_mov_b32 s11, exec_lo
	s_wait_loadcnt 0x1
	v_sub_nc_u64_e64 v[8:9], v[8:9], s[16:17]
	s_wait_loadcnt 0x0
	v_add_nc_u64_e32 v[10:11], v[10:11], v[0:1]
	s_wait_xcnt 0x0
	s_delay_alu instid0(VALU_DEP_1)
	v_cmpx_lt_i64_e64 v[10:11], v[8:9]
	s_cbranch_execz .LBB383_12
; %bb.14:                               ;   in Loop: Header=BB383_13 Depth=1
	v_ashrrev_i32_e32 v7, 31, v6
	s_mov_b32 s18, 0
	s_delay_alu instid0(VALU_DEP_1)
	v_lshl_add_u64 v[12:13], v[6:7], 4, s[12:13]
	global_load_b128 v[16:19], v[12:13], off
	s_wait_loadcnt 0x0
	v_mul_f64_e64 v[12:13], v[18:19], -v[4:5]
	v_mul_f64_e32 v[14:15], v[2:3], v[18:19]
	v_lshl_add_u64 v[18:19], v[10:11], 3, s[0:1]
	s_delay_alu instid0(VALU_DEP_3) | instskip(NEXT) | instid1(VALU_DEP_3)
	v_fmac_f64_e32 v[12:13], v[2:3], v[16:17]
	v_fmac_f64_e32 v[14:15], v[4:5], v[16:17]
	v_lshl_add_u64 v[16:17], v[10:11], 2, s[8:9]
	s_branch .LBB383_16
.LBB383_15:                             ;   in Loop: Header=BB383_16 Depth=2
	s_wait_xcnt 0x0
	s_or_b32 exec_lo, exec_lo, s19
	v_add_nc_u64_e32 v[10:11], 32, v[10:11]
	v_add_nc_u64_e32 v[16:17], 0x80, v[16:17]
	;; [unrolled: 1-line block ×3, first 2 shown]
	s_delay_alu instid0(VALU_DEP_3) | instskip(SKIP_1) | instid1(SALU_CYCLE_1)
	v_cmp_ge_i64_e32 vcc_lo, v[10:11], v[8:9]
	s_or_b32 s18, vcc_lo, s18
	s_and_not1_b32 exec_lo, exec_lo, s18
	s_cbranch_execz .LBB383_12
.LBB383_16:                             ;   Parent Loop BB383_13 Depth=1
                                        ; =>  This Inner Loop Header: Depth=2
	global_load_b32 v7, v[16:17], off
	s_mov_b32 s19, exec_lo
	s_wait_loadcnt 0x0
	v_subrev_nc_u32_e32 v20, s16, v7
	s_wait_xcnt 0x0
	s_delay_alu instid0(VALU_DEP_1)
	v_cmpx_ne_u32_e64 v20, v6
	s_cbranch_execz .LBB383_15
; %bb.17:                               ;   in Loop: Header=BB383_16 Depth=2
	global_load_b64 v[22:23], v[18:19], off offset:-4
	v_ashrrev_i32_e32 v21, 31, v20
	s_delay_alu instid0(VALU_DEP_1) | instskip(SKIP_3) | instid1(VALU_DEP_2)
	v_lshl_add_u64 v[20:21], v[20:21], 4, s[14:15]
	s_wait_loadcnt 0x0
	v_cndmask_b32_e64 v7, v23, -v23, s2
	v_cvt_f64_f32_e32 v[22:23], v22
	v_cvt_f64_f32_e32 v[24:25], v7
	s_delay_alu instid0(VALU_DEP_1) | instskip(SKIP_1) | instid1(VALU_DEP_2)
	v_mul_f64_e64 v[26:27], -v[14:15], v[24:25]
	v_mul_f64_e32 v[24:25], v[12:13], v[24:25]
	v_fmac_f64_e32 v[26:27], v[12:13], v[22:23]
	s_delay_alu instid0(VALU_DEP_2)
	v_fmac_f64_e32 v[24:25], v[14:15], v[22:23]
	s_wait_xcnt 0x0
	global_atomic_add_f64 v[20:21], v[26:27], off scope:SCOPE_DEV
	s_wait_xcnt 0x0
	global_atomic_add_f64 v[20:21], v[24:25], off offset:8 scope:SCOPE_DEV
	s_branch .LBB383_15
.LBB383_18:
	s_endpgm
	.section	.rodata,"a",@progbits
	.p2align	6, 0x0
	.amdhsa_kernel _ZN9rocsparseL21csrmvt_general_kernelILj256ELj32Eli21rocsparse_complex_numIfES1_IdES3_S3_EEvbbT2_NS_24const_host_device_scalarIT6_EEPKT1_SA_PKS4_PKT3_PKT4_PT5_21rocsparse_index_base_b
		.amdhsa_group_segment_fixed_size 0
		.amdhsa_private_segment_fixed_size 0
		.amdhsa_kernarg_size 336
		.amdhsa_user_sgpr_count 2
		.amdhsa_user_sgpr_dispatch_ptr 0
		.amdhsa_user_sgpr_queue_ptr 0
		.amdhsa_user_sgpr_kernarg_segment_ptr 1
		.amdhsa_user_sgpr_dispatch_id 0
		.amdhsa_user_sgpr_kernarg_preload_length 0
		.amdhsa_user_sgpr_kernarg_preload_offset 0
		.amdhsa_user_sgpr_private_segment_size 0
		.amdhsa_wavefront_size32 1
		.amdhsa_uses_dynamic_stack 0
		.amdhsa_enable_private_segment 0
		.amdhsa_system_sgpr_workgroup_id_x 1
		.amdhsa_system_sgpr_workgroup_id_y 0
		.amdhsa_system_sgpr_workgroup_id_z 0
		.amdhsa_system_sgpr_workgroup_info 0
		.amdhsa_system_vgpr_workitem_id 0
		.amdhsa_next_free_vgpr 30
		.amdhsa_next_free_sgpr 24
		.amdhsa_named_barrier_count 0
		.amdhsa_reserve_vcc 1
		.amdhsa_float_round_mode_32 0
		.amdhsa_float_round_mode_16_64 0
		.amdhsa_float_denorm_mode_32 3
		.amdhsa_float_denorm_mode_16_64 3
		.amdhsa_fp16_overflow 0
		.amdhsa_memory_ordered 1
		.amdhsa_forward_progress 1
		.amdhsa_inst_pref_size 9
		.amdhsa_round_robin_scheduling 0
		.amdhsa_exception_fp_ieee_invalid_op 0
		.amdhsa_exception_fp_denorm_src 0
		.amdhsa_exception_fp_ieee_div_zero 0
		.amdhsa_exception_fp_ieee_overflow 0
		.amdhsa_exception_fp_ieee_underflow 0
		.amdhsa_exception_fp_ieee_inexact 0
		.amdhsa_exception_int_div_zero 0
	.end_amdhsa_kernel
	.section	.text._ZN9rocsparseL21csrmvt_general_kernelILj256ELj32Eli21rocsparse_complex_numIfES1_IdES3_S3_EEvbbT2_NS_24const_host_device_scalarIT6_EEPKT1_SA_PKS4_PKT3_PKT4_PT5_21rocsparse_index_base_b,"axG",@progbits,_ZN9rocsparseL21csrmvt_general_kernelILj256ELj32Eli21rocsparse_complex_numIfES1_IdES3_S3_EEvbbT2_NS_24const_host_device_scalarIT6_EEPKT1_SA_PKS4_PKT3_PKT4_PT5_21rocsparse_index_base_b,comdat
.Lfunc_end383:
	.size	_ZN9rocsparseL21csrmvt_general_kernelILj256ELj32Eli21rocsparse_complex_numIfES1_IdES3_S3_EEvbbT2_NS_24const_host_device_scalarIT6_EEPKT1_SA_PKS4_PKT3_PKT4_PT5_21rocsparse_index_base_b, .Lfunc_end383-_ZN9rocsparseL21csrmvt_general_kernelILj256ELj32Eli21rocsparse_complex_numIfES1_IdES3_S3_EEvbbT2_NS_24const_host_device_scalarIT6_EEPKT1_SA_PKS4_PKT3_PKT4_PT5_21rocsparse_index_base_b
                                        ; -- End function
	.set _ZN9rocsparseL21csrmvt_general_kernelILj256ELj32Eli21rocsparse_complex_numIfES1_IdES3_S3_EEvbbT2_NS_24const_host_device_scalarIT6_EEPKT1_SA_PKS4_PKT3_PKT4_PT5_21rocsparse_index_base_b.num_vgpr, 30
	.set _ZN9rocsparseL21csrmvt_general_kernelILj256ELj32Eli21rocsparse_complex_numIfES1_IdES3_S3_EEvbbT2_NS_24const_host_device_scalarIT6_EEPKT1_SA_PKS4_PKT3_PKT4_PT5_21rocsparse_index_base_b.num_agpr, 0
	.set _ZN9rocsparseL21csrmvt_general_kernelILj256ELj32Eli21rocsparse_complex_numIfES1_IdES3_S3_EEvbbT2_NS_24const_host_device_scalarIT6_EEPKT1_SA_PKS4_PKT3_PKT4_PT5_21rocsparse_index_base_b.numbered_sgpr, 24
	.set _ZN9rocsparseL21csrmvt_general_kernelILj256ELj32Eli21rocsparse_complex_numIfES1_IdES3_S3_EEvbbT2_NS_24const_host_device_scalarIT6_EEPKT1_SA_PKS4_PKT3_PKT4_PT5_21rocsparse_index_base_b.num_named_barrier, 0
	.set _ZN9rocsparseL21csrmvt_general_kernelILj256ELj32Eli21rocsparse_complex_numIfES1_IdES3_S3_EEvbbT2_NS_24const_host_device_scalarIT6_EEPKT1_SA_PKS4_PKT3_PKT4_PT5_21rocsparse_index_base_b.private_seg_size, 0
	.set _ZN9rocsparseL21csrmvt_general_kernelILj256ELj32Eli21rocsparse_complex_numIfES1_IdES3_S3_EEvbbT2_NS_24const_host_device_scalarIT6_EEPKT1_SA_PKS4_PKT3_PKT4_PT5_21rocsparse_index_base_b.uses_vcc, 1
	.set _ZN9rocsparseL21csrmvt_general_kernelILj256ELj32Eli21rocsparse_complex_numIfES1_IdES3_S3_EEvbbT2_NS_24const_host_device_scalarIT6_EEPKT1_SA_PKS4_PKT3_PKT4_PT5_21rocsparse_index_base_b.uses_flat_scratch, 0
	.set _ZN9rocsparseL21csrmvt_general_kernelILj256ELj32Eli21rocsparse_complex_numIfES1_IdES3_S3_EEvbbT2_NS_24const_host_device_scalarIT6_EEPKT1_SA_PKS4_PKT3_PKT4_PT5_21rocsparse_index_base_b.has_dyn_sized_stack, 0
	.set _ZN9rocsparseL21csrmvt_general_kernelILj256ELj32Eli21rocsparse_complex_numIfES1_IdES3_S3_EEvbbT2_NS_24const_host_device_scalarIT6_EEPKT1_SA_PKS4_PKT3_PKT4_PT5_21rocsparse_index_base_b.has_recursion, 0
	.set _ZN9rocsparseL21csrmvt_general_kernelILj256ELj32Eli21rocsparse_complex_numIfES1_IdES3_S3_EEvbbT2_NS_24const_host_device_scalarIT6_EEPKT1_SA_PKS4_PKT3_PKT4_PT5_21rocsparse_index_base_b.has_indirect_call, 0
	.section	.AMDGPU.csdata,"",@progbits
; Kernel info:
; codeLenInByte = 1084
; TotalNumSgprs: 26
; NumVgprs: 30
; ScratchSize: 0
; MemoryBound: 0
; FloatMode: 240
; IeeeMode: 1
; LDSByteSize: 0 bytes/workgroup (compile time only)
; SGPRBlocks: 0
; VGPRBlocks: 1
; NumSGPRsForWavesPerEU: 26
; NumVGPRsForWavesPerEU: 30
; NamedBarCnt: 0
; Occupancy: 16
; WaveLimiterHint : 1
; COMPUTE_PGM_RSRC2:SCRATCH_EN: 0
; COMPUTE_PGM_RSRC2:USER_SGPR: 2
; COMPUTE_PGM_RSRC2:TRAP_HANDLER: 0
; COMPUTE_PGM_RSRC2:TGID_X_EN: 1
; COMPUTE_PGM_RSRC2:TGID_Y_EN: 0
; COMPUTE_PGM_RSRC2:TGID_Z_EN: 0
; COMPUTE_PGM_RSRC2:TIDIG_COMP_CNT: 0
	.section	.text._ZN9rocsparseL21csrmvt_general_kernelILj256ELj64Eli21rocsparse_complex_numIfES1_IdES3_S3_EEvbbT2_NS_24const_host_device_scalarIT6_EEPKT1_SA_PKS4_PKT3_PKT4_PT5_21rocsparse_index_base_b,"axG",@progbits,_ZN9rocsparseL21csrmvt_general_kernelILj256ELj64Eli21rocsparse_complex_numIfES1_IdES3_S3_EEvbbT2_NS_24const_host_device_scalarIT6_EEPKT1_SA_PKS4_PKT3_PKT4_PT5_21rocsparse_index_base_b,comdat
	.globl	_ZN9rocsparseL21csrmvt_general_kernelILj256ELj64Eli21rocsparse_complex_numIfES1_IdES3_S3_EEvbbT2_NS_24const_host_device_scalarIT6_EEPKT1_SA_PKS4_PKT3_PKT4_PT5_21rocsparse_index_base_b ; -- Begin function _ZN9rocsparseL21csrmvt_general_kernelILj256ELj64Eli21rocsparse_complex_numIfES1_IdES3_S3_EEvbbT2_NS_24const_host_device_scalarIT6_EEPKT1_SA_PKS4_PKT3_PKT4_PT5_21rocsparse_index_base_b
	.p2align	8
	.type	_ZN9rocsparseL21csrmvt_general_kernelILj256ELj64Eli21rocsparse_complex_numIfES1_IdES3_S3_EEvbbT2_NS_24const_host_device_scalarIT6_EEPKT1_SA_PKS4_PKT3_PKT4_PT5_21rocsparse_index_base_b,@function
_ZN9rocsparseL21csrmvt_general_kernelILj256ELj64Eli21rocsparse_complex_numIfES1_IdES3_S3_EEvbbT2_NS_24const_host_device_scalarIT6_EEPKT1_SA_PKS4_PKT3_PKT4_PT5_21rocsparse_index_base_b: ; @_ZN9rocsparseL21csrmvt_general_kernelILj256ELj64Eli21rocsparse_complex_numIfES1_IdES3_S3_EEvbbT2_NS_24const_host_device_scalarIT6_EEPKT1_SA_PKS4_PKT3_PKT4_PT5_21rocsparse_index_base_b
; %bb.0:
	s_clause 0x1
	s_load_b64 s[16:17], s[0:1], 0x48
	s_load_b64 s[2:3], s[0:1], 0x8
	v_mov_b32_e32 v1, 0
	s_add_nc_u64 s[4:5], s[0:1], 8
	s_wait_kmcnt 0x0
	s_bitcmp1_b32 s17, 0
	s_cselect_b32 s3, s5, s3
	s_cselect_b32 s2, s4, s2
	flat_load_b128 v[2:5], v1, s[2:3]
	s_wait_loadcnt_dscnt 0x0
	v_cmp_neq_f64_e32 vcc_lo, 0, v[2:3]
	v_cmp_neq_f64_e64 s2, 0, v[4:5]
	s_or_b32 s2, vcc_lo, s2
	s_delay_alu instid0(SALU_CYCLE_1)
	s_and_saveexec_b32 s3, s2
	s_cbranch_execz .LBB384_18
; %bb.1:
	s_clause 0x3
	s_load_b32 s4, s[0:1], 0x0
	s_load_b64 s[2:3], s[0:1], 0x0
	s_load_b32 s17, s[0:1], 0x50
	s_load_b128 s[12:15], s[0:1], 0x38
	s_wait_kmcnt 0x0
	s_and_b32 s18, s4, 1
	s_bitcmp1_b32 s2, 8
	s_load_b256 s[4:11], s[0:1], 0x18
	s_cselect_b32 s2, -1, 0
	s_wait_xcnt 0x0
	s_bfe_u32 s0, ttmp6, 0x4000c
	s_and_b32 s1, ttmp6, 15
	s_add_co_i32 s0, s0, 1
	s_lshl_b32 s20, s17, 2
	s_mul_i32 s0, ttmp9, s0
	s_getreg_b32 s17, hwreg(HW_REG_IB_STS2, 6, 4)
	s_add_co_i32 s1, s1, s0
	s_cmp_eq_u32 s17, 0
	s_cselect_b32 s0, ttmp9, s1
	s_cmp_eq_u32 s18, 0
	v_lshl_or_b32 v1, s0, 8, v0
	s_mov_b32 s1, -1
	s_delay_alu instid0(VALU_DEP_1) | instskip(NEXT) | instid1(VALU_DEP_1)
	v_dual_lshrrev_b32 v6, 6, v1 :: v_dual_bitop2_b32 v0, 63, v0 bitop3:0x40
	v_cmp_gt_i32_e64 s0, s3, v6
	s_cbranch_scc0 .LBB384_9
; %bb.2:
	s_and_saveexec_b32 s1, s0
	s_cbranch_execz .LBB384_8
; %bb.3:
	v_dual_mov_b32 v1, 0 :: v_dual_mov_b32 v10, v6
	s_mov_b32 s17, 0
	s_wait_kmcnt 0x0
	s_add_nc_u64 s[18:19], s[10:11], 4
	s_mov_b32 s21, s17
	v_sub_nc_u64_e64 v[8:9], v[0:1], s[16:17]
	s_branch .LBB384_5
.LBB384_4:                              ;   in Loop: Header=BB384_5 Depth=1
	s_or_b32 exec_lo, exec_lo, s22
	v_add_nc_u32_e32 v10, s20, v10
	s_delay_alu instid0(VALU_DEP_1) | instskip(SKIP_1) | instid1(SALU_CYCLE_1)
	v_cmp_le_i32_e32 vcc_lo, s3, v10
	s_or_b32 s21, vcc_lo, s21
	s_and_not1_b32 exec_lo, exec_lo, s21
	s_cbranch_execz .LBB384_8
.LBB384_5:                              ; =>This Loop Header: Depth=1
                                        ;     Child Loop BB384_7 Depth 2
	s_clause 0x1
	global_load_b64 v[12:13], v10, s[6:7] scale_offset
	global_load_b64 v[14:15], v10, s[4:5] scale_offset
	s_mov_b32 s22, exec_lo
	s_wait_loadcnt 0x1
	v_sub_nc_u64_e64 v[12:13], v[12:13], s[16:17]
	s_wait_loadcnt 0x0
	v_add_nc_u64_e32 v[14:15], v[14:15], v[8:9]
	s_wait_xcnt 0x0
	s_delay_alu instid0(VALU_DEP_1)
	v_cmpx_lt_i64_e64 v[14:15], v[12:13]
	s_cbranch_execz .LBB384_4
; %bb.6:                                ;   in Loop: Header=BB384_5 Depth=1
	v_ashrrev_i32_e32 v11, 31, v10
	s_mov_b32 s23, 0
	s_delay_alu instid0(VALU_DEP_1)
	v_lshl_add_u64 v[16:17], v[10:11], 4, s[12:13]
	global_load_b128 v[20:23], v[16:17], off
	s_wait_loadcnt 0x0
	s_wait_xcnt 0x0
	v_mul_f64_e64 v[16:17], v[22:23], -v[4:5]
	v_mul_f64_e32 v[18:19], v[2:3], v[22:23]
	v_lshl_add_u64 v[22:23], v[14:15], 3, s[18:19]
	s_delay_alu instid0(VALU_DEP_3) | instskip(NEXT) | instid1(VALU_DEP_3)
	v_fmac_f64_e32 v[16:17], v[2:3], v[20:21]
	v_fmac_f64_e32 v[18:19], v[4:5], v[20:21]
	v_lshl_add_u64 v[20:21], v[14:15], 2, s[8:9]
.LBB384_7:                              ;   Parent Loop BB384_5 Depth=1
                                        ; =>  This Inner Loop Header: Depth=2
	global_load_b64 v[24:25], v[22:23], off offset:-4
	global_load_b32 v1, v[20:21], off
	v_add_nc_u64_e32 v[14:15], 64, v[14:15]
	s_wait_xcnt 0x0
	v_add_nc_u64_e32 v[20:21], 0x100, v[20:21]
	v_add_nc_u64_e32 v[22:23], 0x200, v[22:23]
	s_delay_alu instid0(VALU_DEP_3) | instskip(SKIP_4) | instid1(VALU_DEP_2)
	v_cmp_ge_i64_e32 vcc_lo, v[14:15], v[12:13]
	s_or_b32 s23, vcc_lo, s23
	s_wait_loadcnt 0x1
	v_cndmask_b32_e64 v7, v25, -v25, s2
	v_cvt_f64_f32_e32 v[24:25], v24
	v_cvt_f64_f32_e32 v[26:27], v7
	s_delay_alu instid0(VALU_DEP_1) | instskip(SKIP_1) | instid1(VALU_DEP_2)
	v_mul_f64_e64 v[28:29], -v[18:19], v[26:27]
	v_mul_f64_e32 v[26:27], v[16:17], v[26:27]
	v_fmac_f64_e32 v[28:29], v[16:17], v[24:25]
	s_delay_alu instid0(VALU_DEP_2) | instskip(SKIP_2) | instid1(VALU_DEP_1)
	v_fmac_f64_e32 v[26:27], v[18:19], v[24:25]
	s_wait_loadcnt 0x0
	v_subrev_nc_u32_e32 v24, s16, v1
	v_ashrrev_i32_e32 v25, 31, v24
	s_delay_alu instid0(VALU_DEP_1)
	v_lshl_add_u64 v[24:25], v[24:25], 4, s[14:15]
	global_atomic_add_f64 v[24:25], v[28:29], off scope:SCOPE_DEV
	s_wait_xcnt 0x0
	global_atomic_add_f64 v[24:25], v[26:27], off offset:8 scope:SCOPE_DEV
	s_wait_xcnt 0x0
	s_and_not1_b32 exec_lo, exec_lo, s23
	s_cbranch_execnz .LBB384_7
	s_branch .LBB384_4
.LBB384_8:
	s_or_b32 exec_lo, exec_lo, s1
	s_mov_b32 s1, 0
.LBB384_9:
	s_delay_alu instid0(SALU_CYCLE_1)
	s_and_not1_b32 vcc_lo, exec_lo, s1
	s_cbranch_vccnz .LBB384_18
; %bb.10:
	s_and_b32 exec_lo, exec_lo, s0
	s_cbranch_execz .LBB384_18
; %bb.11:
	v_mov_b32_e32 v1, 0
	s_mov_b32 s17, 0
	s_wait_kmcnt 0x0
	s_add_nc_u64 s[0:1], s[10:11], 4
	s_mov_b32 s10, s17
	v_sub_nc_u64_e64 v[0:1], v[0:1], s[16:17]
	s_branch .LBB384_13
.LBB384_12:                             ;   in Loop: Header=BB384_13 Depth=1
	s_or_b32 exec_lo, exec_lo, s11
	v_add_nc_u32_e32 v6, s20, v6
	s_delay_alu instid0(VALU_DEP_1) | instskip(SKIP_1) | instid1(SALU_CYCLE_1)
	v_cmp_le_i32_e32 vcc_lo, s3, v6
	s_or_b32 s10, vcc_lo, s10
	s_and_not1_b32 exec_lo, exec_lo, s10
	s_cbranch_execz .LBB384_18
.LBB384_13:                             ; =>This Loop Header: Depth=1
                                        ;     Child Loop BB384_16 Depth 2
	s_clause 0x1
	global_load_b64 v[8:9], v6, s[6:7] scale_offset
	global_load_b64 v[10:11], v6, s[4:5] scale_offset
	s_mov_b32 s11, exec_lo
	s_wait_loadcnt 0x1
	v_sub_nc_u64_e64 v[8:9], v[8:9], s[16:17]
	s_wait_loadcnt 0x0
	v_add_nc_u64_e32 v[10:11], v[10:11], v[0:1]
	s_wait_xcnt 0x0
	s_delay_alu instid0(VALU_DEP_1)
	v_cmpx_lt_i64_e64 v[10:11], v[8:9]
	s_cbranch_execz .LBB384_12
; %bb.14:                               ;   in Loop: Header=BB384_13 Depth=1
	v_ashrrev_i32_e32 v7, 31, v6
	s_mov_b32 s18, 0
	s_delay_alu instid0(VALU_DEP_1)
	v_lshl_add_u64 v[12:13], v[6:7], 4, s[12:13]
	global_load_b128 v[16:19], v[12:13], off
	s_wait_loadcnt 0x0
	v_mul_f64_e64 v[12:13], v[18:19], -v[4:5]
	v_mul_f64_e32 v[14:15], v[2:3], v[18:19]
	v_lshl_add_u64 v[18:19], v[10:11], 3, s[0:1]
	s_delay_alu instid0(VALU_DEP_3) | instskip(NEXT) | instid1(VALU_DEP_3)
	v_fmac_f64_e32 v[12:13], v[2:3], v[16:17]
	v_fmac_f64_e32 v[14:15], v[4:5], v[16:17]
	v_lshl_add_u64 v[16:17], v[10:11], 2, s[8:9]
	s_branch .LBB384_16
.LBB384_15:                             ;   in Loop: Header=BB384_16 Depth=2
	s_wait_xcnt 0x0
	s_or_b32 exec_lo, exec_lo, s19
	v_add_nc_u64_e32 v[10:11], 64, v[10:11]
	v_add_nc_u64_e32 v[16:17], 0x100, v[16:17]
	;; [unrolled: 1-line block ×3, first 2 shown]
	s_delay_alu instid0(VALU_DEP_3) | instskip(SKIP_1) | instid1(SALU_CYCLE_1)
	v_cmp_ge_i64_e32 vcc_lo, v[10:11], v[8:9]
	s_or_b32 s18, vcc_lo, s18
	s_and_not1_b32 exec_lo, exec_lo, s18
	s_cbranch_execz .LBB384_12
.LBB384_16:                             ;   Parent Loop BB384_13 Depth=1
                                        ; =>  This Inner Loop Header: Depth=2
	global_load_b32 v7, v[16:17], off
	s_mov_b32 s19, exec_lo
	s_wait_loadcnt 0x0
	v_subrev_nc_u32_e32 v20, s16, v7
	s_wait_xcnt 0x0
	s_delay_alu instid0(VALU_DEP_1)
	v_cmpx_ne_u32_e64 v20, v6
	s_cbranch_execz .LBB384_15
; %bb.17:                               ;   in Loop: Header=BB384_16 Depth=2
	global_load_b64 v[22:23], v[18:19], off offset:-4
	v_ashrrev_i32_e32 v21, 31, v20
	s_delay_alu instid0(VALU_DEP_1) | instskip(SKIP_3) | instid1(VALU_DEP_2)
	v_lshl_add_u64 v[20:21], v[20:21], 4, s[14:15]
	s_wait_loadcnt 0x0
	v_cndmask_b32_e64 v7, v23, -v23, s2
	v_cvt_f64_f32_e32 v[22:23], v22
	v_cvt_f64_f32_e32 v[24:25], v7
	s_delay_alu instid0(VALU_DEP_1) | instskip(SKIP_1) | instid1(VALU_DEP_2)
	v_mul_f64_e64 v[26:27], -v[14:15], v[24:25]
	v_mul_f64_e32 v[24:25], v[12:13], v[24:25]
	v_fmac_f64_e32 v[26:27], v[12:13], v[22:23]
	s_delay_alu instid0(VALU_DEP_2)
	v_fmac_f64_e32 v[24:25], v[14:15], v[22:23]
	s_wait_xcnt 0x0
	global_atomic_add_f64 v[20:21], v[26:27], off scope:SCOPE_DEV
	s_wait_xcnt 0x0
	global_atomic_add_f64 v[20:21], v[24:25], off offset:8 scope:SCOPE_DEV
	s_branch .LBB384_15
.LBB384_18:
	s_endpgm
	.section	.rodata,"a",@progbits
	.p2align	6, 0x0
	.amdhsa_kernel _ZN9rocsparseL21csrmvt_general_kernelILj256ELj64Eli21rocsparse_complex_numIfES1_IdES3_S3_EEvbbT2_NS_24const_host_device_scalarIT6_EEPKT1_SA_PKS4_PKT3_PKT4_PT5_21rocsparse_index_base_b
		.amdhsa_group_segment_fixed_size 0
		.amdhsa_private_segment_fixed_size 0
		.amdhsa_kernarg_size 336
		.amdhsa_user_sgpr_count 2
		.amdhsa_user_sgpr_dispatch_ptr 0
		.amdhsa_user_sgpr_queue_ptr 0
		.amdhsa_user_sgpr_kernarg_segment_ptr 1
		.amdhsa_user_sgpr_dispatch_id 0
		.amdhsa_user_sgpr_kernarg_preload_length 0
		.amdhsa_user_sgpr_kernarg_preload_offset 0
		.amdhsa_user_sgpr_private_segment_size 0
		.amdhsa_wavefront_size32 1
		.amdhsa_uses_dynamic_stack 0
		.amdhsa_enable_private_segment 0
		.amdhsa_system_sgpr_workgroup_id_x 1
		.amdhsa_system_sgpr_workgroup_id_y 0
		.amdhsa_system_sgpr_workgroup_id_z 0
		.amdhsa_system_sgpr_workgroup_info 0
		.amdhsa_system_vgpr_workitem_id 0
		.amdhsa_next_free_vgpr 30
		.amdhsa_next_free_sgpr 24
		.amdhsa_named_barrier_count 0
		.amdhsa_reserve_vcc 1
		.amdhsa_float_round_mode_32 0
		.amdhsa_float_round_mode_16_64 0
		.amdhsa_float_denorm_mode_32 3
		.amdhsa_float_denorm_mode_16_64 3
		.amdhsa_fp16_overflow 0
		.amdhsa_memory_ordered 1
		.amdhsa_forward_progress 1
		.amdhsa_inst_pref_size 9
		.amdhsa_round_robin_scheduling 0
		.amdhsa_exception_fp_ieee_invalid_op 0
		.amdhsa_exception_fp_denorm_src 0
		.amdhsa_exception_fp_ieee_div_zero 0
		.amdhsa_exception_fp_ieee_overflow 0
		.amdhsa_exception_fp_ieee_underflow 0
		.amdhsa_exception_fp_ieee_inexact 0
		.amdhsa_exception_int_div_zero 0
	.end_amdhsa_kernel
	.section	.text._ZN9rocsparseL21csrmvt_general_kernelILj256ELj64Eli21rocsparse_complex_numIfES1_IdES3_S3_EEvbbT2_NS_24const_host_device_scalarIT6_EEPKT1_SA_PKS4_PKT3_PKT4_PT5_21rocsparse_index_base_b,"axG",@progbits,_ZN9rocsparseL21csrmvt_general_kernelILj256ELj64Eli21rocsparse_complex_numIfES1_IdES3_S3_EEvbbT2_NS_24const_host_device_scalarIT6_EEPKT1_SA_PKS4_PKT3_PKT4_PT5_21rocsparse_index_base_b,comdat
.Lfunc_end384:
	.size	_ZN9rocsparseL21csrmvt_general_kernelILj256ELj64Eli21rocsparse_complex_numIfES1_IdES3_S3_EEvbbT2_NS_24const_host_device_scalarIT6_EEPKT1_SA_PKS4_PKT3_PKT4_PT5_21rocsparse_index_base_b, .Lfunc_end384-_ZN9rocsparseL21csrmvt_general_kernelILj256ELj64Eli21rocsparse_complex_numIfES1_IdES3_S3_EEvbbT2_NS_24const_host_device_scalarIT6_EEPKT1_SA_PKS4_PKT3_PKT4_PT5_21rocsparse_index_base_b
                                        ; -- End function
	.set _ZN9rocsparseL21csrmvt_general_kernelILj256ELj64Eli21rocsparse_complex_numIfES1_IdES3_S3_EEvbbT2_NS_24const_host_device_scalarIT6_EEPKT1_SA_PKS4_PKT3_PKT4_PT5_21rocsparse_index_base_b.num_vgpr, 30
	.set _ZN9rocsparseL21csrmvt_general_kernelILj256ELj64Eli21rocsparse_complex_numIfES1_IdES3_S3_EEvbbT2_NS_24const_host_device_scalarIT6_EEPKT1_SA_PKS4_PKT3_PKT4_PT5_21rocsparse_index_base_b.num_agpr, 0
	.set _ZN9rocsparseL21csrmvt_general_kernelILj256ELj64Eli21rocsparse_complex_numIfES1_IdES3_S3_EEvbbT2_NS_24const_host_device_scalarIT6_EEPKT1_SA_PKS4_PKT3_PKT4_PT5_21rocsparse_index_base_b.numbered_sgpr, 24
	.set _ZN9rocsparseL21csrmvt_general_kernelILj256ELj64Eli21rocsparse_complex_numIfES1_IdES3_S3_EEvbbT2_NS_24const_host_device_scalarIT6_EEPKT1_SA_PKS4_PKT3_PKT4_PT5_21rocsparse_index_base_b.num_named_barrier, 0
	.set _ZN9rocsparseL21csrmvt_general_kernelILj256ELj64Eli21rocsparse_complex_numIfES1_IdES3_S3_EEvbbT2_NS_24const_host_device_scalarIT6_EEPKT1_SA_PKS4_PKT3_PKT4_PT5_21rocsparse_index_base_b.private_seg_size, 0
	.set _ZN9rocsparseL21csrmvt_general_kernelILj256ELj64Eli21rocsparse_complex_numIfES1_IdES3_S3_EEvbbT2_NS_24const_host_device_scalarIT6_EEPKT1_SA_PKS4_PKT3_PKT4_PT5_21rocsparse_index_base_b.uses_vcc, 1
	.set _ZN9rocsparseL21csrmvt_general_kernelILj256ELj64Eli21rocsparse_complex_numIfES1_IdES3_S3_EEvbbT2_NS_24const_host_device_scalarIT6_EEPKT1_SA_PKS4_PKT3_PKT4_PT5_21rocsparse_index_base_b.uses_flat_scratch, 0
	.set _ZN9rocsparseL21csrmvt_general_kernelILj256ELj64Eli21rocsparse_complex_numIfES1_IdES3_S3_EEvbbT2_NS_24const_host_device_scalarIT6_EEPKT1_SA_PKS4_PKT3_PKT4_PT5_21rocsparse_index_base_b.has_dyn_sized_stack, 0
	.set _ZN9rocsparseL21csrmvt_general_kernelILj256ELj64Eli21rocsparse_complex_numIfES1_IdES3_S3_EEvbbT2_NS_24const_host_device_scalarIT6_EEPKT1_SA_PKS4_PKT3_PKT4_PT5_21rocsparse_index_base_b.has_recursion, 0
	.set _ZN9rocsparseL21csrmvt_general_kernelILj256ELj64Eli21rocsparse_complex_numIfES1_IdES3_S3_EEvbbT2_NS_24const_host_device_scalarIT6_EEPKT1_SA_PKS4_PKT3_PKT4_PT5_21rocsparse_index_base_b.has_indirect_call, 0
	.section	.AMDGPU.csdata,"",@progbits
; Kernel info:
; codeLenInByte = 1084
; TotalNumSgprs: 26
; NumVgprs: 30
; ScratchSize: 0
; MemoryBound: 0
; FloatMode: 240
; IeeeMode: 1
; LDSByteSize: 0 bytes/workgroup (compile time only)
; SGPRBlocks: 0
; VGPRBlocks: 1
; NumSGPRsForWavesPerEU: 26
; NumVGPRsForWavesPerEU: 30
; NamedBarCnt: 0
; Occupancy: 16
; WaveLimiterHint : 1
; COMPUTE_PGM_RSRC2:SCRATCH_EN: 0
; COMPUTE_PGM_RSRC2:USER_SGPR: 2
; COMPUTE_PGM_RSRC2:TRAP_HANDLER: 0
; COMPUTE_PGM_RSRC2:TGID_X_EN: 1
; COMPUTE_PGM_RSRC2:TGID_Y_EN: 0
; COMPUTE_PGM_RSRC2:TGID_Z_EN: 0
; COMPUTE_PGM_RSRC2:TIDIG_COMP_CNT: 0
	.section	.text._ZN9rocsparseL21csrmvn_general_kernelILj256ELj2Ell21rocsparse_complex_numIfES1_IdES3_S3_EEvbT2_NS_24const_host_device_scalarIT6_EEPKT1_SA_PKS4_PKT3_PKT4_S7_PT5_21rocsparse_index_base_b,"axG",@progbits,_ZN9rocsparseL21csrmvn_general_kernelILj256ELj2Ell21rocsparse_complex_numIfES1_IdES3_S3_EEvbT2_NS_24const_host_device_scalarIT6_EEPKT1_SA_PKS4_PKT3_PKT4_S7_PT5_21rocsparse_index_base_b,comdat
	.globl	_ZN9rocsparseL21csrmvn_general_kernelILj256ELj2Ell21rocsparse_complex_numIfES1_IdES3_S3_EEvbT2_NS_24const_host_device_scalarIT6_EEPKT1_SA_PKS4_PKT3_PKT4_S7_PT5_21rocsparse_index_base_b ; -- Begin function _ZN9rocsparseL21csrmvn_general_kernelILj256ELj2Ell21rocsparse_complex_numIfES1_IdES3_S3_EEvbT2_NS_24const_host_device_scalarIT6_EEPKT1_SA_PKS4_PKT3_PKT4_S7_PT5_21rocsparse_index_base_b
	.p2align	8
	.type	_ZN9rocsparseL21csrmvn_general_kernelILj256ELj2Ell21rocsparse_complex_numIfES1_IdES3_S3_EEvbT2_NS_24const_host_device_scalarIT6_EEPKT1_SA_PKS4_PKT3_PKT4_S7_PT5_21rocsparse_index_base_b,@function
_ZN9rocsparseL21csrmvn_general_kernelILj256ELj2Ell21rocsparse_complex_numIfES1_IdES3_S3_EEvbT2_NS_24const_host_device_scalarIT6_EEPKT1_SA_PKS4_PKT3_PKT4_S7_PT5_21rocsparse_index_base_b: ; @_ZN9rocsparseL21csrmvn_general_kernelILj256ELj2Ell21rocsparse_complex_numIfES1_IdES3_S3_EEvbT2_NS_24const_host_device_scalarIT6_EEPKT1_SA_PKS4_PKT3_PKT4_S7_PT5_21rocsparse_index_base_b
; %bb.0:
	s_clause 0x1
	s_load_b64 s[16:17], s[0:1], 0x60
	s_load_b128 s[12:15], s[0:1], 0x8
	v_mov_b32_e32 v1, 0
	s_add_nc_u64 s[2:3], s[0:1], 16
	s_load_b64 s[4:5], s[0:1], 0x48
	s_wait_kmcnt 0x0
	s_bitcmp1_b32 s17, 0
	s_cselect_b32 s3, s3, s15
	s_cselect_b32 s2, s2, s14
	flat_load_b128 v[2:5], v1, s[2:3]
	s_wait_xcnt 0x0
	s_add_nc_u64 s[2:3], s[0:1], 0x48
	s_delay_alu instid0(SALU_CYCLE_1)
	s_cselect_b32 s3, s3, s5
	s_cselect_b32 s2, s2, s4
	flat_load_b128 v[6:9], v1, s[2:3]
	s_wait_loadcnt_dscnt 0x101
	v_cmp_eq_f64_e32 vcc_lo, 0, v[2:3]
	s_wait_xcnt 0x0
	v_cmp_eq_f64_e64 s2, 0, v[4:5]
	s_and_b32 s4, vcc_lo, s2
	s_mov_b32 s2, -1
	s_and_saveexec_b32 s3, s4
	s_cbranch_execz .LBB385_2
; %bb.1:
	s_wait_loadcnt_dscnt 0x0
	v_cmp_neq_f64_e32 vcc_lo, 1.0, v[6:7]
	v_cmp_neq_f64_e64 s2, 0, v[8:9]
	s_or_b32 s2, vcc_lo, s2
	s_delay_alu instid0(SALU_CYCLE_1)
	s_or_not1_b32 s2, s2, exec_lo
.LBB385_2:
	s_or_b32 exec_lo, exec_lo, s3
	s_and_saveexec_b32 s3, s2
	s_cbranch_execz .LBB385_14
; %bb.3:
	s_bfe_u32 s2, ttmp6, 0x4000c
	s_and_b32 s3, ttmp6, 15
	s_add_co_i32 s2, s2, 1
	s_getreg_b32 s4, hwreg(HW_REG_IB_STS2, 6, 4)
	s_mul_i32 s2, ttmp9, s2
	s_mov_b32 s15, 0
	s_add_co_i32 s3, s3, s2
	s_cmp_eq_u32 s4, 0
	v_mov_b32_e32 v15, 0
	s_cselect_b32 s2, ttmp9, s3
	s_delay_alu instid0(SALU_CYCLE_1) | instskip(NEXT) | instid1(VALU_DEP_1)
	v_lshl_or_b32 v1, s2, 8, v0
	v_lshrrev_b32_e32 v14, 1, v1
	s_delay_alu instid0(VALU_DEP_1)
	v_cmp_gt_i64_e32 vcc_lo, s[12:13], v[14:15]
	s_and_b32 exec_lo, exec_lo, vcc_lo
	s_cbranch_execz .LBB385_14
; %bb.4:
	s_wait_loadcnt_dscnt 0x0
	v_cmp_neq_f64_e64 s2, 0, v[6:7]
	v_cmp_neq_f64_e64 s3, 0, v[8:9]
	s_clause 0x2
	s_load_b32 s14, s[0:1], 0x68
	s_load_b32 s23, s[0:1], 0x0
	s_load_b256 s[4:11], s[0:1], 0x20
	v_mbcnt_lo_u32_b32 v12, -1, 0
	s_clause 0x1
	s_load_b64 s[20:21], s[0:1], 0x40
	s_load_b64 s[18:19], s[0:1], 0x58
	v_dual_mov_b32 v11, v15 :: v_dual_bitop2_b32 v10, 1, v0 bitop3:0x40
	s_mov_b32 s17, s15
	v_xor_b32_e32 v13, 1, v12
	s_mov_b32 s22, s16
	s_delay_alu instid0(VALU_DEP_2) | instskip(NEXT) | instid1(VALU_DEP_2)
	v_sub_nc_u64_e64 v[0:1], v[10:11], s[16:17]
	v_cmp_gt_i32_e32 vcc_lo, 32, v13
	v_cndmask_b32_e32 v11, v12, v13, vcc_lo
	v_cmp_eq_u32_e32 vcc_lo, 1, v10
	s_wait_kmcnt 0x0
	s_lshl_b32 s14, s14, 7
	s_bitcmp1_b32 s23, 0
	s_add_nc_u64 s[10:11], s[10:11], 4
	s_cselect_b32 s1, -1, 0
	s_ashr_i32 s23, s16, 31
	v_lshlrev_b32_e32 v24, 2, v11
	s_lshl_b64 s[22:23], s[22:23], 4
	s_delay_alu instid0(SALU_CYCLE_1)
	s_sub_nc_u64 s[20:21], s[20:21], s[22:23]
	s_or_b32 s2, s2, s3
	s_mov_b32 s3, s15
	s_branch .LBB385_7
.LBB385_5:                              ;   in Loop: Header=BB385_7 Depth=1
	s_wait_xcnt 0x0
	s_or_b32 exec_lo, exec_lo, s22
	global_store_b128 v[16:17], v[10:13], off
.LBB385_6:                              ;   in Loop: Header=BB385_7 Depth=1
	s_wait_xcnt 0x0
	s_or_b32 exec_lo, exec_lo, s0
	v_add_nc_u64_e32 v[14:15], s[14:15], v[14:15]
	s_delay_alu instid0(VALU_DEP_1) | instskip(SKIP_1) | instid1(SALU_CYCLE_1)
	v_cmp_le_i64_e64 s0, s[12:13], v[14:15]
	s_or_b32 s3, s0, s3
	s_and_not1_b32 exec_lo, exec_lo, s3
	s_cbranch_execz .LBB385_14
.LBB385_7:                              ; =>This Loop Header: Depth=1
                                        ;     Child Loop BB385_9 Depth 2
	v_lshlrev_b64_e32 v[10:11], 3, v[14:15]
	s_mov_b32 s22, exec_lo
	s_delay_alu instid0(VALU_DEP_1)
	v_add_nc_u64_e32 v[12:13], s[6:7], v[10:11]
	v_add_nc_u64_e32 v[10:11], s[4:5], v[10:11]
	s_wait_dscnt 0x0
	global_load_b64 v[16:17], v[12:13], off
	global_load_b64 v[18:19], v[10:11], off
	s_wait_xcnt 0x1
	v_mov_b64_e32 v[12:13], 0
	s_wait_xcnt 0x0
	v_mov_b64_e32 v[10:11], 0
	s_wait_loadcnt 0x1
	v_sub_nc_u64_e64 v[16:17], v[16:17], s[16:17]
	s_wait_loadcnt 0x0
	v_add_nc_u64_e32 v[18:19], v[18:19], v[0:1]
	s_delay_alu instid0(VALU_DEP_1)
	v_cmpx_lt_i64_e64 v[18:19], v[16:17]
	s_cbranch_execz .LBB385_11
; %bb.8:                                ;   in Loop: Header=BB385_7 Depth=1
	v_lshlrev_b64_e32 v[10:11], 3, v[18:19]
	v_mov_b64_e32 v[12:13], 0
	s_mov_b32 s23, 0
	s_delay_alu instid0(VALU_DEP_2)
	v_add_nc_u64_e32 v[20:21], s[10:11], v[10:11]
	v_add_nc_u64_e32 v[22:23], s[8:9], v[10:11]
	v_mov_b64_e32 v[10:11], 0
.LBB385_9:                              ;   Parent Loop BB385_7 Depth=1
                                        ; =>  This Inner Loop Header: Depth=2
	global_load_b64 v[26:27], v[22:23], off
	global_load_b64 v[30:31], v[20:21], off offset:-4
	v_add_nc_u64_e32 v[18:19], 2, v[18:19]
	s_wait_xcnt 0x0
	v_add_nc_u64_e32 v[20:21], 16, v[20:21]
	v_add_nc_u64_e32 v[22:23], 16, v[22:23]
	s_delay_alu instid0(VALU_DEP_3)
	v_cmp_ge_i64_e64 s0, v[18:19], v[16:17]
	s_or_b32 s23, s0, s23
	s_wait_loadcnt 0x1
	v_lshl_add_u64 v[26:27], v[26:27], 4, s[20:21]
	s_wait_loadcnt 0x0
	v_cndmask_b32_e64 v25, v31, -v31, s1
	v_cvt_f64_f32_e32 v[30:31], v30
	global_load_b128 v[26:29], v[26:27], off
	v_cvt_f64_f32_e32 v[32:33], v25
	s_delay_alu instid0(VALU_DEP_1) | instskip(SKIP_1) | instid1(VALU_DEP_2)
	v_mul_f64_e64 v[34:35], -v[4:5], v[32:33]
	v_mul_f64_e32 v[32:33], v[2:3], v[32:33]
	v_fmac_f64_e32 v[34:35], v[2:3], v[30:31]
	s_delay_alu instid0(VALU_DEP_2) | instskip(SKIP_1) | instid1(VALU_DEP_2)
	v_fmac_f64_e32 v[32:33], v[4:5], v[30:31]
	s_wait_loadcnt 0x0
	v_fmac_f64_e32 v[10:11], v[34:35], v[26:27]
	s_delay_alu instid0(VALU_DEP_2) | instskip(NEXT) | instid1(VALU_DEP_2)
	v_fmac_f64_e32 v[12:13], v[32:33], v[26:27]
	v_fma_f64 v[10:11], -v[32:33], v[28:29], v[10:11]
	s_delay_alu instid0(VALU_DEP_2)
	v_fmac_f64_e32 v[12:13], v[34:35], v[28:29]
	s_wait_xcnt 0x0
	s_and_not1_b32 exec_lo, exec_lo, s23
	s_cbranch_execnz .LBB385_9
; %bb.10:                               ;   in Loop: Header=BB385_7 Depth=1
	s_or_b32 exec_lo, exec_lo, s23
.LBB385_11:                             ;   in Loop: Header=BB385_7 Depth=1
	s_delay_alu instid0(SALU_CYCLE_1)
	s_or_b32 exec_lo, exec_lo, s22
	ds_bpermute_b32 v18, v24, v10
	ds_bpermute_b32 v19, v24, v11
	;; [unrolled: 1-line block ×4, first 2 shown]
	s_and_saveexec_b32 s0, vcc_lo
	s_cbranch_execz .LBB385_6
; %bb.12:                               ;   in Loop: Header=BB385_7 Depth=1
	s_wait_dscnt 0x2
	v_add_f64_e32 v[10:11], v[10:11], v[18:19]
	s_wait_dscnt 0x0
	v_add_f64_e32 v[12:13], v[12:13], v[16:17]
	v_lshl_add_u64 v[16:17], v[14:15], 4, s[18:19]
	s_and_saveexec_b32 s22, s2
	s_cbranch_execz .LBB385_5
; %bb.13:                               ;   in Loop: Header=BB385_7 Depth=1
	global_load_b128 v[18:21], v[16:17], off
	s_wait_loadcnt 0x0
	v_fmac_f64_e32 v[10:11], v[6:7], v[18:19]
	v_fmac_f64_e32 v[12:13], v[8:9], v[18:19]
	s_delay_alu instid0(VALU_DEP_2) | instskip(NEXT) | instid1(VALU_DEP_2)
	v_fma_f64 v[10:11], -v[8:9], v[20:21], v[10:11]
	v_fmac_f64_e32 v[12:13], v[6:7], v[20:21]
	s_branch .LBB385_5
.LBB385_14:
	s_endpgm
	.section	.rodata,"a",@progbits
	.p2align	6, 0x0
	.amdhsa_kernel _ZN9rocsparseL21csrmvn_general_kernelILj256ELj2Ell21rocsparse_complex_numIfES1_IdES3_S3_EEvbT2_NS_24const_host_device_scalarIT6_EEPKT1_SA_PKS4_PKT3_PKT4_S7_PT5_21rocsparse_index_base_b
		.amdhsa_group_segment_fixed_size 0
		.amdhsa_private_segment_fixed_size 0
		.amdhsa_kernarg_size 360
		.amdhsa_user_sgpr_count 2
		.amdhsa_user_sgpr_dispatch_ptr 0
		.amdhsa_user_sgpr_queue_ptr 0
		.amdhsa_user_sgpr_kernarg_segment_ptr 1
		.amdhsa_user_sgpr_dispatch_id 0
		.amdhsa_user_sgpr_kernarg_preload_length 0
		.amdhsa_user_sgpr_kernarg_preload_offset 0
		.amdhsa_user_sgpr_private_segment_size 0
		.amdhsa_wavefront_size32 1
		.amdhsa_uses_dynamic_stack 0
		.amdhsa_enable_private_segment 0
		.amdhsa_system_sgpr_workgroup_id_x 1
		.amdhsa_system_sgpr_workgroup_id_y 0
		.amdhsa_system_sgpr_workgroup_id_z 0
		.amdhsa_system_sgpr_workgroup_info 0
		.amdhsa_system_vgpr_workitem_id 0
		.amdhsa_next_free_vgpr 36
		.amdhsa_next_free_sgpr 24
		.amdhsa_named_barrier_count 0
		.amdhsa_reserve_vcc 1
		.amdhsa_float_round_mode_32 0
		.amdhsa_float_round_mode_16_64 0
		.amdhsa_float_denorm_mode_32 3
		.amdhsa_float_denorm_mode_16_64 3
		.amdhsa_fp16_overflow 0
		.amdhsa_memory_ordered 1
		.amdhsa_forward_progress 1
		.amdhsa_inst_pref_size 8
		.amdhsa_round_robin_scheduling 0
		.amdhsa_exception_fp_ieee_invalid_op 0
		.amdhsa_exception_fp_denorm_src 0
		.amdhsa_exception_fp_ieee_div_zero 0
		.amdhsa_exception_fp_ieee_overflow 0
		.amdhsa_exception_fp_ieee_underflow 0
		.amdhsa_exception_fp_ieee_inexact 0
		.amdhsa_exception_int_div_zero 0
	.end_amdhsa_kernel
	.section	.text._ZN9rocsparseL21csrmvn_general_kernelILj256ELj2Ell21rocsparse_complex_numIfES1_IdES3_S3_EEvbT2_NS_24const_host_device_scalarIT6_EEPKT1_SA_PKS4_PKT3_PKT4_S7_PT5_21rocsparse_index_base_b,"axG",@progbits,_ZN9rocsparseL21csrmvn_general_kernelILj256ELj2Ell21rocsparse_complex_numIfES1_IdES3_S3_EEvbT2_NS_24const_host_device_scalarIT6_EEPKT1_SA_PKS4_PKT3_PKT4_S7_PT5_21rocsparse_index_base_b,comdat
.Lfunc_end385:
	.size	_ZN9rocsparseL21csrmvn_general_kernelILj256ELj2Ell21rocsparse_complex_numIfES1_IdES3_S3_EEvbT2_NS_24const_host_device_scalarIT6_EEPKT1_SA_PKS4_PKT3_PKT4_S7_PT5_21rocsparse_index_base_b, .Lfunc_end385-_ZN9rocsparseL21csrmvn_general_kernelILj256ELj2Ell21rocsparse_complex_numIfES1_IdES3_S3_EEvbT2_NS_24const_host_device_scalarIT6_EEPKT1_SA_PKS4_PKT3_PKT4_S7_PT5_21rocsparse_index_base_b
                                        ; -- End function
	.set _ZN9rocsparseL21csrmvn_general_kernelILj256ELj2Ell21rocsparse_complex_numIfES1_IdES3_S3_EEvbT2_NS_24const_host_device_scalarIT6_EEPKT1_SA_PKS4_PKT3_PKT4_S7_PT5_21rocsparse_index_base_b.num_vgpr, 36
	.set _ZN9rocsparseL21csrmvn_general_kernelILj256ELj2Ell21rocsparse_complex_numIfES1_IdES3_S3_EEvbT2_NS_24const_host_device_scalarIT6_EEPKT1_SA_PKS4_PKT3_PKT4_S7_PT5_21rocsparse_index_base_b.num_agpr, 0
	.set _ZN9rocsparseL21csrmvn_general_kernelILj256ELj2Ell21rocsparse_complex_numIfES1_IdES3_S3_EEvbT2_NS_24const_host_device_scalarIT6_EEPKT1_SA_PKS4_PKT3_PKT4_S7_PT5_21rocsparse_index_base_b.numbered_sgpr, 24
	.set _ZN9rocsparseL21csrmvn_general_kernelILj256ELj2Ell21rocsparse_complex_numIfES1_IdES3_S3_EEvbT2_NS_24const_host_device_scalarIT6_EEPKT1_SA_PKS4_PKT3_PKT4_S7_PT5_21rocsparse_index_base_b.num_named_barrier, 0
	.set _ZN9rocsparseL21csrmvn_general_kernelILj256ELj2Ell21rocsparse_complex_numIfES1_IdES3_S3_EEvbT2_NS_24const_host_device_scalarIT6_EEPKT1_SA_PKS4_PKT3_PKT4_S7_PT5_21rocsparse_index_base_b.private_seg_size, 0
	.set _ZN9rocsparseL21csrmvn_general_kernelILj256ELj2Ell21rocsparse_complex_numIfES1_IdES3_S3_EEvbT2_NS_24const_host_device_scalarIT6_EEPKT1_SA_PKS4_PKT3_PKT4_S7_PT5_21rocsparse_index_base_b.uses_vcc, 1
	.set _ZN9rocsparseL21csrmvn_general_kernelILj256ELj2Ell21rocsparse_complex_numIfES1_IdES3_S3_EEvbT2_NS_24const_host_device_scalarIT6_EEPKT1_SA_PKS4_PKT3_PKT4_S7_PT5_21rocsparse_index_base_b.uses_flat_scratch, 0
	.set _ZN9rocsparseL21csrmvn_general_kernelILj256ELj2Ell21rocsparse_complex_numIfES1_IdES3_S3_EEvbT2_NS_24const_host_device_scalarIT6_EEPKT1_SA_PKS4_PKT3_PKT4_S7_PT5_21rocsparse_index_base_b.has_dyn_sized_stack, 0
	.set _ZN9rocsparseL21csrmvn_general_kernelILj256ELj2Ell21rocsparse_complex_numIfES1_IdES3_S3_EEvbT2_NS_24const_host_device_scalarIT6_EEPKT1_SA_PKS4_PKT3_PKT4_S7_PT5_21rocsparse_index_base_b.has_recursion, 0
	.set _ZN9rocsparseL21csrmvn_general_kernelILj256ELj2Ell21rocsparse_complex_numIfES1_IdES3_S3_EEvbT2_NS_24const_host_device_scalarIT6_EEPKT1_SA_PKS4_PKT3_PKT4_S7_PT5_21rocsparse_index_base_b.has_indirect_call, 0
	.section	.AMDGPU.csdata,"",@progbits
; Kernel info:
; codeLenInByte = 916
; TotalNumSgprs: 26
; NumVgprs: 36
; ScratchSize: 0
; MemoryBound: 0
; FloatMode: 240
; IeeeMode: 1
; LDSByteSize: 0 bytes/workgroup (compile time only)
; SGPRBlocks: 0
; VGPRBlocks: 2
; NumSGPRsForWavesPerEU: 26
; NumVGPRsForWavesPerEU: 36
; NamedBarCnt: 0
; Occupancy: 16
; WaveLimiterHint : 1
; COMPUTE_PGM_RSRC2:SCRATCH_EN: 0
; COMPUTE_PGM_RSRC2:USER_SGPR: 2
; COMPUTE_PGM_RSRC2:TRAP_HANDLER: 0
; COMPUTE_PGM_RSRC2:TGID_X_EN: 1
; COMPUTE_PGM_RSRC2:TGID_Y_EN: 0
; COMPUTE_PGM_RSRC2:TGID_Z_EN: 0
; COMPUTE_PGM_RSRC2:TIDIG_COMP_CNT: 0
	.section	.text._ZN9rocsparseL21csrmvn_general_kernelILj256ELj4Ell21rocsparse_complex_numIfES1_IdES3_S3_EEvbT2_NS_24const_host_device_scalarIT6_EEPKT1_SA_PKS4_PKT3_PKT4_S7_PT5_21rocsparse_index_base_b,"axG",@progbits,_ZN9rocsparseL21csrmvn_general_kernelILj256ELj4Ell21rocsparse_complex_numIfES1_IdES3_S3_EEvbT2_NS_24const_host_device_scalarIT6_EEPKT1_SA_PKS4_PKT3_PKT4_S7_PT5_21rocsparse_index_base_b,comdat
	.globl	_ZN9rocsparseL21csrmvn_general_kernelILj256ELj4Ell21rocsparse_complex_numIfES1_IdES3_S3_EEvbT2_NS_24const_host_device_scalarIT6_EEPKT1_SA_PKS4_PKT3_PKT4_S7_PT5_21rocsparse_index_base_b ; -- Begin function _ZN9rocsparseL21csrmvn_general_kernelILj256ELj4Ell21rocsparse_complex_numIfES1_IdES3_S3_EEvbT2_NS_24const_host_device_scalarIT6_EEPKT1_SA_PKS4_PKT3_PKT4_S7_PT5_21rocsparse_index_base_b
	.p2align	8
	.type	_ZN9rocsparseL21csrmvn_general_kernelILj256ELj4Ell21rocsparse_complex_numIfES1_IdES3_S3_EEvbT2_NS_24const_host_device_scalarIT6_EEPKT1_SA_PKS4_PKT3_PKT4_S7_PT5_21rocsparse_index_base_b,@function
_ZN9rocsparseL21csrmvn_general_kernelILj256ELj4Ell21rocsparse_complex_numIfES1_IdES3_S3_EEvbT2_NS_24const_host_device_scalarIT6_EEPKT1_SA_PKS4_PKT3_PKT4_S7_PT5_21rocsparse_index_base_b: ; @_ZN9rocsparseL21csrmvn_general_kernelILj256ELj4Ell21rocsparse_complex_numIfES1_IdES3_S3_EEvbT2_NS_24const_host_device_scalarIT6_EEPKT1_SA_PKS4_PKT3_PKT4_S7_PT5_21rocsparse_index_base_b
; %bb.0:
	s_clause 0x1
	s_load_b64 s[16:17], s[0:1], 0x60
	s_load_b128 s[12:15], s[0:1], 0x8
	v_mov_b32_e32 v1, 0
	s_add_nc_u64 s[2:3], s[0:1], 16
	s_load_b64 s[4:5], s[0:1], 0x48
	s_wait_kmcnt 0x0
	s_bitcmp1_b32 s17, 0
	s_cselect_b32 s3, s3, s15
	s_cselect_b32 s2, s2, s14
	flat_load_b128 v[2:5], v1, s[2:3]
	s_wait_xcnt 0x0
	s_add_nc_u64 s[2:3], s[0:1], 0x48
	s_delay_alu instid0(SALU_CYCLE_1)
	s_cselect_b32 s3, s3, s5
	s_cselect_b32 s2, s2, s4
	flat_load_b128 v[6:9], v1, s[2:3]
	s_wait_loadcnt_dscnt 0x101
	v_cmp_eq_f64_e32 vcc_lo, 0, v[2:3]
	s_wait_xcnt 0x0
	v_cmp_eq_f64_e64 s2, 0, v[4:5]
	s_and_b32 s4, vcc_lo, s2
	s_mov_b32 s2, -1
	s_and_saveexec_b32 s3, s4
	s_cbranch_execz .LBB386_2
; %bb.1:
	s_wait_loadcnt_dscnt 0x0
	v_cmp_neq_f64_e32 vcc_lo, 1.0, v[6:7]
	v_cmp_neq_f64_e64 s2, 0, v[8:9]
	s_or_b32 s2, vcc_lo, s2
	s_delay_alu instid0(SALU_CYCLE_1)
	s_or_not1_b32 s2, s2, exec_lo
.LBB386_2:
	s_or_b32 exec_lo, exec_lo, s3
	s_and_saveexec_b32 s3, s2
	s_cbranch_execz .LBB386_14
; %bb.3:
	s_bfe_u32 s2, ttmp6, 0x4000c
	s_and_b32 s3, ttmp6, 15
	s_add_co_i32 s2, s2, 1
	s_getreg_b32 s4, hwreg(HW_REG_IB_STS2, 6, 4)
	s_mul_i32 s2, ttmp9, s2
	s_mov_b32 s15, 0
	s_add_co_i32 s3, s3, s2
	s_cmp_eq_u32 s4, 0
	v_mov_b32_e32 v15, 0
	s_cselect_b32 s2, ttmp9, s3
	s_delay_alu instid0(SALU_CYCLE_1) | instskip(NEXT) | instid1(VALU_DEP_1)
	v_lshl_or_b32 v1, s2, 8, v0
	v_lshrrev_b32_e32 v14, 2, v1
	s_delay_alu instid0(VALU_DEP_1)
	v_cmp_gt_i64_e32 vcc_lo, s[12:13], v[14:15]
	s_and_b32 exec_lo, exec_lo, vcc_lo
	s_cbranch_execz .LBB386_14
; %bb.4:
	s_wait_loadcnt_dscnt 0x0
	v_cmp_neq_f64_e64 s2, 0, v[6:7]
	v_cmp_neq_f64_e64 s3, 0, v[8:9]
	v_mbcnt_lo_u32_b32 v12, -1, 0
	s_clause 0x4
	s_load_b32 s14, s[0:1], 0x68
	s_load_b32 s23, s[0:1], 0x0
	s_load_b256 s[4:11], s[0:1], 0x20
	s_load_b64 s[18:19], s[0:1], 0x58
	s_load_b64 s[20:21], s[0:1], 0x40
	v_dual_mov_b32 v11, v15 :: v_dual_bitop2_b32 v10, 3, v0 bitop3:0x40
	v_xor_b32_e32 v13, 2, v12
	s_mov_b32 s17, s15
	s_mov_b32 s22, s16
	s_delay_alu instid0(VALU_DEP_2) | instskip(SKIP_3) | instid1(VALU_DEP_1)
	v_cmp_eq_u32_e32 vcc_lo, 3, v10
	v_sub_nc_u64_e64 v[0:1], v[10:11], s[16:17]
	s_wait_xcnt 0x0
	v_cmp_gt_i32_e64 s0, 32, v13
	v_dual_cndmask_b32 v10, v12, v13, s0 :: v_dual_bitop2_b32 v16, 1, v12 bitop3:0x14
	s_delay_alu instid0(VALU_DEP_1)
	v_cmp_gt_i32_e64 s0, 32, v16
	s_wait_kmcnt 0x0
	s_lshl_b32 s14, s14, 6
	s_bitcmp1_b32 s23, 0
	v_cndmask_b32_e64 v11, v12, v16, s0
	s_cselect_b32 s1, -1, 0
	s_ashr_i32 s23, s16, 31
	v_lshlrev_b32_e32 v24, 2, v10
	s_lshl_b64 s[22:23], s[22:23], 4
	v_lshlrev_b32_e32 v25, 2, v11
	s_add_nc_u64 s[10:11], s[10:11], 4
	s_sub_nc_u64 s[20:21], s[20:21], s[22:23]
	s_or_b32 s2, s2, s3
	s_mov_b32 s3, s15
	s_branch .LBB386_7
.LBB386_5:                              ;   in Loop: Header=BB386_7 Depth=1
	s_wait_xcnt 0x0
	s_or_b32 exec_lo, exec_lo, s22
	global_store_b128 v[16:17], v[10:13], off
.LBB386_6:                              ;   in Loop: Header=BB386_7 Depth=1
	s_wait_xcnt 0x0
	s_or_b32 exec_lo, exec_lo, s0
	v_add_nc_u64_e32 v[14:15], s[14:15], v[14:15]
	s_delay_alu instid0(VALU_DEP_1) | instskip(SKIP_1) | instid1(SALU_CYCLE_1)
	v_cmp_le_i64_e64 s0, s[12:13], v[14:15]
	s_or_b32 s3, s0, s3
	s_and_not1_b32 exec_lo, exec_lo, s3
	s_cbranch_execz .LBB386_14
.LBB386_7:                              ; =>This Loop Header: Depth=1
                                        ;     Child Loop BB386_9 Depth 2
	s_wait_dscnt 0x2
	v_lshlrev_b64_e32 v[10:11], 3, v[14:15]
	s_mov_b32 s22, exec_lo
	s_delay_alu instid0(VALU_DEP_1)
	v_add_nc_u64_e32 v[12:13], s[6:7], v[10:11]
	v_add_nc_u64_e32 v[10:11], s[4:5], v[10:11]
	global_load_b64 v[16:17], v[12:13], off
	s_wait_dscnt 0x0
	global_load_b64 v[18:19], v[10:11], off
	s_wait_xcnt 0x0
	v_mov_b64_e32 v[10:11], 0
	v_mov_b64_e32 v[12:13], 0
	s_wait_loadcnt 0x1
	v_sub_nc_u64_e64 v[16:17], v[16:17], s[16:17]
	s_wait_loadcnt 0x0
	v_add_nc_u64_e32 v[18:19], v[18:19], v[0:1]
	s_delay_alu instid0(VALU_DEP_1)
	v_cmpx_lt_i64_e64 v[18:19], v[16:17]
	s_cbranch_execz .LBB386_11
; %bb.8:                                ;   in Loop: Header=BB386_7 Depth=1
	v_lshlrev_b64_e32 v[12:13], 3, v[18:19]
	v_mov_b64_e32 v[10:11], 0
	s_mov_b32 s23, 0
	s_delay_alu instid0(VALU_DEP_2)
	v_add_nc_u64_e32 v[20:21], s[10:11], v[12:13]
	v_add_nc_u64_e32 v[22:23], s[8:9], v[12:13]
	v_mov_b64_e32 v[12:13], 0
.LBB386_9:                              ;   Parent Loop BB386_7 Depth=1
                                        ; =>  This Inner Loop Header: Depth=2
	global_load_b64 v[26:27], v[22:23], off
	global_load_b64 v[30:31], v[20:21], off offset:-4
	v_add_nc_u64_e32 v[18:19], 4, v[18:19]
	s_wait_xcnt 0x0
	v_add_nc_u64_e32 v[20:21], 32, v[20:21]
	v_add_nc_u64_e32 v[22:23], 32, v[22:23]
	s_delay_alu instid0(VALU_DEP_3)
	v_cmp_ge_i64_e64 s0, v[18:19], v[16:17]
	s_or_b32 s23, s0, s23
	s_wait_loadcnt 0x1
	v_lshl_add_u64 v[26:27], v[26:27], 4, s[20:21]
	s_wait_loadcnt 0x0
	v_cndmask_b32_e64 v31, v31, -v31, s1
	global_load_b128 v[26:29], v[26:27], off
	v_cvt_f64_f32_e32 v[32:33], v31
	v_cvt_f64_f32_e32 v[30:31], v30
	s_delay_alu instid0(VALU_DEP_2) | instskip(SKIP_1) | instid1(VALU_DEP_2)
	v_mul_f64_e64 v[34:35], -v[4:5], v[32:33]
	v_mul_f64_e32 v[32:33], v[2:3], v[32:33]
	v_fmac_f64_e32 v[34:35], v[2:3], v[30:31]
	s_delay_alu instid0(VALU_DEP_2) | instskip(SKIP_1) | instid1(VALU_DEP_2)
	v_fmac_f64_e32 v[32:33], v[4:5], v[30:31]
	s_wait_loadcnt 0x0
	v_fmac_f64_e32 v[12:13], v[34:35], v[26:27]
	s_delay_alu instid0(VALU_DEP_2) | instskip(NEXT) | instid1(VALU_DEP_2)
	v_fmac_f64_e32 v[10:11], v[32:33], v[26:27]
	v_fma_f64 v[12:13], -v[32:33], v[28:29], v[12:13]
	s_delay_alu instid0(VALU_DEP_2)
	v_fmac_f64_e32 v[10:11], v[34:35], v[28:29]
	s_wait_xcnt 0x0
	s_and_not1_b32 exec_lo, exec_lo, s23
	s_cbranch_execnz .LBB386_9
; %bb.10:                               ;   in Loop: Header=BB386_7 Depth=1
	s_or_b32 exec_lo, exec_lo, s23
.LBB386_11:                             ;   in Loop: Header=BB386_7 Depth=1
	s_delay_alu instid0(SALU_CYCLE_1)
	s_or_b32 exec_lo, exec_lo, s22
	ds_bpermute_b32 v16, v24, v12
	ds_bpermute_b32 v17, v24, v13
	;; [unrolled: 1-line block ×4, first 2 shown]
	s_wait_dscnt 0x2
	v_add_f64_e32 v[12:13], v[12:13], v[16:17]
	s_wait_dscnt 0x0
	v_add_f64_e32 v[16:17], v[10:11], v[18:19]
	ds_bpermute_b32 v10, v25, v12
	ds_bpermute_b32 v11, v25, v13
	;; [unrolled: 1-line block ×4, first 2 shown]
	s_and_saveexec_b32 s0, vcc_lo
	s_cbranch_execz .LBB386_6
; %bb.12:                               ;   in Loop: Header=BB386_7 Depth=1
	s_wait_dscnt 0x2
	v_add_f64_e32 v[10:11], v[12:13], v[10:11]
	s_wait_dscnt 0x0
	v_add_f64_e32 v[12:13], v[16:17], v[18:19]
	v_lshl_add_u64 v[16:17], v[14:15], 4, s[18:19]
	s_and_saveexec_b32 s22, s2
	s_cbranch_execz .LBB386_5
; %bb.13:                               ;   in Loop: Header=BB386_7 Depth=1
	global_load_b128 v[18:21], v[16:17], off
	s_wait_loadcnt 0x0
	v_fmac_f64_e32 v[10:11], v[6:7], v[18:19]
	v_fmac_f64_e32 v[12:13], v[8:9], v[18:19]
	s_delay_alu instid0(VALU_DEP_2) | instskip(NEXT) | instid1(VALU_DEP_2)
	v_fma_f64 v[10:11], -v[8:9], v[20:21], v[10:11]
	v_fmac_f64_e32 v[12:13], v[6:7], v[20:21]
	s_branch .LBB386_5
.LBB386_14:
	s_endpgm
	.section	.rodata,"a",@progbits
	.p2align	6, 0x0
	.amdhsa_kernel _ZN9rocsparseL21csrmvn_general_kernelILj256ELj4Ell21rocsparse_complex_numIfES1_IdES3_S3_EEvbT2_NS_24const_host_device_scalarIT6_EEPKT1_SA_PKS4_PKT3_PKT4_S7_PT5_21rocsparse_index_base_b
		.amdhsa_group_segment_fixed_size 0
		.amdhsa_private_segment_fixed_size 0
		.amdhsa_kernarg_size 360
		.amdhsa_user_sgpr_count 2
		.amdhsa_user_sgpr_dispatch_ptr 0
		.amdhsa_user_sgpr_queue_ptr 0
		.amdhsa_user_sgpr_kernarg_segment_ptr 1
		.amdhsa_user_sgpr_dispatch_id 0
		.amdhsa_user_sgpr_kernarg_preload_length 0
		.amdhsa_user_sgpr_kernarg_preload_offset 0
		.amdhsa_user_sgpr_private_segment_size 0
		.amdhsa_wavefront_size32 1
		.amdhsa_uses_dynamic_stack 0
		.amdhsa_enable_private_segment 0
		.amdhsa_system_sgpr_workgroup_id_x 1
		.amdhsa_system_sgpr_workgroup_id_y 0
		.amdhsa_system_sgpr_workgroup_id_z 0
		.amdhsa_system_sgpr_workgroup_info 0
		.amdhsa_system_vgpr_workitem_id 0
		.amdhsa_next_free_vgpr 36
		.amdhsa_next_free_sgpr 24
		.amdhsa_named_barrier_count 0
		.amdhsa_reserve_vcc 1
		.amdhsa_float_round_mode_32 0
		.amdhsa_float_round_mode_16_64 0
		.amdhsa_float_denorm_mode_32 3
		.amdhsa_float_denorm_mode_16_64 3
		.amdhsa_fp16_overflow 0
		.amdhsa_memory_ordered 1
		.amdhsa_forward_progress 1
		.amdhsa_inst_pref_size 8
		.amdhsa_round_robin_scheduling 0
		.amdhsa_exception_fp_ieee_invalid_op 0
		.amdhsa_exception_fp_denorm_src 0
		.amdhsa_exception_fp_ieee_div_zero 0
		.amdhsa_exception_fp_ieee_overflow 0
		.amdhsa_exception_fp_ieee_underflow 0
		.amdhsa_exception_fp_ieee_inexact 0
		.amdhsa_exception_int_div_zero 0
	.end_amdhsa_kernel
	.section	.text._ZN9rocsparseL21csrmvn_general_kernelILj256ELj4Ell21rocsparse_complex_numIfES1_IdES3_S3_EEvbT2_NS_24const_host_device_scalarIT6_EEPKT1_SA_PKS4_PKT3_PKT4_S7_PT5_21rocsparse_index_base_b,"axG",@progbits,_ZN9rocsparseL21csrmvn_general_kernelILj256ELj4Ell21rocsparse_complex_numIfES1_IdES3_S3_EEvbT2_NS_24const_host_device_scalarIT6_EEPKT1_SA_PKS4_PKT3_PKT4_S7_PT5_21rocsparse_index_base_b,comdat
.Lfunc_end386:
	.size	_ZN9rocsparseL21csrmvn_general_kernelILj256ELj4Ell21rocsparse_complex_numIfES1_IdES3_S3_EEvbT2_NS_24const_host_device_scalarIT6_EEPKT1_SA_PKS4_PKT3_PKT4_S7_PT5_21rocsparse_index_base_b, .Lfunc_end386-_ZN9rocsparseL21csrmvn_general_kernelILj256ELj4Ell21rocsparse_complex_numIfES1_IdES3_S3_EEvbT2_NS_24const_host_device_scalarIT6_EEPKT1_SA_PKS4_PKT3_PKT4_S7_PT5_21rocsparse_index_base_b
                                        ; -- End function
	.set _ZN9rocsparseL21csrmvn_general_kernelILj256ELj4Ell21rocsparse_complex_numIfES1_IdES3_S3_EEvbT2_NS_24const_host_device_scalarIT6_EEPKT1_SA_PKS4_PKT3_PKT4_S7_PT5_21rocsparse_index_base_b.num_vgpr, 36
	.set _ZN9rocsparseL21csrmvn_general_kernelILj256ELj4Ell21rocsparse_complex_numIfES1_IdES3_S3_EEvbT2_NS_24const_host_device_scalarIT6_EEPKT1_SA_PKS4_PKT3_PKT4_S7_PT5_21rocsparse_index_base_b.num_agpr, 0
	.set _ZN9rocsparseL21csrmvn_general_kernelILj256ELj4Ell21rocsparse_complex_numIfES1_IdES3_S3_EEvbT2_NS_24const_host_device_scalarIT6_EEPKT1_SA_PKS4_PKT3_PKT4_S7_PT5_21rocsparse_index_base_b.numbered_sgpr, 24
	.set _ZN9rocsparseL21csrmvn_general_kernelILj256ELj4Ell21rocsparse_complex_numIfES1_IdES3_S3_EEvbT2_NS_24const_host_device_scalarIT6_EEPKT1_SA_PKS4_PKT3_PKT4_S7_PT5_21rocsparse_index_base_b.num_named_barrier, 0
	.set _ZN9rocsparseL21csrmvn_general_kernelILj256ELj4Ell21rocsparse_complex_numIfES1_IdES3_S3_EEvbT2_NS_24const_host_device_scalarIT6_EEPKT1_SA_PKS4_PKT3_PKT4_S7_PT5_21rocsparse_index_base_b.private_seg_size, 0
	.set _ZN9rocsparseL21csrmvn_general_kernelILj256ELj4Ell21rocsparse_complex_numIfES1_IdES3_S3_EEvbT2_NS_24const_host_device_scalarIT6_EEPKT1_SA_PKS4_PKT3_PKT4_S7_PT5_21rocsparse_index_base_b.uses_vcc, 1
	.set _ZN9rocsparseL21csrmvn_general_kernelILj256ELj4Ell21rocsparse_complex_numIfES1_IdES3_S3_EEvbT2_NS_24const_host_device_scalarIT6_EEPKT1_SA_PKS4_PKT3_PKT4_S7_PT5_21rocsparse_index_base_b.uses_flat_scratch, 0
	.set _ZN9rocsparseL21csrmvn_general_kernelILj256ELj4Ell21rocsparse_complex_numIfES1_IdES3_S3_EEvbT2_NS_24const_host_device_scalarIT6_EEPKT1_SA_PKS4_PKT3_PKT4_S7_PT5_21rocsparse_index_base_b.has_dyn_sized_stack, 0
	.set _ZN9rocsparseL21csrmvn_general_kernelILj256ELj4Ell21rocsparse_complex_numIfES1_IdES3_S3_EEvbT2_NS_24const_host_device_scalarIT6_EEPKT1_SA_PKS4_PKT3_PKT4_S7_PT5_21rocsparse_index_base_b.has_recursion, 0
	.set _ZN9rocsparseL21csrmvn_general_kernelILj256ELj4Ell21rocsparse_complex_numIfES1_IdES3_S3_EEvbT2_NS_24const_host_device_scalarIT6_EEPKT1_SA_PKS4_PKT3_PKT4_S7_PT5_21rocsparse_index_base_b.has_indirect_call, 0
	.section	.AMDGPU.csdata,"",@progbits
; Kernel info:
; codeLenInByte = 996
; TotalNumSgprs: 26
; NumVgprs: 36
; ScratchSize: 0
; MemoryBound: 0
; FloatMode: 240
; IeeeMode: 1
; LDSByteSize: 0 bytes/workgroup (compile time only)
; SGPRBlocks: 0
; VGPRBlocks: 2
; NumSGPRsForWavesPerEU: 26
; NumVGPRsForWavesPerEU: 36
; NamedBarCnt: 0
; Occupancy: 16
; WaveLimiterHint : 1
; COMPUTE_PGM_RSRC2:SCRATCH_EN: 0
; COMPUTE_PGM_RSRC2:USER_SGPR: 2
; COMPUTE_PGM_RSRC2:TRAP_HANDLER: 0
; COMPUTE_PGM_RSRC2:TGID_X_EN: 1
; COMPUTE_PGM_RSRC2:TGID_Y_EN: 0
; COMPUTE_PGM_RSRC2:TGID_Z_EN: 0
; COMPUTE_PGM_RSRC2:TIDIG_COMP_CNT: 0
	.section	.text._ZN9rocsparseL21csrmvn_general_kernelILj256ELj8Ell21rocsparse_complex_numIfES1_IdES3_S3_EEvbT2_NS_24const_host_device_scalarIT6_EEPKT1_SA_PKS4_PKT3_PKT4_S7_PT5_21rocsparse_index_base_b,"axG",@progbits,_ZN9rocsparseL21csrmvn_general_kernelILj256ELj8Ell21rocsparse_complex_numIfES1_IdES3_S3_EEvbT2_NS_24const_host_device_scalarIT6_EEPKT1_SA_PKS4_PKT3_PKT4_S7_PT5_21rocsparse_index_base_b,comdat
	.globl	_ZN9rocsparseL21csrmvn_general_kernelILj256ELj8Ell21rocsparse_complex_numIfES1_IdES3_S3_EEvbT2_NS_24const_host_device_scalarIT6_EEPKT1_SA_PKS4_PKT3_PKT4_S7_PT5_21rocsparse_index_base_b ; -- Begin function _ZN9rocsparseL21csrmvn_general_kernelILj256ELj8Ell21rocsparse_complex_numIfES1_IdES3_S3_EEvbT2_NS_24const_host_device_scalarIT6_EEPKT1_SA_PKS4_PKT3_PKT4_S7_PT5_21rocsparse_index_base_b
	.p2align	8
	.type	_ZN9rocsparseL21csrmvn_general_kernelILj256ELj8Ell21rocsparse_complex_numIfES1_IdES3_S3_EEvbT2_NS_24const_host_device_scalarIT6_EEPKT1_SA_PKS4_PKT3_PKT4_S7_PT5_21rocsparse_index_base_b,@function
_ZN9rocsparseL21csrmvn_general_kernelILj256ELj8Ell21rocsparse_complex_numIfES1_IdES3_S3_EEvbT2_NS_24const_host_device_scalarIT6_EEPKT1_SA_PKS4_PKT3_PKT4_S7_PT5_21rocsparse_index_base_b: ; @_ZN9rocsparseL21csrmvn_general_kernelILj256ELj8Ell21rocsparse_complex_numIfES1_IdES3_S3_EEvbT2_NS_24const_host_device_scalarIT6_EEPKT1_SA_PKS4_PKT3_PKT4_S7_PT5_21rocsparse_index_base_b
; %bb.0:
	s_clause 0x1
	s_load_b64 s[16:17], s[0:1], 0x60
	s_load_b128 s[12:15], s[0:1], 0x8
	v_mov_b32_e32 v1, 0
	s_add_nc_u64 s[2:3], s[0:1], 16
	s_load_b64 s[4:5], s[0:1], 0x48
	s_wait_kmcnt 0x0
	s_bitcmp1_b32 s17, 0
	s_cselect_b32 s3, s3, s15
	s_cselect_b32 s2, s2, s14
	flat_load_b128 v[2:5], v1, s[2:3]
	s_wait_xcnt 0x0
	s_add_nc_u64 s[2:3], s[0:1], 0x48
	s_delay_alu instid0(SALU_CYCLE_1)
	s_cselect_b32 s3, s3, s5
	s_cselect_b32 s2, s2, s4
	flat_load_b128 v[6:9], v1, s[2:3]
	s_wait_loadcnt_dscnt 0x101
	v_cmp_eq_f64_e32 vcc_lo, 0, v[2:3]
	s_wait_xcnt 0x0
	v_cmp_eq_f64_e64 s2, 0, v[4:5]
	s_and_b32 s4, vcc_lo, s2
	s_mov_b32 s2, -1
	s_and_saveexec_b32 s3, s4
	s_cbranch_execz .LBB387_2
; %bb.1:
	s_wait_loadcnt_dscnt 0x0
	v_cmp_neq_f64_e32 vcc_lo, 1.0, v[6:7]
	v_cmp_neq_f64_e64 s2, 0, v[8:9]
	s_or_b32 s2, vcc_lo, s2
	s_delay_alu instid0(SALU_CYCLE_1)
	s_or_not1_b32 s2, s2, exec_lo
.LBB387_2:
	s_or_b32 exec_lo, exec_lo, s3
	s_and_saveexec_b32 s3, s2
	s_cbranch_execz .LBB387_14
; %bb.3:
	s_bfe_u32 s2, ttmp6, 0x4000c
	s_and_b32 s3, ttmp6, 15
	s_add_co_i32 s2, s2, 1
	s_getreg_b32 s4, hwreg(HW_REG_IB_STS2, 6, 4)
	s_mul_i32 s2, ttmp9, s2
	s_mov_b32 s15, 0
	s_add_co_i32 s3, s3, s2
	s_cmp_eq_u32 s4, 0
	v_mov_b32_e32 v15, 0
	s_cselect_b32 s2, ttmp9, s3
	s_delay_alu instid0(SALU_CYCLE_1) | instskip(NEXT) | instid1(VALU_DEP_1)
	v_lshl_or_b32 v1, s2, 8, v0
	v_lshrrev_b32_e32 v14, 3, v1
	s_delay_alu instid0(VALU_DEP_1)
	v_cmp_gt_i64_e32 vcc_lo, s[12:13], v[14:15]
	s_and_b32 exec_lo, exec_lo, vcc_lo
	s_cbranch_execz .LBB387_14
; %bb.4:
	v_dual_mov_b32 v11, v15 :: v_dual_bitop2_b32 v10, 7, v0 bitop3:0x40
	v_mbcnt_lo_u32_b32 v12, -1, 0
	s_wait_loadcnt_dscnt 0x0
	v_cmp_neq_f64_e64 s2, 0, v[6:7]
	v_cmp_neq_f64_e64 s3, 0, v[8:9]
	s_mov_b32 s17, s15
	s_clause 0x2
	s_load_b256 s[4:11], s[0:1], 0x20
	s_load_b32 s14, s[0:1], 0x68
	s_load_b32 s23, s[0:1], 0x0
	v_sub_nc_u64_e64 v[0:1], v[10:11], s[16:17]
	v_xor_b32_e32 v11, 2, v12
	v_xor_b32_e32 v13, 4, v12
	s_clause 0x1
	s_load_b64 s[18:19], s[0:1], 0x58
	s_load_b64 s[20:21], s[0:1], 0x40
	v_cmp_eq_u32_e32 vcc_lo, 7, v10
	s_mov_b32 s22, s16
	s_wait_xcnt 0x0
	v_cmp_gt_i32_e64 s0, 32, v13
	s_delay_alu instid0(VALU_DEP_1) | instskip(SKIP_1) | instid1(VALU_DEP_2)
	v_dual_cndmask_b32 v10, v12, v13, s0 :: v_dual_bitop2_b32 v16, 1, v12 bitop3:0x14
	v_cmp_gt_i32_e64 s0, 32, v11
	v_lshlrev_b32_e32 v24, 2, v10
	s_wait_kmcnt 0x0
	s_lshl_b32 s14, s14, 5
	v_cndmask_b32_e64 v11, v12, v11, s0
	v_cmp_gt_i32_e64 s0, 32, v16
	s_bitcmp1_b32 s23, 0
	s_cselect_b32 s1, -1, 0
	s_ashr_i32 s23, s16, 31
	v_dual_cndmask_b32 v12, v12, v16, s0 :: v_dual_lshlrev_b32 v25, 2, v11
	s_lshl_b64 s[22:23], s[22:23], 4
	s_delay_alu instid0(SALU_CYCLE_1) | instskip(NEXT) | instid1(VALU_DEP_1)
	s_sub_nc_u64 s[20:21], s[20:21], s[22:23]
	v_lshlrev_b32_e32 v26, 2, v12
	s_or_b32 s22, s2, s3
	s_add_nc_u64 s[2:3], s[10:11], 4
	s_mov_b32 s10, s15
	s_branch .LBB387_7
.LBB387_5:                              ;   in Loop: Header=BB387_7 Depth=1
	s_wait_xcnt 0x0
	s_or_b32 exec_lo, exec_lo, s11
	global_store_b128 v[16:17], v[10:13], off
.LBB387_6:                              ;   in Loop: Header=BB387_7 Depth=1
	s_wait_xcnt 0x0
	s_or_b32 exec_lo, exec_lo, s0
	v_add_nc_u64_e32 v[14:15], s[14:15], v[14:15]
	s_delay_alu instid0(VALU_DEP_1) | instskip(SKIP_1) | instid1(SALU_CYCLE_1)
	v_cmp_le_i64_e64 s0, s[12:13], v[14:15]
	s_or_b32 s10, s0, s10
	s_and_not1_b32 exec_lo, exec_lo, s10
	s_cbranch_execz .LBB387_14
.LBB387_7:                              ; =>This Loop Header: Depth=1
                                        ;     Child Loop BB387_9 Depth 2
	v_lshlrev_b64_e32 v[10:11], 3, v[14:15]
	s_mov_b32 s11, exec_lo
	s_delay_alu instid0(VALU_DEP_1)
	v_add_nc_u64_e32 v[12:13], s[6:7], v[10:11]
	v_add_nc_u64_e32 v[10:11], s[4:5], v[10:11]
	s_wait_dscnt 0x0
	global_load_b64 v[16:17], v[12:13], off
	global_load_b64 v[18:19], v[10:11], off
	s_wait_xcnt 0x0
	v_mov_b64_e32 v[10:11], 0
	v_mov_b64_e32 v[12:13], 0
	s_wait_loadcnt 0x1
	v_sub_nc_u64_e64 v[16:17], v[16:17], s[16:17]
	s_wait_loadcnt 0x0
	v_add_nc_u64_e32 v[18:19], v[18:19], v[0:1]
	s_delay_alu instid0(VALU_DEP_1)
	v_cmpx_lt_i64_e64 v[18:19], v[16:17]
	s_cbranch_execz .LBB387_11
; %bb.8:                                ;   in Loop: Header=BB387_7 Depth=1
	v_lshlrev_b64_e32 v[12:13], 3, v[18:19]
	v_mov_b64_e32 v[10:11], 0
	s_mov_b32 s23, 0
	s_delay_alu instid0(VALU_DEP_2)
	v_add_nc_u64_e32 v[20:21], s[2:3], v[12:13]
	v_add_nc_u64_e32 v[22:23], s[8:9], v[12:13]
	v_mov_b64_e32 v[12:13], 0
.LBB387_9:                              ;   Parent Loop BB387_7 Depth=1
                                        ; =>  This Inner Loop Header: Depth=2
	global_load_b64 v[28:29], v[22:23], off
	global_load_b64 v[32:33], v[20:21], off offset:-4
	v_add_nc_u64_e32 v[18:19], 8, v[18:19]
	s_wait_xcnt 0x0
	v_add_nc_u64_e32 v[20:21], 64, v[20:21]
	v_add_nc_u64_e32 v[22:23], 64, v[22:23]
	s_delay_alu instid0(VALU_DEP_3)
	v_cmp_ge_i64_e64 s0, v[18:19], v[16:17]
	s_or_b32 s23, s0, s23
	s_wait_loadcnt 0x1
	v_lshl_add_u64 v[28:29], v[28:29], 4, s[20:21]
	s_wait_loadcnt 0x0
	v_cndmask_b32_e64 v27, v33, -v33, s1
	v_cvt_f64_f32_e32 v[32:33], v32
	global_load_b128 v[28:31], v[28:29], off
	v_cvt_f64_f32_e32 v[34:35], v27
	s_delay_alu instid0(VALU_DEP_1) | instskip(SKIP_1) | instid1(VALU_DEP_2)
	v_mul_f64_e64 v[36:37], -v[4:5], v[34:35]
	v_mul_f64_e32 v[34:35], v[2:3], v[34:35]
	v_fmac_f64_e32 v[36:37], v[2:3], v[32:33]
	s_delay_alu instid0(VALU_DEP_2) | instskip(SKIP_1) | instid1(VALU_DEP_2)
	v_fmac_f64_e32 v[34:35], v[4:5], v[32:33]
	s_wait_loadcnt 0x0
	v_fmac_f64_e32 v[12:13], v[36:37], v[28:29]
	s_delay_alu instid0(VALU_DEP_2) | instskip(NEXT) | instid1(VALU_DEP_2)
	v_fmac_f64_e32 v[10:11], v[34:35], v[28:29]
	v_fma_f64 v[12:13], -v[34:35], v[30:31], v[12:13]
	s_delay_alu instid0(VALU_DEP_2)
	v_fmac_f64_e32 v[10:11], v[36:37], v[30:31]
	s_wait_xcnt 0x0
	s_and_not1_b32 exec_lo, exec_lo, s23
	s_cbranch_execnz .LBB387_9
; %bb.10:                               ;   in Loop: Header=BB387_7 Depth=1
	s_or_b32 exec_lo, exec_lo, s23
.LBB387_11:                             ;   in Loop: Header=BB387_7 Depth=1
	s_delay_alu instid0(SALU_CYCLE_1)
	s_or_b32 exec_lo, exec_lo, s11
	ds_bpermute_b32 v16, v24, v12
	ds_bpermute_b32 v17, v24, v13
	;; [unrolled: 1-line block ×4, first 2 shown]
	s_wait_dscnt 0x2
	v_add_f64_e32 v[12:13], v[12:13], v[16:17]
	s_wait_dscnt 0x0
	v_add_f64_e32 v[16:17], v[10:11], v[18:19]
	ds_bpermute_b32 v10, v25, v12
	ds_bpermute_b32 v11, v25, v13
	ds_bpermute_b32 v18, v25, v16
	ds_bpermute_b32 v19, v25, v17
	s_wait_dscnt 0x2
	v_add_f64_e32 v[10:11], v[12:13], v[10:11]
	s_wait_dscnt 0x0
	v_add_f64_e32 v[12:13], v[16:17], v[18:19]
	ds_bpermute_b32 v18, v26, v10
	ds_bpermute_b32 v19, v26, v11
	ds_bpermute_b32 v16, v26, v12
	ds_bpermute_b32 v17, v26, v13
	s_and_saveexec_b32 s0, vcc_lo
	s_cbranch_execz .LBB387_6
; %bb.12:                               ;   in Loop: Header=BB387_7 Depth=1
	s_wait_dscnt 0x2
	v_add_f64_e32 v[10:11], v[10:11], v[18:19]
	s_wait_dscnt 0x0
	v_add_f64_e32 v[12:13], v[12:13], v[16:17]
	v_lshl_add_u64 v[16:17], v[14:15], 4, s[18:19]
	s_and_saveexec_b32 s11, s22
	s_cbranch_execz .LBB387_5
; %bb.13:                               ;   in Loop: Header=BB387_7 Depth=1
	global_load_b128 v[18:21], v[16:17], off
	s_wait_loadcnt 0x0
	v_fmac_f64_e32 v[10:11], v[6:7], v[18:19]
	v_fmac_f64_e32 v[12:13], v[8:9], v[18:19]
	s_delay_alu instid0(VALU_DEP_2) | instskip(NEXT) | instid1(VALU_DEP_2)
	v_fma_f64 v[10:11], -v[8:9], v[20:21], v[10:11]
	v_fmac_f64_e32 v[12:13], v[6:7], v[20:21]
	s_branch .LBB387_5
.LBB387_14:
	s_endpgm
	.section	.rodata,"a",@progbits
	.p2align	6, 0x0
	.amdhsa_kernel _ZN9rocsparseL21csrmvn_general_kernelILj256ELj8Ell21rocsparse_complex_numIfES1_IdES3_S3_EEvbT2_NS_24const_host_device_scalarIT6_EEPKT1_SA_PKS4_PKT3_PKT4_S7_PT5_21rocsparse_index_base_b
		.amdhsa_group_segment_fixed_size 0
		.amdhsa_private_segment_fixed_size 0
		.amdhsa_kernarg_size 360
		.amdhsa_user_sgpr_count 2
		.amdhsa_user_sgpr_dispatch_ptr 0
		.amdhsa_user_sgpr_queue_ptr 0
		.amdhsa_user_sgpr_kernarg_segment_ptr 1
		.amdhsa_user_sgpr_dispatch_id 0
		.amdhsa_user_sgpr_kernarg_preload_length 0
		.amdhsa_user_sgpr_kernarg_preload_offset 0
		.amdhsa_user_sgpr_private_segment_size 0
		.amdhsa_wavefront_size32 1
		.amdhsa_uses_dynamic_stack 0
		.amdhsa_enable_private_segment 0
		.amdhsa_system_sgpr_workgroup_id_x 1
		.amdhsa_system_sgpr_workgroup_id_y 0
		.amdhsa_system_sgpr_workgroup_id_z 0
		.amdhsa_system_sgpr_workgroup_info 0
		.amdhsa_system_vgpr_workitem_id 0
		.amdhsa_next_free_vgpr 38
		.amdhsa_next_free_sgpr 24
		.amdhsa_named_barrier_count 0
		.amdhsa_reserve_vcc 1
		.amdhsa_float_round_mode_32 0
		.amdhsa_float_round_mode_16_64 0
		.amdhsa_float_denorm_mode_32 3
		.amdhsa_float_denorm_mode_16_64 3
		.amdhsa_fp16_overflow 0
		.amdhsa_memory_ordered 1
		.amdhsa_forward_progress 1
		.amdhsa_inst_pref_size 9
		.amdhsa_round_robin_scheduling 0
		.amdhsa_exception_fp_ieee_invalid_op 0
		.amdhsa_exception_fp_denorm_src 0
		.amdhsa_exception_fp_ieee_div_zero 0
		.amdhsa_exception_fp_ieee_overflow 0
		.amdhsa_exception_fp_ieee_underflow 0
		.amdhsa_exception_fp_ieee_inexact 0
		.amdhsa_exception_int_div_zero 0
	.end_amdhsa_kernel
	.section	.text._ZN9rocsparseL21csrmvn_general_kernelILj256ELj8Ell21rocsparse_complex_numIfES1_IdES3_S3_EEvbT2_NS_24const_host_device_scalarIT6_EEPKT1_SA_PKS4_PKT3_PKT4_S7_PT5_21rocsparse_index_base_b,"axG",@progbits,_ZN9rocsparseL21csrmvn_general_kernelILj256ELj8Ell21rocsparse_complex_numIfES1_IdES3_S3_EEvbT2_NS_24const_host_device_scalarIT6_EEPKT1_SA_PKS4_PKT3_PKT4_S7_PT5_21rocsparse_index_base_b,comdat
.Lfunc_end387:
	.size	_ZN9rocsparseL21csrmvn_general_kernelILj256ELj8Ell21rocsparse_complex_numIfES1_IdES3_S3_EEvbT2_NS_24const_host_device_scalarIT6_EEPKT1_SA_PKS4_PKT3_PKT4_S7_PT5_21rocsparse_index_base_b, .Lfunc_end387-_ZN9rocsparseL21csrmvn_general_kernelILj256ELj8Ell21rocsparse_complex_numIfES1_IdES3_S3_EEvbT2_NS_24const_host_device_scalarIT6_EEPKT1_SA_PKS4_PKT3_PKT4_S7_PT5_21rocsparse_index_base_b
                                        ; -- End function
	.set _ZN9rocsparseL21csrmvn_general_kernelILj256ELj8Ell21rocsparse_complex_numIfES1_IdES3_S3_EEvbT2_NS_24const_host_device_scalarIT6_EEPKT1_SA_PKS4_PKT3_PKT4_S7_PT5_21rocsparse_index_base_b.num_vgpr, 38
	.set _ZN9rocsparseL21csrmvn_general_kernelILj256ELj8Ell21rocsparse_complex_numIfES1_IdES3_S3_EEvbT2_NS_24const_host_device_scalarIT6_EEPKT1_SA_PKS4_PKT3_PKT4_S7_PT5_21rocsparse_index_base_b.num_agpr, 0
	.set _ZN9rocsparseL21csrmvn_general_kernelILj256ELj8Ell21rocsparse_complex_numIfES1_IdES3_S3_EEvbT2_NS_24const_host_device_scalarIT6_EEPKT1_SA_PKS4_PKT3_PKT4_S7_PT5_21rocsparse_index_base_b.numbered_sgpr, 24
	.set _ZN9rocsparseL21csrmvn_general_kernelILj256ELj8Ell21rocsparse_complex_numIfES1_IdES3_S3_EEvbT2_NS_24const_host_device_scalarIT6_EEPKT1_SA_PKS4_PKT3_PKT4_S7_PT5_21rocsparse_index_base_b.num_named_barrier, 0
	.set _ZN9rocsparseL21csrmvn_general_kernelILj256ELj8Ell21rocsparse_complex_numIfES1_IdES3_S3_EEvbT2_NS_24const_host_device_scalarIT6_EEPKT1_SA_PKS4_PKT3_PKT4_S7_PT5_21rocsparse_index_base_b.private_seg_size, 0
	.set _ZN9rocsparseL21csrmvn_general_kernelILj256ELj8Ell21rocsparse_complex_numIfES1_IdES3_S3_EEvbT2_NS_24const_host_device_scalarIT6_EEPKT1_SA_PKS4_PKT3_PKT4_S7_PT5_21rocsparse_index_base_b.uses_vcc, 1
	.set _ZN9rocsparseL21csrmvn_general_kernelILj256ELj8Ell21rocsparse_complex_numIfES1_IdES3_S3_EEvbT2_NS_24const_host_device_scalarIT6_EEPKT1_SA_PKS4_PKT3_PKT4_S7_PT5_21rocsparse_index_base_b.uses_flat_scratch, 0
	.set _ZN9rocsparseL21csrmvn_general_kernelILj256ELj8Ell21rocsparse_complex_numIfES1_IdES3_S3_EEvbT2_NS_24const_host_device_scalarIT6_EEPKT1_SA_PKS4_PKT3_PKT4_S7_PT5_21rocsparse_index_base_b.has_dyn_sized_stack, 0
	.set _ZN9rocsparseL21csrmvn_general_kernelILj256ELj8Ell21rocsparse_complex_numIfES1_IdES3_S3_EEvbT2_NS_24const_host_device_scalarIT6_EEPKT1_SA_PKS4_PKT3_PKT4_S7_PT5_21rocsparse_index_base_b.has_recursion, 0
	.set _ZN9rocsparseL21csrmvn_general_kernelILj256ELj8Ell21rocsparse_complex_numIfES1_IdES3_S3_EEvbT2_NS_24const_host_device_scalarIT6_EEPKT1_SA_PKS4_PKT3_PKT4_S7_PT5_21rocsparse_index_base_b.has_indirect_call, 0
	.section	.AMDGPU.csdata,"",@progbits
; Kernel info:
; codeLenInByte = 1068
; TotalNumSgprs: 26
; NumVgprs: 38
; ScratchSize: 0
; MemoryBound: 0
; FloatMode: 240
; IeeeMode: 1
; LDSByteSize: 0 bytes/workgroup (compile time only)
; SGPRBlocks: 0
; VGPRBlocks: 2
; NumSGPRsForWavesPerEU: 26
; NumVGPRsForWavesPerEU: 38
; NamedBarCnt: 0
; Occupancy: 16
; WaveLimiterHint : 1
; COMPUTE_PGM_RSRC2:SCRATCH_EN: 0
; COMPUTE_PGM_RSRC2:USER_SGPR: 2
; COMPUTE_PGM_RSRC2:TRAP_HANDLER: 0
; COMPUTE_PGM_RSRC2:TGID_X_EN: 1
; COMPUTE_PGM_RSRC2:TGID_Y_EN: 0
; COMPUTE_PGM_RSRC2:TGID_Z_EN: 0
; COMPUTE_PGM_RSRC2:TIDIG_COMP_CNT: 0
	.section	.text._ZN9rocsparseL21csrmvn_general_kernelILj256ELj16Ell21rocsparse_complex_numIfES1_IdES3_S3_EEvbT2_NS_24const_host_device_scalarIT6_EEPKT1_SA_PKS4_PKT3_PKT4_S7_PT5_21rocsparse_index_base_b,"axG",@progbits,_ZN9rocsparseL21csrmvn_general_kernelILj256ELj16Ell21rocsparse_complex_numIfES1_IdES3_S3_EEvbT2_NS_24const_host_device_scalarIT6_EEPKT1_SA_PKS4_PKT3_PKT4_S7_PT5_21rocsparse_index_base_b,comdat
	.globl	_ZN9rocsparseL21csrmvn_general_kernelILj256ELj16Ell21rocsparse_complex_numIfES1_IdES3_S3_EEvbT2_NS_24const_host_device_scalarIT6_EEPKT1_SA_PKS4_PKT3_PKT4_S7_PT5_21rocsparse_index_base_b ; -- Begin function _ZN9rocsparseL21csrmvn_general_kernelILj256ELj16Ell21rocsparse_complex_numIfES1_IdES3_S3_EEvbT2_NS_24const_host_device_scalarIT6_EEPKT1_SA_PKS4_PKT3_PKT4_S7_PT5_21rocsparse_index_base_b
	.p2align	8
	.type	_ZN9rocsparseL21csrmvn_general_kernelILj256ELj16Ell21rocsparse_complex_numIfES1_IdES3_S3_EEvbT2_NS_24const_host_device_scalarIT6_EEPKT1_SA_PKS4_PKT3_PKT4_S7_PT5_21rocsparse_index_base_b,@function
_ZN9rocsparseL21csrmvn_general_kernelILj256ELj16Ell21rocsparse_complex_numIfES1_IdES3_S3_EEvbT2_NS_24const_host_device_scalarIT6_EEPKT1_SA_PKS4_PKT3_PKT4_S7_PT5_21rocsparse_index_base_b: ; @_ZN9rocsparseL21csrmvn_general_kernelILj256ELj16Ell21rocsparse_complex_numIfES1_IdES3_S3_EEvbT2_NS_24const_host_device_scalarIT6_EEPKT1_SA_PKS4_PKT3_PKT4_S7_PT5_21rocsparse_index_base_b
; %bb.0:
	s_clause 0x1
	s_load_b64 s[16:17], s[0:1], 0x60
	s_load_b128 s[12:15], s[0:1], 0x8
	v_mov_b32_e32 v1, 0
	s_add_nc_u64 s[2:3], s[0:1], 16
	s_load_b64 s[4:5], s[0:1], 0x48
	s_wait_kmcnt 0x0
	s_bitcmp1_b32 s17, 0
	s_cselect_b32 s3, s3, s15
	s_cselect_b32 s2, s2, s14
	flat_load_b128 v[2:5], v1, s[2:3]
	s_wait_xcnt 0x0
	s_add_nc_u64 s[2:3], s[0:1], 0x48
	s_delay_alu instid0(SALU_CYCLE_1)
	s_cselect_b32 s3, s3, s5
	s_cselect_b32 s2, s2, s4
	flat_load_b128 v[6:9], v1, s[2:3]
	s_wait_loadcnt_dscnt 0x101
	v_cmp_eq_f64_e32 vcc_lo, 0, v[2:3]
	s_wait_xcnt 0x0
	v_cmp_eq_f64_e64 s2, 0, v[4:5]
	s_and_b32 s4, vcc_lo, s2
	s_mov_b32 s2, -1
	s_and_saveexec_b32 s3, s4
	s_cbranch_execz .LBB388_2
; %bb.1:
	s_wait_loadcnt_dscnt 0x0
	v_cmp_neq_f64_e32 vcc_lo, 1.0, v[6:7]
	v_cmp_neq_f64_e64 s2, 0, v[8:9]
	s_or_b32 s2, vcc_lo, s2
	s_delay_alu instid0(SALU_CYCLE_1)
	s_or_not1_b32 s2, s2, exec_lo
.LBB388_2:
	s_or_b32 exec_lo, exec_lo, s3
	s_and_saveexec_b32 s3, s2
	s_cbranch_execz .LBB388_14
; %bb.3:
	s_bfe_u32 s2, ttmp6, 0x4000c
	s_and_b32 s3, ttmp6, 15
	s_add_co_i32 s2, s2, 1
	s_getreg_b32 s4, hwreg(HW_REG_IB_STS2, 6, 4)
	s_mul_i32 s2, ttmp9, s2
	s_mov_b32 s15, 0
	s_add_co_i32 s3, s3, s2
	s_cmp_eq_u32 s4, 0
	v_mov_b32_e32 v15, 0
	s_cselect_b32 s2, ttmp9, s3
	s_delay_alu instid0(SALU_CYCLE_1) | instskip(NEXT) | instid1(VALU_DEP_1)
	v_lshl_or_b32 v1, s2, 8, v0
	v_lshrrev_b32_e32 v14, 4, v1
	s_delay_alu instid0(VALU_DEP_1)
	v_cmp_gt_i64_e32 vcc_lo, s[12:13], v[14:15]
	s_and_b32 exec_lo, exec_lo, vcc_lo
	s_cbranch_execz .LBB388_14
; %bb.4:
	v_dual_mov_b32 v11, v15 :: v_dual_bitop2_b32 v10, 15, v0 bitop3:0x40
	v_mbcnt_lo_u32_b32 v12, -1, 0
	s_mov_b32 s17, s15
	s_wait_loadcnt_dscnt 0x0
	v_cmp_neq_f64_e64 s2, 0, v[6:7]
	v_cmp_neq_f64_e64 s3, 0, v[8:9]
	v_sub_nc_u64_e64 v[0:1], v[10:11], s[16:17]
	v_xor_b32_e32 v13, 4, v12
	v_xor_b32_e32 v11, 8, v12
	s_clause 0x4
	s_load_b32 s14, s[0:1], 0x68
	s_load_b32 s23, s[0:1], 0x0
	s_load_b256 s[4:11], s[0:1], 0x20
	s_load_b64 s[18:19], s[0:1], 0x58
	s_load_b64 s[20:21], s[0:1], 0x40
	s_mov_b32 s22, s16
	v_cmp_gt_i32_e32 vcc_lo, 32, v11
	v_dual_cndmask_b32 v11, v12, v11, vcc_lo :: v_dual_bitop2_b32 v17, 1, v12 bitop3:0x14
	v_cmp_gt_i32_e32 vcc_lo, 32, v13
	s_delay_alu instid0(VALU_DEP_2)
	v_dual_lshlrev_b32 v24, 2, v11 :: v_dual_bitop2_b32 v16, 2, v12 bitop3:0x14
	v_cndmask_b32_e32 v13, v12, v13, vcc_lo
	s_wait_kmcnt 0x0
	s_lshl_b32 s14, s14, 4
	s_bitcmp1_b32 s23, 0
	v_cmp_gt_i32_e32 vcc_lo, 32, v16
	s_cselect_b32 s1, -1, 0
	s_ashr_i32 s23, s16, 31
	v_lshlrev_b32_e32 v25, 2, v13
	s_lshl_b64 s[22:23], s[22:23], 4
	v_cndmask_b32_e32 v16, v12, v16, vcc_lo
	v_cmp_gt_i32_e32 vcc_lo, 32, v17
	s_sub_nc_u64 s[20:21], s[20:21], s[22:23]
	s_or_b32 s22, s2, s3
	s_add_nc_u64 s[2:3], s[10:11], 4
	v_dual_lshlrev_b32 v26, 2, v16 :: v_dual_cndmask_b32 v12, v12, v17, vcc_lo
	s_mov_b32 s10, s15
	v_cmp_eq_u32_e32 vcc_lo, 15, v10
	s_delay_alu instid0(VALU_DEP_2)
	v_lshlrev_b32_e32 v27, 2, v12
	s_branch .LBB388_7
.LBB388_5:                              ;   in Loop: Header=BB388_7 Depth=1
	s_wait_xcnt 0x0
	s_or_b32 exec_lo, exec_lo, s11
	global_store_b128 v[16:17], v[10:13], off
.LBB388_6:                              ;   in Loop: Header=BB388_7 Depth=1
	s_wait_xcnt 0x0
	s_or_b32 exec_lo, exec_lo, s0
	v_add_nc_u64_e32 v[14:15], s[14:15], v[14:15]
	s_delay_alu instid0(VALU_DEP_1) | instskip(SKIP_1) | instid1(SALU_CYCLE_1)
	v_cmp_le_i64_e64 s0, s[12:13], v[14:15]
	s_or_b32 s10, s0, s10
	s_and_not1_b32 exec_lo, exec_lo, s10
	s_cbranch_execz .LBB388_14
.LBB388_7:                              ; =>This Loop Header: Depth=1
                                        ;     Child Loop BB388_9 Depth 2
	v_lshlrev_b64_e32 v[10:11], 3, v[14:15]
	s_mov_b32 s11, exec_lo
	s_delay_alu instid0(VALU_DEP_1)
	v_add_nc_u64_e32 v[12:13], s[6:7], v[10:11]
	v_add_nc_u64_e32 v[10:11], s[4:5], v[10:11]
	s_wait_dscnt 0x0
	global_load_b64 v[16:17], v[12:13], off
	global_load_b64 v[18:19], v[10:11], off
	s_wait_xcnt 0x0
	v_mov_b64_e32 v[10:11], 0
	v_mov_b64_e32 v[12:13], 0
	s_wait_loadcnt 0x1
	v_sub_nc_u64_e64 v[16:17], v[16:17], s[16:17]
	s_wait_loadcnt 0x0
	v_add_nc_u64_e32 v[18:19], v[18:19], v[0:1]
	s_delay_alu instid0(VALU_DEP_1)
	v_cmpx_lt_i64_e64 v[18:19], v[16:17]
	s_cbranch_execz .LBB388_11
; %bb.8:                                ;   in Loop: Header=BB388_7 Depth=1
	v_lshlrev_b64_e32 v[12:13], 3, v[18:19]
	v_mov_b64_e32 v[10:11], 0
	s_mov_b32 s23, 0
	s_delay_alu instid0(VALU_DEP_2)
	v_add_nc_u64_e32 v[20:21], s[2:3], v[12:13]
	v_add_nc_u64_e32 v[22:23], s[8:9], v[12:13]
	v_mov_b64_e32 v[12:13], 0
.LBB388_9:                              ;   Parent Loop BB388_7 Depth=1
                                        ; =>  This Inner Loop Header: Depth=2
	global_load_b64 v[28:29], v[22:23], off
	global_load_b64 v[32:33], v[20:21], off offset:-4
	v_add_nc_u64_e32 v[18:19], 16, v[18:19]
	s_wait_xcnt 0x0
	v_add_nc_u64_e32 v[20:21], 0x80, v[20:21]
	v_add_nc_u64_e32 v[22:23], 0x80, v[22:23]
	s_delay_alu instid0(VALU_DEP_3)
	v_cmp_ge_i64_e64 s0, v[18:19], v[16:17]
	s_or_b32 s23, s0, s23
	s_wait_loadcnt 0x1
	v_lshl_add_u64 v[28:29], v[28:29], 4, s[20:21]
	s_wait_loadcnt 0x0
	v_cndmask_b32_e64 v33, v33, -v33, s1
	global_load_b128 v[28:31], v[28:29], off
	v_cvt_f64_f32_e32 v[34:35], v33
	v_cvt_f64_f32_e32 v[32:33], v32
	s_delay_alu instid0(VALU_DEP_2) | instskip(SKIP_1) | instid1(VALU_DEP_2)
	v_mul_f64_e64 v[36:37], -v[4:5], v[34:35]
	v_mul_f64_e32 v[34:35], v[2:3], v[34:35]
	v_fmac_f64_e32 v[36:37], v[2:3], v[32:33]
	s_delay_alu instid0(VALU_DEP_2) | instskip(SKIP_1) | instid1(VALU_DEP_2)
	v_fmac_f64_e32 v[34:35], v[4:5], v[32:33]
	s_wait_loadcnt 0x0
	v_fmac_f64_e32 v[12:13], v[36:37], v[28:29]
	s_delay_alu instid0(VALU_DEP_2) | instskip(NEXT) | instid1(VALU_DEP_2)
	v_fmac_f64_e32 v[10:11], v[34:35], v[28:29]
	v_fma_f64 v[12:13], -v[34:35], v[30:31], v[12:13]
	s_delay_alu instid0(VALU_DEP_2)
	v_fmac_f64_e32 v[10:11], v[36:37], v[30:31]
	s_wait_xcnt 0x0
	s_and_not1_b32 exec_lo, exec_lo, s23
	s_cbranch_execnz .LBB388_9
; %bb.10:                               ;   in Loop: Header=BB388_7 Depth=1
	s_or_b32 exec_lo, exec_lo, s23
.LBB388_11:                             ;   in Loop: Header=BB388_7 Depth=1
	s_delay_alu instid0(SALU_CYCLE_1)
	s_or_b32 exec_lo, exec_lo, s11
	ds_bpermute_b32 v16, v24, v12
	ds_bpermute_b32 v17, v24, v13
	ds_bpermute_b32 v18, v24, v10
	ds_bpermute_b32 v19, v24, v11
	s_wait_dscnt 0x2
	v_add_f64_e32 v[12:13], v[12:13], v[16:17]
	s_wait_dscnt 0x0
	v_add_f64_e32 v[10:11], v[10:11], v[18:19]
	ds_bpermute_b32 v16, v25, v12
	ds_bpermute_b32 v17, v25, v13
	ds_bpermute_b32 v18, v25, v10
	ds_bpermute_b32 v19, v25, v11
	s_wait_dscnt 0x2
	v_add_f64_e32 v[12:13], v[12:13], v[16:17]
	s_wait_dscnt 0x0
	v_add_f64_e32 v[16:17], v[10:11], v[18:19]
	;; [unrolled: 8-line block ×3, first 2 shown]
	ds_bpermute_b32 v18, v27, v10
	ds_bpermute_b32 v19, v27, v11
	;; [unrolled: 1-line block ×4, first 2 shown]
	s_and_saveexec_b32 s0, vcc_lo
	s_cbranch_execz .LBB388_6
; %bb.12:                               ;   in Loop: Header=BB388_7 Depth=1
	s_wait_dscnt 0x2
	v_add_f64_e32 v[10:11], v[10:11], v[18:19]
	s_wait_dscnt 0x0
	v_add_f64_e32 v[12:13], v[12:13], v[16:17]
	v_lshl_add_u64 v[16:17], v[14:15], 4, s[18:19]
	s_and_saveexec_b32 s11, s22
	s_cbranch_execz .LBB388_5
; %bb.13:                               ;   in Loop: Header=BB388_7 Depth=1
	global_load_b128 v[18:21], v[16:17], off
	s_wait_loadcnt 0x0
	v_fmac_f64_e32 v[10:11], v[6:7], v[18:19]
	v_fmac_f64_e32 v[12:13], v[8:9], v[18:19]
	s_delay_alu instid0(VALU_DEP_2) | instskip(NEXT) | instid1(VALU_DEP_2)
	v_fma_f64 v[10:11], -v[8:9], v[20:21], v[10:11]
	v_fmac_f64_e32 v[12:13], v[6:7], v[20:21]
	s_branch .LBB388_5
.LBB388_14:
	s_endpgm
	.section	.rodata,"a",@progbits
	.p2align	6, 0x0
	.amdhsa_kernel _ZN9rocsparseL21csrmvn_general_kernelILj256ELj16Ell21rocsparse_complex_numIfES1_IdES3_S3_EEvbT2_NS_24const_host_device_scalarIT6_EEPKT1_SA_PKS4_PKT3_PKT4_S7_PT5_21rocsparse_index_base_b
		.amdhsa_group_segment_fixed_size 0
		.amdhsa_private_segment_fixed_size 0
		.amdhsa_kernarg_size 360
		.amdhsa_user_sgpr_count 2
		.amdhsa_user_sgpr_dispatch_ptr 0
		.amdhsa_user_sgpr_queue_ptr 0
		.amdhsa_user_sgpr_kernarg_segment_ptr 1
		.amdhsa_user_sgpr_dispatch_id 0
		.amdhsa_user_sgpr_kernarg_preload_length 0
		.amdhsa_user_sgpr_kernarg_preload_offset 0
		.amdhsa_user_sgpr_private_segment_size 0
		.amdhsa_wavefront_size32 1
		.amdhsa_uses_dynamic_stack 0
		.amdhsa_enable_private_segment 0
		.amdhsa_system_sgpr_workgroup_id_x 1
		.amdhsa_system_sgpr_workgroup_id_y 0
		.amdhsa_system_sgpr_workgroup_id_z 0
		.amdhsa_system_sgpr_workgroup_info 0
		.amdhsa_system_vgpr_workitem_id 0
		.amdhsa_next_free_vgpr 38
		.amdhsa_next_free_sgpr 24
		.amdhsa_named_barrier_count 0
		.amdhsa_reserve_vcc 1
		.amdhsa_float_round_mode_32 0
		.amdhsa_float_round_mode_16_64 0
		.amdhsa_float_denorm_mode_32 3
		.amdhsa_float_denorm_mode_16_64 3
		.amdhsa_fp16_overflow 0
		.amdhsa_memory_ordered 1
		.amdhsa_forward_progress 1
		.amdhsa_inst_pref_size 9
		.amdhsa_round_robin_scheduling 0
		.amdhsa_exception_fp_ieee_invalid_op 0
		.amdhsa_exception_fp_denorm_src 0
		.amdhsa_exception_fp_ieee_div_zero 0
		.amdhsa_exception_fp_ieee_overflow 0
		.amdhsa_exception_fp_ieee_underflow 0
		.amdhsa_exception_fp_ieee_inexact 0
		.amdhsa_exception_int_div_zero 0
	.end_amdhsa_kernel
	.section	.text._ZN9rocsparseL21csrmvn_general_kernelILj256ELj16Ell21rocsparse_complex_numIfES1_IdES3_S3_EEvbT2_NS_24const_host_device_scalarIT6_EEPKT1_SA_PKS4_PKT3_PKT4_S7_PT5_21rocsparse_index_base_b,"axG",@progbits,_ZN9rocsparseL21csrmvn_general_kernelILj256ELj16Ell21rocsparse_complex_numIfES1_IdES3_S3_EEvbT2_NS_24const_host_device_scalarIT6_EEPKT1_SA_PKS4_PKT3_PKT4_S7_PT5_21rocsparse_index_base_b,comdat
.Lfunc_end388:
	.size	_ZN9rocsparseL21csrmvn_general_kernelILj256ELj16Ell21rocsparse_complex_numIfES1_IdES3_S3_EEvbT2_NS_24const_host_device_scalarIT6_EEPKT1_SA_PKS4_PKT3_PKT4_S7_PT5_21rocsparse_index_base_b, .Lfunc_end388-_ZN9rocsparseL21csrmvn_general_kernelILj256ELj16Ell21rocsparse_complex_numIfES1_IdES3_S3_EEvbT2_NS_24const_host_device_scalarIT6_EEPKT1_SA_PKS4_PKT3_PKT4_S7_PT5_21rocsparse_index_base_b
                                        ; -- End function
	.set _ZN9rocsparseL21csrmvn_general_kernelILj256ELj16Ell21rocsparse_complex_numIfES1_IdES3_S3_EEvbT2_NS_24const_host_device_scalarIT6_EEPKT1_SA_PKS4_PKT3_PKT4_S7_PT5_21rocsparse_index_base_b.num_vgpr, 38
	.set _ZN9rocsparseL21csrmvn_general_kernelILj256ELj16Ell21rocsparse_complex_numIfES1_IdES3_S3_EEvbT2_NS_24const_host_device_scalarIT6_EEPKT1_SA_PKS4_PKT3_PKT4_S7_PT5_21rocsparse_index_base_b.num_agpr, 0
	.set _ZN9rocsparseL21csrmvn_general_kernelILj256ELj16Ell21rocsparse_complex_numIfES1_IdES3_S3_EEvbT2_NS_24const_host_device_scalarIT6_EEPKT1_SA_PKS4_PKT3_PKT4_S7_PT5_21rocsparse_index_base_b.numbered_sgpr, 24
	.set _ZN9rocsparseL21csrmvn_general_kernelILj256ELj16Ell21rocsparse_complex_numIfES1_IdES3_S3_EEvbT2_NS_24const_host_device_scalarIT6_EEPKT1_SA_PKS4_PKT3_PKT4_S7_PT5_21rocsparse_index_base_b.num_named_barrier, 0
	.set _ZN9rocsparseL21csrmvn_general_kernelILj256ELj16Ell21rocsparse_complex_numIfES1_IdES3_S3_EEvbT2_NS_24const_host_device_scalarIT6_EEPKT1_SA_PKS4_PKT3_PKT4_S7_PT5_21rocsparse_index_base_b.private_seg_size, 0
	.set _ZN9rocsparseL21csrmvn_general_kernelILj256ELj16Ell21rocsparse_complex_numIfES1_IdES3_S3_EEvbT2_NS_24const_host_device_scalarIT6_EEPKT1_SA_PKS4_PKT3_PKT4_S7_PT5_21rocsparse_index_base_b.uses_vcc, 1
	.set _ZN9rocsparseL21csrmvn_general_kernelILj256ELj16Ell21rocsparse_complex_numIfES1_IdES3_S3_EEvbT2_NS_24const_host_device_scalarIT6_EEPKT1_SA_PKS4_PKT3_PKT4_S7_PT5_21rocsparse_index_base_b.uses_flat_scratch, 0
	.set _ZN9rocsparseL21csrmvn_general_kernelILj256ELj16Ell21rocsparse_complex_numIfES1_IdES3_S3_EEvbT2_NS_24const_host_device_scalarIT6_EEPKT1_SA_PKS4_PKT3_PKT4_S7_PT5_21rocsparse_index_base_b.has_dyn_sized_stack, 0
	.set _ZN9rocsparseL21csrmvn_general_kernelILj256ELj16Ell21rocsparse_complex_numIfES1_IdES3_S3_EEvbT2_NS_24const_host_device_scalarIT6_EEPKT1_SA_PKS4_PKT3_PKT4_S7_PT5_21rocsparse_index_base_b.has_recursion, 0
	.set _ZN9rocsparseL21csrmvn_general_kernelILj256ELj16Ell21rocsparse_complex_numIfES1_IdES3_S3_EEvbT2_NS_24const_host_device_scalarIT6_EEPKT1_SA_PKS4_PKT3_PKT4_S7_PT5_21rocsparse_index_base_b.has_indirect_call, 0
	.section	.AMDGPU.csdata,"",@progbits
; Kernel info:
; codeLenInByte = 1120
; TotalNumSgprs: 26
; NumVgprs: 38
; ScratchSize: 0
; MemoryBound: 0
; FloatMode: 240
; IeeeMode: 1
; LDSByteSize: 0 bytes/workgroup (compile time only)
; SGPRBlocks: 0
; VGPRBlocks: 2
; NumSGPRsForWavesPerEU: 26
; NumVGPRsForWavesPerEU: 38
; NamedBarCnt: 0
; Occupancy: 16
; WaveLimiterHint : 1
; COMPUTE_PGM_RSRC2:SCRATCH_EN: 0
; COMPUTE_PGM_RSRC2:USER_SGPR: 2
; COMPUTE_PGM_RSRC2:TRAP_HANDLER: 0
; COMPUTE_PGM_RSRC2:TGID_X_EN: 1
; COMPUTE_PGM_RSRC2:TGID_Y_EN: 0
; COMPUTE_PGM_RSRC2:TGID_Z_EN: 0
; COMPUTE_PGM_RSRC2:TIDIG_COMP_CNT: 0
	.section	.text._ZN9rocsparseL21csrmvn_general_kernelILj256ELj32Ell21rocsparse_complex_numIfES1_IdES3_S3_EEvbT2_NS_24const_host_device_scalarIT6_EEPKT1_SA_PKS4_PKT3_PKT4_S7_PT5_21rocsparse_index_base_b,"axG",@progbits,_ZN9rocsparseL21csrmvn_general_kernelILj256ELj32Ell21rocsparse_complex_numIfES1_IdES3_S3_EEvbT2_NS_24const_host_device_scalarIT6_EEPKT1_SA_PKS4_PKT3_PKT4_S7_PT5_21rocsparse_index_base_b,comdat
	.globl	_ZN9rocsparseL21csrmvn_general_kernelILj256ELj32Ell21rocsparse_complex_numIfES1_IdES3_S3_EEvbT2_NS_24const_host_device_scalarIT6_EEPKT1_SA_PKS4_PKT3_PKT4_S7_PT5_21rocsparse_index_base_b ; -- Begin function _ZN9rocsparseL21csrmvn_general_kernelILj256ELj32Ell21rocsparse_complex_numIfES1_IdES3_S3_EEvbT2_NS_24const_host_device_scalarIT6_EEPKT1_SA_PKS4_PKT3_PKT4_S7_PT5_21rocsparse_index_base_b
	.p2align	8
	.type	_ZN9rocsparseL21csrmvn_general_kernelILj256ELj32Ell21rocsparse_complex_numIfES1_IdES3_S3_EEvbT2_NS_24const_host_device_scalarIT6_EEPKT1_SA_PKS4_PKT3_PKT4_S7_PT5_21rocsparse_index_base_b,@function
_ZN9rocsparseL21csrmvn_general_kernelILj256ELj32Ell21rocsparse_complex_numIfES1_IdES3_S3_EEvbT2_NS_24const_host_device_scalarIT6_EEPKT1_SA_PKS4_PKT3_PKT4_S7_PT5_21rocsparse_index_base_b: ; @_ZN9rocsparseL21csrmvn_general_kernelILj256ELj32Ell21rocsparse_complex_numIfES1_IdES3_S3_EEvbT2_NS_24const_host_device_scalarIT6_EEPKT1_SA_PKS4_PKT3_PKT4_S7_PT5_21rocsparse_index_base_b
; %bb.0:
	s_clause 0x1
	s_load_b64 s[16:17], s[0:1], 0x60
	s_load_b128 s[12:15], s[0:1], 0x8
	v_mov_b32_e32 v1, 0
	s_add_nc_u64 s[2:3], s[0:1], 16
	s_load_b64 s[4:5], s[0:1], 0x48
	s_wait_kmcnt 0x0
	s_bitcmp1_b32 s17, 0
	s_cselect_b32 s3, s3, s15
	s_cselect_b32 s2, s2, s14
	flat_load_b128 v[2:5], v1, s[2:3]
	s_wait_xcnt 0x0
	s_add_nc_u64 s[2:3], s[0:1], 0x48
	s_delay_alu instid0(SALU_CYCLE_1)
	s_cselect_b32 s3, s3, s5
	s_cselect_b32 s2, s2, s4
	flat_load_b128 v[6:9], v1, s[2:3]
	s_wait_loadcnt_dscnt 0x101
	v_cmp_eq_f64_e32 vcc_lo, 0, v[2:3]
	s_wait_xcnt 0x0
	v_cmp_eq_f64_e64 s2, 0, v[4:5]
	s_and_b32 s4, vcc_lo, s2
	s_mov_b32 s2, -1
	s_and_saveexec_b32 s3, s4
	s_cbranch_execz .LBB389_2
; %bb.1:
	s_wait_loadcnt_dscnt 0x0
	v_cmp_neq_f64_e32 vcc_lo, 1.0, v[6:7]
	v_cmp_neq_f64_e64 s2, 0, v[8:9]
	s_or_b32 s2, vcc_lo, s2
	s_delay_alu instid0(SALU_CYCLE_1)
	s_or_not1_b32 s2, s2, exec_lo
.LBB389_2:
	s_or_b32 exec_lo, exec_lo, s3
	s_and_saveexec_b32 s3, s2
	s_cbranch_execz .LBB389_14
; %bb.3:
	s_bfe_u32 s2, ttmp6, 0x4000c
	s_and_b32 s3, ttmp6, 15
	s_add_co_i32 s2, s2, 1
	s_getreg_b32 s4, hwreg(HW_REG_IB_STS2, 6, 4)
	s_mul_i32 s2, ttmp9, s2
	s_mov_b32 s15, 0
	s_add_co_i32 s3, s3, s2
	s_cmp_eq_u32 s4, 0
	v_mov_b32_e32 v15, 0
	s_cselect_b32 s2, ttmp9, s3
	s_delay_alu instid0(SALU_CYCLE_1) | instskip(NEXT) | instid1(VALU_DEP_1)
	v_lshl_or_b32 v1, s2, 8, v0
	v_lshrrev_b32_e32 v14, 5, v1
	s_delay_alu instid0(VALU_DEP_1)
	v_cmp_gt_i64_e32 vcc_lo, s[12:13], v[14:15]
	s_and_b32 exec_lo, exec_lo, vcc_lo
	s_cbranch_execz .LBB389_14
; %bb.4:
	v_dual_mov_b32 v11, v15 :: v_dual_bitop2_b32 v10, 31, v0 bitop3:0x40
	v_mbcnt_lo_u32_b32 v12, -1, 0
	s_mov_b32 s17, s15
	s_wait_loadcnt_dscnt 0x0
	v_cmp_neq_f64_e64 s2, 0, v[6:7]
	v_cmp_neq_f64_e64 s3, 0, v[8:9]
	v_sub_nc_u64_e64 v[0:1], v[10:11], s[16:17]
	v_xor_b32_e32 v13, 8, v12
	v_xor_b32_e32 v11, 16, v12
	s_clause 0x4
	s_load_b32 s14, s[0:1], 0x68
	s_load_b32 s23, s[0:1], 0x0
	s_load_b64 s[18:19], s[0:1], 0x58
	s_load_b64 s[20:21], s[0:1], 0x40
	s_load_b256 s[4:11], s[0:1], 0x20
	s_mov_b32 s22, s16
	v_cmp_gt_i32_e32 vcc_lo, 32, v11
	v_dual_cndmask_b32 v11, v12, v11, vcc_lo :: v_dual_bitop2_b32 v18, 1, v12 bitop3:0x14
	v_cmp_gt_i32_e32 vcc_lo, 32, v13
	s_delay_alu instid0(VALU_DEP_2) | instskip(SKIP_4) | instid1(VALU_DEP_1)
	v_dual_lshlrev_b32 v24, 2, v11 :: v_dual_bitop2_b32 v17, 2, v12 bitop3:0x14
	v_dual_cndmask_b32 v13, v12, v13, vcc_lo :: v_dual_bitop2_b32 v16, 4, v12 bitop3:0x14
	s_wait_kmcnt 0x0
	s_lshl_b32 s14, s14, 3
	s_bitcmp1_b32 s23, 0
	v_cmp_gt_i32_e32 vcc_lo, 32, v16
	s_cselect_b32 s1, -1, 0
	s_ashr_i32 s23, s16, 31
	v_lshlrev_b32_e32 v25, 2, v13
	s_lshl_b64 s[22:23], s[22:23], 4
	v_cndmask_b32_e32 v16, v12, v16, vcc_lo
	v_cmp_gt_i32_e32 vcc_lo, 32, v17
	s_sub_nc_u64 s[20:21], s[20:21], s[22:23]
	s_or_b32 s22, s2, s3
	s_add_nc_u64 s[2:3], s[10:11], 4
	s_mov_b32 s10, s15
	v_cndmask_b32_e32 v17, v12, v17, vcc_lo
	v_cmp_gt_i32_e32 vcc_lo, 32, v18
	s_delay_alu instid0(VALU_DEP_2) | instskip(SKIP_2) | instid1(VALU_DEP_2)
	v_dual_lshlrev_b32 v26, 2, v16 :: v_dual_lshlrev_b32 v27, 2, v17
	v_cndmask_b32_e32 v12, v12, v18, vcc_lo
	v_cmp_eq_u32_e32 vcc_lo, 31, v10
	v_lshlrev_b32_e32 v28, 2, v12
	s_branch .LBB389_7
.LBB389_5:                              ;   in Loop: Header=BB389_7 Depth=1
	s_wait_xcnt 0x0
	s_or_b32 exec_lo, exec_lo, s11
	global_store_b128 v[16:17], v[10:13], off
.LBB389_6:                              ;   in Loop: Header=BB389_7 Depth=1
	s_wait_xcnt 0x0
	s_or_b32 exec_lo, exec_lo, s0
	v_add_nc_u64_e32 v[14:15], s[14:15], v[14:15]
	s_delay_alu instid0(VALU_DEP_1) | instskip(SKIP_1) | instid1(SALU_CYCLE_1)
	v_cmp_le_i64_e64 s0, s[12:13], v[14:15]
	s_or_b32 s10, s0, s10
	s_and_not1_b32 exec_lo, exec_lo, s10
	s_cbranch_execz .LBB389_14
.LBB389_7:                              ; =>This Loop Header: Depth=1
                                        ;     Child Loop BB389_9 Depth 2
	v_lshlrev_b64_e32 v[10:11], 3, v[14:15]
	s_mov_b32 s11, exec_lo
	s_delay_alu instid0(VALU_DEP_1)
	v_add_nc_u64_e32 v[12:13], s[6:7], v[10:11]
	v_add_nc_u64_e32 v[10:11], s[4:5], v[10:11]
	s_wait_dscnt 0x0
	global_load_b64 v[16:17], v[12:13], off
	global_load_b64 v[18:19], v[10:11], off
	s_wait_xcnt 0x0
	v_mov_b64_e32 v[10:11], 0
	v_mov_b64_e32 v[12:13], 0
	s_wait_loadcnt 0x1
	v_sub_nc_u64_e64 v[16:17], v[16:17], s[16:17]
	s_wait_loadcnt 0x0
	v_add_nc_u64_e32 v[18:19], v[18:19], v[0:1]
	s_delay_alu instid0(VALU_DEP_1)
	v_cmpx_lt_i64_e64 v[18:19], v[16:17]
	s_cbranch_execz .LBB389_11
; %bb.8:                                ;   in Loop: Header=BB389_7 Depth=1
	v_lshlrev_b64_e32 v[12:13], 3, v[18:19]
	v_mov_b64_e32 v[10:11], 0
	s_mov_b32 s23, 0
	s_delay_alu instid0(VALU_DEP_2)
	v_add_nc_u64_e32 v[20:21], s[2:3], v[12:13]
	v_add_nc_u64_e32 v[22:23], s[8:9], v[12:13]
	v_mov_b64_e32 v[12:13], 0
.LBB389_9:                              ;   Parent Loop BB389_7 Depth=1
                                        ; =>  This Inner Loop Header: Depth=2
	global_load_b64 v[30:31], v[22:23], off
	global_load_b64 v[34:35], v[20:21], off offset:-4
	v_add_nc_u64_e32 v[18:19], 32, v[18:19]
	s_wait_xcnt 0x0
	v_add_nc_u64_e32 v[20:21], 0x100, v[20:21]
	v_add_nc_u64_e32 v[22:23], 0x100, v[22:23]
	s_delay_alu instid0(VALU_DEP_3)
	v_cmp_ge_i64_e64 s0, v[18:19], v[16:17]
	s_or_b32 s23, s0, s23
	s_wait_loadcnt 0x1
	v_lshl_add_u64 v[30:31], v[30:31], 4, s[20:21]
	s_wait_loadcnt 0x0
	v_cndmask_b32_e64 v29, v35, -v35, s1
	v_cvt_f64_f32_e32 v[34:35], v34
	global_load_b128 v[30:33], v[30:31], off
	v_cvt_f64_f32_e32 v[36:37], v29
	s_delay_alu instid0(VALU_DEP_1) | instskip(SKIP_1) | instid1(VALU_DEP_2)
	v_mul_f64_e64 v[38:39], -v[4:5], v[36:37]
	v_mul_f64_e32 v[36:37], v[2:3], v[36:37]
	v_fmac_f64_e32 v[38:39], v[2:3], v[34:35]
	s_delay_alu instid0(VALU_DEP_2) | instskip(SKIP_1) | instid1(VALU_DEP_2)
	v_fmac_f64_e32 v[36:37], v[4:5], v[34:35]
	s_wait_loadcnt 0x0
	v_fmac_f64_e32 v[12:13], v[38:39], v[30:31]
	s_delay_alu instid0(VALU_DEP_2) | instskip(NEXT) | instid1(VALU_DEP_2)
	v_fmac_f64_e32 v[10:11], v[36:37], v[30:31]
	v_fma_f64 v[12:13], -v[36:37], v[32:33], v[12:13]
	s_delay_alu instid0(VALU_DEP_2)
	v_fmac_f64_e32 v[10:11], v[38:39], v[32:33]
	s_wait_xcnt 0x0
	s_and_not1_b32 exec_lo, exec_lo, s23
	s_cbranch_execnz .LBB389_9
; %bb.10:                               ;   in Loop: Header=BB389_7 Depth=1
	s_or_b32 exec_lo, exec_lo, s23
.LBB389_11:                             ;   in Loop: Header=BB389_7 Depth=1
	s_delay_alu instid0(SALU_CYCLE_1)
	s_or_b32 exec_lo, exec_lo, s11
	ds_bpermute_b32 v16, v24, v12
	ds_bpermute_b32 v17, v24, v13
	ds_bpermute_b32 v18, v24, v10
	ds_bpermute_b32 v19, v24, v11
	s_wait_dscnt 0x2
	v_add_f64_e32 v[12:13], v[12:13], v[16:17]
	s_wait_dscnt 0x0
	v_add_f64_e32 v[10:11], v[10:11], v[18:19]
	ds_bpermute_b32 v16, v25, v12
	ds_bpermute_b32 v17, v25, v13
	ds_bpermute_b32 v18, v25, v10
	ds_bpermute_b32 v19, v25, v11
	s_wait_dscnt 0x2
	v_add_f64_e32 v[12:13], v[12:13], v[16:17]
	s_wait_dscnt 0x0
	v_add_f64_e32 v[10:11], v[10:11], v[18:19]
	;; [unrolled: 8-line block ×4, first 2 shown]
	ds_bpermute_b32 v18, v28, v10
	ds_bpermute_b32 v19, v28, v11
	;; [unrolled: 1-line block ×4, first 2 shown]
	s_and_saveexec_b32 s0, vcc_lo
	s_cbranch_execz .LBB389_6
; %bb.12:                               ;   in Loop: Header=BB389_7 Depth=1
	s_wait_dscnt 0x2
	v_add_f64_e32 v[10:11], v[10:11], v[18:19]
	s_wait_dscnt 0x0
	v_add_f64_e32 v[12:13], v[12:13], v[16:17]
	v_lshl_add_u64 v[16:17], v[14:15], 4, s[18:19]
	s_and_saveexec_b32 s11, s22
	s_cbranch_execz .LBB389_5
; %bb.13:                               ;   in Loop: Header=BB389_7 Depth=1
	global_load_b128 v[18:21], v[16:17], off
	s_wait_loadcnt 0x0
	v_fmac_f64_e32 v[10:11], v[6:7], v[18:19]
	v_fmac_f64_e32 v[12:13], v[8:9], v[18:19]
	s_delay_alu instid0(VALU_DEP_2) | instskip(NEXT) | instid1(VALU_DEP_2)
	v_fma_f64 v[10:11], -v[8:9], v[20:21], v[10:11]
	v_fmac_f64_e32 v[12:13], v[6:7], v[20:21]
	s_branch .LBB389_5
.LBB389_14:
	s_endpgm
	.section	.rodata,"a",@progbits
	.p2align	6, 0x0
	.amdhsa_kernel _ZN9rocsparseL21csrmvn_general_kernelILj256ELj32Ell21rocsparse_complex_numIfES1_IdES3_S3_EEvbT2_NS_24const_host_device_scalarIT6_EEPKT1_SA_PKS4_PKT3_PKT4_S7_PT5_21rocsparse_index_base_b
		.amdhsa_group_segment_fixed_size 0
		.amdhsa_private_segment_fixed_size 0
		.amdhsa_kernarg_size 360
		.amdhsa_user_sgpr_count 2
		.amdhsa_user_sgpr_dispatch_ptr 0
		.amdhsa_user_sgpr_queue_ptr 0
		.amdhsa_user_sgpr_kernarg_segment_ptr 1
		.amdhsa_user_sgpr_dispatch_id 0
		.amdhsa_user_sgpr_kernarg_preload_length 0
		.amdhsa_user_sgpr_kernarg_preload_offset 0
		.amdhsa_user_sgpr_private_segment_size 0
		.amdhsa_wavefront_size32 1
		.amdhsa_uses_dynamic_stack 0
		.amdhsa_enable_private_segment 0
		.amdhsa_system_sgpr_workgroup_id_x 1
		.amdhsa_system_sgpr_workgroup_id_y 0
		.amdhsa_system_sgpr_workgroup_id_z 0
		.amdhsa_system_sgpr_workgroup_info 0
		.amdhsa_system_vgpr_workitem_id 0
		.amdhsa_next_free_vgpr 40
		.amdhsa_next_free_sgpr 24
		.amdhsa_named_barrier_count 0
		.amdhsa_reserve_vcc 1
		.amdhsa_float_round_mode_32 0
		.amdhsa_float_round_mode_16_64 0
		.amdhsa_float_denorm_mode_32 3
		.amdhsa_float_denorm_mode_16_64 3
		.amdhsa_fp16_overflow 0
		.amdhsa_memory_ordered 1
		.amdhsa_forward_progress 1
		.amdhsa_inst_pref_size 10
		.amdhsa_round_robin_scheduling 0
		.amdhsa_exception_fp_ieee_invalid_op 0
		.amdhsa_exception_fp_denorm_src 0
		.amdhsa_exception_fp_ieee_div_zero 0
		.amdhsa_exception_fp_ieee_overflow 0
		.amdhsa_exception_fp_ieee_underflow 0
		.amdhsa_exception_fp_ieee_inexact 0
		.amdhsa_exception_int_div_zero 0
	.end_amdhsa_kernel
	.section	.text._ZN9rocsparseL21csrmvn_general_kernelILj256ELj32Ell21rocsparse_complex_numIfES1_IdES3_S3_EEvbT2_NS_24const_host_device_scalarIT6_EEPKT1_SA_PKS4_PKT3_PKT4_S7_PT5_21rocsparse_index_base_b,"axG",@progbits,_ZN9rocsparseL21csrmvn_general_kernelILj256ELj32Ell21rocsparse_complex_numIfES1_IdES3_S3_EEvbT2_NS_24const_host_device_scalarIT6_EEPKT1_SA_PKS4_PKT3_PKT4_S7_PT5_21rocsparse_index_base_b,comdat
.Lfunc_end389:
	.size	_ZN9rocsparseL21csrmvn_general_kernelILj256ELj32Ell21rocsparse_complex_numIfES1_IdES3_S3_EEvbT2_NS_24const_host_device_scalarIT6_EEPKT1_SA_PKS4_PKT3_PKT4_S7_PT5_21rocsparse_index_base_b, .Lfunc_end389-_ZN9rocsparseL21csrmvn_general_kernelILj256ELj32Ell21rocsparse_complex_numIfES1_IdES3_S3_EEvbT2_NS_24const_host_device_scalarIT6_EEPKT1_SA_PKS4_PKT3_PKT4_S7_PT5_21rocsparse_index_base_b
                                        ; -- End function
	.set _ZN9rocsparseL21csrmvn_general_kernelILj256ELj32Ell21rocsparse_complex_numIfES1_IdES3_S3_EEvbT2_NS_24const_host_device_scalarIT6_EEPKT1_SA_PKS4_PKT3_PKT4_S7_PT5_21rocsparse_index_base_b.num_vgpr, 40
	.set _ZN9rocsparseL21csrmvn_general_kernelILj256ELj32Ell21rocsparse_complex_numIfES1_IdES3_S3_EEvbT2_NS_24const_host_device_scalarIT6_EEPKT1_SA_PKS4_PKT3_PKT4_S7_PT5_21rocsparse_index_base_b.num_agpr, 0
	.set _ZN9rocsparseL21csrmvn_general_kernelILj256ELj32Ell21rocsparse_complex_numIfES1_IdES3_S3_EEvbT2_NS_24const_host_device_scalarIT6_EEPKT1_SA_PKS4_PKT3_PKT4_S7_PT5_21rocsparse_index_base_b.numbered_sgpr, 24
	.set _ZN9rocsparseL21csrmvn_general_kernelILj256ELj32Ell21rocsparse_complex_numIfES1_IdES3_S3_EEvbT2_NS_24const_host_device_scalarIT6_EEPKT1_SA_PKS4_PKT3_PKT4_S7_PT5_21rocsparse_index_base_b.num_named_barrier, 0
	.set _ZN9rocsparseL21csrmvn_general_kernelILj256ELj32Ell21rocsparse_complex_numIfES1_IdES3_S3_EEvbT2_NS_24const_host_device_scalarIT6_EEPKT1_SA_PKS4_PKT3_PKT4_S7_PT5_21rocsparse_index_base_b.private_seg_size, 0
	.set _ZN9rocsparseL21csrmvn_general_kernelILj256ELj32Ell21rocsparse_complex_numIfES1_IdES3_S3_EEvbT2_NS_24const_host_device_scalarIT6_EEPKT1_SA_PKS4_PKT3_PKT4_S7_PT5_21rocsparse_index_base_b.uses_vcc, 1
	.set _ZN9rocsparseL21csrmvn_general_kernelILj256ELj32Ell21rocsparse_complex_numIfES1_IdES3_S3_EEvbT2_NS_24const_host_device_scalarIT6_EEPKT1_SA_PKS4_PKT3_PKT4_S7_PT5_21rocsparse_index_base_b.uses_flat_scratch, 0
	.set _ZN9rocsparseL21csrmvn_general_kernelILj256ELj32Ell21rocsparse_complex_numIfES1_IdES3_S3_EEvbT2_NS_24const_host_device_scalarIT6_EEPKT1_SA_PKS4_PKT3_PKT4_S7_PT5_21rocsparse_index_base_b.has_dyn_sized_stack, 0
	.set _ZN9rocsparseL21csrmvn_general_kernelILj256ELj32Ell21rocsparse_complex_numIfES1_IdES3_S3_EEvbT2_NS_24const_host_device_scalarIT6_EEPKT1_SA_PKS4_PKT3_PKT4_S7_PT5_21rocsparse_index_base_b.has_recursion, 0
	.set _ZN9rocsparseL21csrmvn_general_kernelILj256ELj32Ell21rocsparse_complex_numIfES1_IdES3_S3_EEvbT2_NS_24const_host_device_scalarIT6_EEPKT1_SA_PKS4_PKT3_PKT4_S7_PT5_21rocsparse_index_base_b.has_indirect_call, 0
	.section	.AMDGPU.csdata,"",@progbits
; Kernel info:
; codeLenInByte = 1188
; TotalNumSgprs: 26
; NumVgprs: 40
; ScratchSize: 0
; MemoryBound: 0
; FloatMode: 240
; IeeeMode: 1
; LDSByteSize: 0 bytes/workgroup (compile time only)
; SGPRBlocks: 0
; VGPRBlocks: 2
; NumSGPRsForWavesPerEU: 26
; NumVGPRsForWavesPerEU: 40
; NamedBarCnt: 0
; Occupancy: 16
; WaveLimiterHint : 1
; COMPUTE_PGM_RSRC2:SCRATCH_EN: 0
; COMPUTE_PGM_RSRC2:USER_SGPR: 2
; COMPUTE_PGM_RSRC2:TRAP_HANDLER: 0
; COMPUTE_PGM_RSRC2:TGID_X_EN: 1
; COMPUTE_PGM_RSRC2:TGID_Y_EN: 0
; COMPUTE_PGM_RSRC2:TGID_Z_EN: 0
; COMPUTE_PGM_RSRC2:TIDIG_COMP_CNT: 0
	.section	.text._ZN9rocsparseL21csrmvn_general_kernelILj256ELj64Ell21rocsparse_complex_numIfES1_IdES3_S3_EEvbT2_NS_24const_host_device_scalarIT6_EEPKT1_SA_PKS4_PKT3_PKT4_S7_PT5_21rocsparse_index_base_b,"axG",@progbits,_ZN9rocsparseL21csrmvn_general_kernelILj256ELj64Ell21rocsparse_complex_numIfES1_IdES3_S3_EEvbT2_NS_24const_host_device_scalarIT6_EEPKT1_SA_PKS4_PKT3_PKT4_S7_PT5_21rocsparse_index_base_b,comdat
	.globl	_ZN9rocsparseL21csrmvn_general_kernelILj256ELj64Ell21rocsparse_complex_numIfES1_IdES3_S3_EEvbT2_NS_24const_host_device_scalarIT6_EEPKT1_SA_PKS4_PKT3_PKT4_S7_PT5_21rocsparse_index_base_b ; -- Begin function _ZN9rocsparseL21csrmvn_general_kernelILj256ELj64Ell21rocsparse_complex_numIfES1_IdES3_S3_EEvbT2_NS_24const_host_device_scalarIT6_EEPKT1_SA_PKS4_PKT3_PKT4_S7_PT5_21rocsparse_index_base_b
	.p2align	8
	.type	_ZN9rocsparseL21csrmvn_general_kernelILj256ELj64Ell21rocsparse_complex_numIfES1_IdES3_S3_EEvbT2_NS_24const_host_device_scalarIT6_EEPKT1_SA_PKS4_PKT3_PKT4_S7_PT5_21rocsparse_index_base_b,@function
_ZN9rocsparseL21csrmvn_general_kernelILj256ELj64Ell21rocsparse_complex_numIfES1_IdES3_S3_EEvbT2_NS_24const_host_device_scalarIT6_EEPKT1_SA_PKS4_PKT3_PKT4_S7_PT5_21rocsparse_index_base_b: ; @_ZN9rocsparseL21csrmvn_general_kernelILj256ELj64Ell21rocsparse_complex_numIfES1_IdES3_S3_EEvbT2_NS_24const_host_device_scalarIT6_EEPKT1_SA_PKS4_PKT3_PKT4_S7_PT5_21rocsparse_index_base_b
; %bb.0:
	s_clause 0x1
	s_load_b64 s[16:17], s[0:1], 0x60
	s_load_b128 s[12:15], s[0:1], 0x8
	v_mov_b32_e32 v1, 0
	s_add_nc_u64 s[2:3], s[0:1], 16
	s_load_b64 s[4:5], s[0:1], 0x48
	s_wait_kmcnt 0x0
	s_bitcmp1_b32 s17, 0
	s_cselect_b32 s3, s3, s15
	s_cselect_b32 s2, s2, s14
	flat_load_b128 v[2:5], v1, s[2:3]
	s_wait_xcnt 0x0
	s_add_nc_u64 s[2:3], s[0:1], 0x48
	s_delay_alu instid0(SALU_CYCLE_1)
	s_cselect_b32 s3, s3, s5
	s_cselect_b32 s2, s2, s4
	flat_load_b128 v[6:9], v1, s[2:3]
	s_wait_loadcnt_dscnt 0x101
	v_cmp_eq_f64_e32 vcc_lo, 0, v[2:3]
	s_wait_xcnt 0x0
	v_cmp_eq_f64_e64 s2, 0, v[4:5]
	s_and_b32 s4, vcc_lo, s2
	s_mov_b32 s2, -1
	s_and_saveexec_b32 s3, s4
	s_cbranch_execz .LBB390_2
; %bb.1:
	s_wait_loadcnt_dscnt 0x0
	v_cmp_neq_f64_e32 vcc_lo, 1.0, v[6:7]
	v_cmp_neq_f64_e64 s2, 0, v[8:9]
	s_or_b32 s2, vcc_lo, s2
	s_delay_alu instid0(SALU_CYCLE_1)
	s_or_not1_b32 s2, s2, exec_lo
.LBB390_2:
	s_or_b32 exec_lo, exec_lo, s3
	s_and_saveexec_b32 s3, s2
	s_cbranch_execz .LBB390_14
; %bb.3:
	s_bfe_u32 s2, ttmp6, 0x4000c
	s_and_b32 s3, ttmp6, 15
	s_add_co_i32 s2, s2, 1
	s_getreg_b32 s4, hwreg(HW_REG_IB_STS2, 6, 4)
	s_mul_i32 s2, ttmp9, s2
	v_mov_b32_e32 v15, 0
	s_add_co_i32 s3, s3, s2
	s_cmp_eq_u32 s4, 0
	s_cselect_b32 s2, ttmp9, s3
	s_mov_b32 s3, 0
	v_lshl_or_b32 v1, s2, 8, v0
	s_delay_alu instid0(VALU_DEP_1) | instskip(NEXT) | instid1(VALU_DEP_1)
	v_lshrrev_b32_e32 v14, 6, v1
	v_cmp_gt_i64_e32 vcc_lo, s[12:13], v[14:15]
	s_and_b32 exec_lo, exec_lo, vcc_lo
	s_cbranch_execz .LBB390_14
; %bb.4:
	v_dual_mov_b32 v11, v15 :: v_dual_bitop2_b32 v10, 63, v0 bitop3:0x40
	v_mbcnt_lo_u32_b32 v12, -1, 0
	s_mov_b32 s17, s3
	s_clause 0x4
	s_load_b32 s2, s[0:1], 0x68
	s_load_b32 s20, s[0:1], 0x0
	s_load_b256 s[4:11], s[0:1], 0x20
	s_load_b64 s[14:15], s[0:1], 0x58
	s_load_b64 s[18:19], s[0:1], 0x40
	s_wait_loadcnt_dscnt 0x0
	v_cmp_neq_f64_e64 s0, 0, v[6:7]
	v_sub_nc_u64_e64 v[0:1], v[10:11], s[16:17]
	v_xor_b32_e32 v13, 16, v12
	v_or_b32_e32 v11, 32, v12
	v_cmp_neq_f64_e64 s1, 0, v[8:9]
	s_mov_b32 s22, s16
	s_mov_b32 s21, s3
	v_cmp_gt_i32_e32 vcc_lo, 32, v11
	v_dual_cndmask_b32 v11, v12, v11, vcc_lo :: v_dual_bitop2_b32 v16, 8, v12 bitop3:0x14
	v_cmp_gt_i32_e32 vcc_lo, 32, v13
	s_wait_kmcnt 0x0
	s_lshl_b32 s2, s2, 2
	s_bitcmp1_b32 s20, 0
	v_dual_lshlrev_b32 v24, 2, v11 :: v_dual_bitop2_b32 v11, 2, v12 bitop3:0x14
	v_dual_cndmask_b32 v13, v12, v13, vcc_lo :: v_dual_bitop2_b32 v17, 4, v12 bitop3:0x14
	v_cmp_gt_i32_e32 vcc_lo, 32, v16
	v_xor_b32_e32 v18, 1, v12
	s_cselect_b32 s20, -1, 0
	s_ashr_i32 s23, s16, 31
	v_dual_cndmask_b32 v16, v12, v16 :: v_dual_lshlrev_b32 v25, 2, v13
	v_cmp_gt_i32_e32 vcc_lo, 32, v17
	s_lshl_b64 s[22:23], s[22:23], 4
	s_add_nc_u64 s[10:11], s[10:11], 4
	s_sub_nc_u64 s[18:19], s[18:19], s[22:23]
	v_cndmask_b32_e32 v17, v12, v17, vcc_lo
	v_cmp_gt_i32_e32 vcc_lo, 32, v11
	s_or_b32 s1, s0, s1
	s_delay_alu instid0(VALU_DEP_2) | instskip(SKIP_2) | instid1(VALU_DEP_3)
	v_dual_lshlrev_b32 v27, 2, v17 :: v_dual_cndmask_b32 v11, v12, v11, vcc_lo
	v_cmp_gt_i32_e32 vcc_lo, 32, v18
	v_dual_cndmask_b32 v12, v12, v18, vcc_lo :: v_dual_lshlrev_b32 v26, 2, v16
	v_lshlrev_b32_e32 v28, 2, v11
	v_cmp_eq_u32_e32 vcc_lo, 63, v10
	s_delay_alu instid0(VALU_DEP_3)
	v_lshlrev_b32_e32 v29, 2, v12
	s_branch .LBB390_7
.LBB390_5:                              ;   in Loop: Header=BB390_7 Depth=1
	s_wait_xcnt 0x0
	s_or_b32 exec_lo, exec_lo, s22
	global_store_b128 v[16:17], v[10:13], off
.LBB390_6:                              ;   in Loop: Header=BB390_7 Depth=1
	s_wait_xcnt 0x0
	s_or_b32 exec_lo, exec_lo, s0
	v_add_nc_u64_e32 v[14:15], s[2:3], v[14:15]
	s_delay_alu instid0(VALU_DEP_1) | instskip(SKIP_1) | instid1(SALU_CYCLE_1)
	v_cmp_le_i64_e64 s0, s[12:13], v[14:15]
	s_or_b32 s21, s0, s21
	s_and_not1_b32 exec_lo, exec_lo, s21
	s_cbranch_execz .LBB390_14
.LBB390_7:                              ; =>This Loop Header: Depth=1
                                        ;     Child Loop BB390_9 Depth 2
	v_lshlrev_b64_e32 v[10:11], 3, v[14:15]
	s_mov_b32 s22, exec_lo
	s_delay_alu instid0(VALU_DEP_1)
	v_add_nc_u64_e32 v[12:13], s[6:7], v[10:11]
	v_add_nc_u64_e32 v[10:11], s[4:5], v[10:11]
	s_wait_dscnt 0x0
	global_load_b64 v[16:17], v[12:13], off
	global_load_b64 v[18:19], v[10:11], off
	s_wait_xcnt 0x0
	v_mov_b64_e32 v[10:11], 0
	v_mov_b64_e32 v[12:13], 0
	s_wait_loadcnt 0x1
	v_sub_nc_u64_e64 v[16:17], v[16:17], s[16:17]
	s_wait_loadcnt 0x0
	v_add_nc_u64_e32 v[18:19], v[18:19], v[0:1]
	s_delay_alu instid0(VALU_DEP_1)
	v_cmpx_lt_i64_e64 v[18:19], v[16:17]
	s_cbranch_execz .LBB390_11
; %bb.8:                                ;   in Loop: Header=BB390_7 Depth=1
	v_lshlrev_b64_e32 v[12:13], 3, v[18:19]
	v_mov_b64_e32 v[10:11], 0
	s_mov_b32 s23, 0
	s_delay_alu instid0(VALU_DEP_2)
	v_add_nc_u64_e32 v[20:21], s[10:11], v[12:13]
	v_add_nc_u64_e32 v[22:23], s[8:9], v[12:13]
	v_mov_b64_e32 v[12:13], 0
.LBB390_9:                              ;   Parent Loop BB390_7 Depth=1
                                        ; =>  This Inner Loop Header: Depth=2
	global_load_b64 v[30:31], v[22:23], off
	global_load_b64 v[34:35], v[20:21], off offset:-4
	v_add_nc_u64_e32 v[18:19], 64, v[18:19]
	s_wait_xcnt 0x0
	v_add_nc_u64_e32 v[20:21], 0x200, v[20:21]
	v_add_nc_u64_e32 v[22:23], 0x200, v[22:23]
	s_delay_alu instid0(VALU_DEP_3)
	v_cmp_ge_i64_e64 s0, v[18:19], v[16:17]
	s_or_b32 s23, s0, s23
	s_wait_loadcnt 0x1
	v_lshl_add_u64 v[30:31], v[30:31], 4, s[18:19]
	s_wait_loadcnt 0x0
	v_cndmask_b32_e64 v35, v35, -v35, s20
	global_load_b128 v[30:33], v[30:31], off
	v_cvt_f64_f32_e32 v[36:37], v35
	v_cvt_f64_f32_e32 v[34:35], v34
	s_delay_alu instid0(VALU_DEP_2) | instskip(SKIP_1) | instid1(VALU_DEP_2)
	v_mul_f64_e64 v[38:39], -v[4:5], v[36:37]
	v_mul_f64_e32 v[36:37], v[2:3], v[36:37]
	v_fmac_f64_e32 v[38:39], v[2:3], v[34:35]
	s_delay_alu instid0(VALU_DEP_2) | instskip(SKIP_1) | instid1(VALU_DEP_2)
	v_fmac_f64_e32 v[36:37], v[4:5], v[34:35]
	s_wait_loadcnt 0x0
	v_fmac_f64_e32 v[12:13], v[38:39], v[30:31]
	s_delay_alu instid0(VALU_DEP_2) | instskip(NEXT) | instid1(VALU_DEP_2)
	v_fmac_f64_e32 v[10:11], v[36:37], v[30:31]
	v_fma_f64 v[12:13], -v[36:37], v[32:33], v[12:13]
	s_delay_alu instid0(VALU_DEP_2)
	v_fmac_f64_e32 v[10:11], v[38:39], v[32:33]
	s_wait_xcnt 0x0
	s_and_not1_b32 exec_lo, exec_lo, s23
	s_cbranch_execnz .LBB390_9
; %bb.10:                               ;   in Loop: Header=BB390_7 Depth=1
	s_or_b32 exec_lo, exec_lo, s23
.LBB390_11:                             ;   in Loop: Header=BB390_7 Depth=1
	s_delay_alu instid0(SALU_CYCLE_1)
	s_or_b32 exec_lo, exec_lo, s22
	ds_bpermute_b32 v16, v24, v12
	ds_bpermute_b32 v17, v24, v13
	ds_bpermute_b32 v18, v24, v10
	ds_bpermute_b32 v19, v24, v11
	s_wait_dscnt 0x2
	v_add_f64_e32 v[12:13], v[12:13], v[16:17]
	s_wait_dscnt 0x0
	v_add_f64_e32 v[10:11], v[10:11], v[18:19]
	ds_bpermute_b32 v16, v25, v12
	ds_bpermute_b32 v17, v25, v13
	ds_bpermute_b32 v18, v25, v10
	ds_bpermute_b32 v19, v25, v11
	s_wait_dscnt 0x2
	v_add_f64_e32 v[12:13], v[12:13], v[16:17]
	s_wait_dscnt 0x0
	v_add_f64_e32 v[10:11], v[10:11], v[18:19]
	;; [unrolled: 8-line block ×5, first 2 shown]
	ds_bpermute_b32 v18, v29, v10
	ds_bpermute_b32 v19, v29, v11
	;; [unrolled: 1-line block ×4, first 2 shown]
	s_and_saveexec_b32 s0, vcc_lo
	s_cbranch_execz .LBB390_6
; %bb.12:                               ;   in Loop: Header=BB390_7 Depth=1
	s_wait_dscnt 0x2
	v_add_f64_e32 v[10:11], v[10:11], v[18:19]
	s_wait_dscnt 0x0
	v_add_f64_e32 v[12:13], v[12:13], v[16:17]
	v_lshl_add_u64 v[16:17], v[14:15], 4, s[14:15]
	s_and_saveexec_b32 s22, s1
	s_cbranch_execz .LBB390_5
; %bb.13:                               ;   in Loop: Header=BB390_7 Depth=1
	global_load_b128 v[18:21], v[16:17], off
	s_wait_loadcnt 0x0
	v_fmac_f64_e32 v[10:11], v[6:7], v[18:19]
	v_fmac_f64_e32 v[12:13], v[8:9], v[18:19]
	s_delay_alu instid0(VALU_DEP_2) | instskip(NEXT) | instid1(VALU_DEP_2)
	v_fma_f64 v[10:11], -v[8:9], v[20:21], v[10:11]
	v_fmac_f64_e32 v[12:13], v[6:7], v[20:21]
	s_branch .LBB390_5
.LBB390_14:
	s_endpgm
	.section	.rodata,"a",@progbits
	.p2align	6, 0x0
	.amdhsa_kernel _ZN9rocsparseL21csrmvn_general_kernelILj256ELj64Ell21rocsparse_complex_numIfES1_IdES3_S3_EEvbT2_NS_24const_host_device_scalarIT6_EEPKT1_SA_PKS4_PKT3_PKT4_S7_PT5_21rocsparse_index_base_b
		.amdhsa_group_segment_fixed_size 0
		.amdhsa_private_segment_fixed_size 0
		.amdhsa_kernarg_size 360
		.amdhsa_user_sgpr_count 2
		.amdhsa_user_sgpr_dispatch_ptr 0
		.amdhsa_user_sgpr_queue_ptr 0
		.amdhsa_user_sgpr_kernarg_segment_ptr 1
		.amdhsa_user_sgpr_dispatch_id 0
		.amdhsa_user_sgpr_kernarg_preload_length 0
		.amdhsa_user_sgpr_kernarg_preload_offset 0
		.amdhsa_user_sgpr_private_segment_size 0
		.amdhsa_wavefront_size32 1
		.amdhsa_uses_dynamic_stack 0
		.amdhsa_enable_private_segment 0
		.amdhsa_system_sgpr_workgroup_id_x 1
		.amdhsa_system_sgpr_workgroup_id_y 0
		.amdhsa_system_sgpr_workgroup_id_z 0
		.amdhsa_system_sgpr_workgroup_info 0
		.amdhsa_system_vgpr_workitem_id 0
		.amdhsa_next_free_vgpr 40
		.amdhsa_next_free_sgpr 24
		.amdhsa_named_barrier_count 0
		.amdhsa_reserve_vcc 1
		.amdhsa_float_round_mode_32 0
		.amdhsa_float_round_mode_16_64 0
		.amdhsa_float_denorm_mode_32 3
		.amdhsa_float_denorm_mode_16_64 3
		.amdhsa_fp16_overflow 0
		.amdhsa_memory_ordered 1
		.amdhsa_forward_progress 1
		.amdhsa_inst_pref_size 10
		.amdhsa_round_robin_scheduling 0
		.amdhsa_exception_fp_ieee_invalid_op 0
		.amdhsa_exception_fp_denorm_src 0
		.amdhsa_exception_fp_ieee_div_zero 0
		.amdhsa_exception_fp_ieee_overflow 0
		.amdhsa_exception_fp_ieee_underflow 0
		.amdhsa_exception_fp_ieee_inexact 0
		.amdhsa_exception_int_div_zero 0
	.end_amdhsa_kernel
	.section	.text._ZN9rocsparseL21csrmvn_general_kernelILj256ELj64Ell21rocsparse_complex_numIfES1_IdES3_S3_EEvbT2_NS_24const_host_device_scalarIT6_EEPKT1_SA_PKS4_PKT3_PKT4_S7_PT5_21rocsparse_index_base_b,"axG",@progbits,_ZN9rocsparseL21csrmvn_general_kernelILj256ELj64Ell21rocsparse_complex_numIfES1_IdES3_S3_EEvbT2_NS_24const_host_device_scalarIT6_EEPKT1_SA_PKS4_PKT3_PKT4_S7_PT5_21rocsparse_index_base_b,comdat
.Lfunc_end390:
	.size	_ZN9rocsparseL21csrmvn_general_kernelILj256ELj64Ell21rocsparse_complex_numIfES1_IdES3_S3_EEvbT2_NS_24const_host_device_scalarIT6_EEPKT1_SA_PKS4_PKT3_PKT4_S7_PT5_21rocsparse_index_base_b, .Lfunc_end390-_ZN9rocsparseL21csrmvn_general_kernelILj256ELj64Ell21rocsparse_complex_numIfES1_IdES3_S3_EEvbT2_NS_24const_host_device_scalarIT6_EEPKT1_SA_PKS4_PKT3_PKT4_S7_PT5_21rocsparse_index_base_b
                                        ; -- End function
	.set _ZN9rocsparseL21csrmvn_general_kernelILj256ELj64Ell21rocsparse_complex_numIfES1_IdES3_S3_EEvbT2_NS_24const_host_device_scalarIT6_EEPKT1_SA_PKS4_PKT3_PKT4_S7_PT5_21rocsparse_index_base_b.num_vgpr, 40
	.set _ZN9rocsparseL21csrmvn_general_kernelILj256ELj64Ell21rocsparse_complex_numIfES1_IdES3_S3_EEvbT2_NS_24const_host_device_scalarIT6_EEPKT1_SA_PKS4_PKT3_PKT4_S7_PT5_21rocsparse_index_base_b.num_agpr, 0
	.set _ZN9rocsparseL21csrmvn_general_kernelILj256ELj64Ell21rocsparse_complex_numIfES1_IdES3_S3_EEvbT2_NS_24const_host_device_scalarIT6_EEPKT1_SA_PKS4_PKT3_PKT4_S7_PT5_21rocsparse_index_base_b.numbered_sgpr, 24
	.set _ZN9rocsparseL21csrmvn_general_kernelILj256ELj64Ell21rocsparse_complex_numIfES1_IdES3_S3_EEvbT2_NS_24const_host_device_scalarIT6_EEPKT1_SA_PKS4_PKT3_PKT4_S7_PT5_21rocsparse_index_base_b.num_named_barrier, 0
	.set _ZN9rocsparseL21csrmvn_general_kernelILj256ELj64Ell21rocsparse_complex_numIfES1_IdES3_S3_EEvbT2_NS_24const_host_device_scalarIT6_EEPKT1_SA_PKS4_PKT3_PKT4_S7_PT5_21rocsparse_index_base_b.private_seg_size, 0
	.set _ZN9rocsparseL21csrmvn_general_kernelILj256ELj64Ell21rocsparse_complex_numIfES1_IdES3_S3_EEvbT2_NS_24const_host_device_scalarIT6_EEPKT1_SA_PKS4_PKT3_PKT4_S7_PT5_21rocsparse_index_base_b.uses_vcc, 1
	.set _ZN9rocsparseL21csrmvn_general_kernelILj256ELj64Ell21rocsparse_complex_numIfES1_IdES3_S3_EEvbT2_NS_24const_host_device_scalarIT6_EEPKT1_SA_PKS4_PKT3_PKT4_S7_PT5_21rocsparse_index_base_b.uses_flat_scratch, 0
	.set _ZN9rocsparseL21csrmvn_general_kernelILj256ELj64Ell21rocsparse_complex_numIfES1_IdES3_S3_EEvbT2_NS_24const_host_device_scalarIT6_EEPKT1_SA_PKS4_PKT3_PKT4_S7_PT5_21rocsparse_index_base_b.has_dyn_sized_stack, 0
	.set _ZN9rocsparseL21csrmvn_general_kernelILj256ELj64Ell21rocsparse_complex_numIfES1_IdES3_S3_EEvbT2_NS_24const_host_device_scalarIT6_EEPKT1_SA_PKS4_PKT3_PKT4_S7_PT5_21rocsparse_index_base_b.has_recursion, 0
	.set _ZN9rocsparseL21csrmvn_general_kernelILj256ELj64Ell21rocsparse_complex_numIfES1_IdES3_S3_EEvbT2_NS_24const_host_device_scalarIT6_EEPKT1_SA_PKS4_PKT3_PKT4_S7_PT5_21rocsparse_index_base_b.has_indirect_call, 0
	.section	.AMDGPU.csdata,"",@progbits
; Kernel info:
; codeLenInByte = 1252
; TotalNumSgprs: 26
; NumVgprs: 40
; ScratchSize: 0
; MemoryBound: 0
; FloatMode: 240
; IeeeMode: 1
; LDSByteSize: 0 bytes/workgroup (compile time only)
; SGPRBlocks: 0
; VGPRBlocks: 2
; NumSGPRsForWavesPerEU: 26
; NumVGPRsForWavesPerEU: 40
; NamedBarCnt: 0
; Occupancy: 16
; WaveLimiterHint : 1
; COMPUTE_PGM_RSRC2:SCRATCH_EN: 0
; COMPUTE_PGM_RSRC2:USER_SGPR: 2
; COMPUTE_PGM_RSRC2:TRAP_HANDLER: 0
; COMPUTE_PGM_RSRC2:TGID_X_EN: 1
; COMPUTE_PGM_RSRC2:TGID_Y_EN: 0
; COMPUTE_PGM_RSRC2:TGID_Z_EN: 0
; COMPUTE_PGM_RSRC2:TIDIG_COMP_CNT: 0
	.section	.text._ZN9rocsparseL21csrmvt_general_kernelILj256ELj4Ell21rocsparse_complex_numIfES1_IdES3_S3_EEvbbT2_NS_24const_host_device_scalarIT6_EEPKT1_SA_PKS4_PKT3_PKT4_PT5_21rocsparse_index_base_b,"axG",@progbits,_ZN9rocsparseL21csrmvt_general_kernelILj256ELj4Ell21rocsparse_complex_numIfES1_IdES3_S3_EEvbbT2_NS_24const_host_device_scalarIT6_EEPKT1_SA_PKS4_PKT3_PKT4_PT5_21rocsparse_index_base_b,comdat
	.globl	_ZN9rocsparseL21csrmvt_general_kernelILj256ELj4Ell21rocsparse_complex_numIfES1_IdES3_S3_EEvbbT2_NS_24const_host_device_scalarIT6_EEPKT1_SA_PKS4_PKT3_PKT4_PT5_21rocsparse_index_base_b ; -- Begin function _ZN9rocsparseL21csrmvt_general_kernelILj256ELj4Ell21rocsparse_complex_numIfES1_IdES3_S3_EEvbbT2_NS_24const_host_device_scalarIT6_EEPKT1_SA_PKS4_PKT3_PKT4_PT5_21rocsparse_index_base_b
	.p2align	8
	.type	_ZN9rocsparseL21csrmvt_general_kernelILj256ELj4Ell21rocsparse_complex_numIfES1_IdES3_S3_EEvbbT2_NS_24const_host_device_scalarIT6_EEPKT1_SA_PKS4_PKT3_PKT4_PT5_21rocsparse_index_base_b,@function
_ZN9rocsparseL21csrmvt_general_kernelILj256ELj4Ell21rocsparse_complex_numIfES1_IdES3_S3_EEvbbT2_NS_24const_host_device_scalarIT6_EEPKT1_SA_PKS4_PKT3_PKT4_PT5_21rocsparse_index_base_b: ; @_ZN9rocsparseL21csrmvt_general_kernelILj256ELj4Ell21rocsparse_complex_numIfES1_IdES3_S3_EEvbbT2_NS_24const_host_device_scalarIT6_EEPKT1_SA_PKS4_PKT3_PKT4_PT5_21rocsparse_index_base_b
; %bb.0:
	s_clause 0x1
	s_load_b64 s[20:21], s[0:1], 0x50
	s_load_b128 s[12:15], s[0:1], 0x8
	v_mov_b32_e32 v7, 0
	s_add_nc_u64 s[2:3], s[0:1], 16
	s_wait_kmcnt 0x0
	s_bitcmp1_b32 s21, 0
	s_cselect_b32 s3, s3, s15
	s_cselect_b32 s2, s2, s14
	flat_load_b128 v[2:5], v7, s[2:3]
	s_wait_loadcnt_dscnt 0x0
	v_cmp_neq_f64_e32 vcc_lo, 0, v[2:3]
	v_cmp_neq_f64_e64 s2, 0, v[4:5]
	s_or_b32 s2, vcc_lo, s2
	s_delay_alu instid0(SALU_CYCLE_1)
	s_and_saveexec_b32 s3, s2
	s_cbranch_execz .LBB391_18
; %bb.1:
	s_clause 0x1
	s_load_b32 s2, s[0:1], 0x0
	s_load_b32 s3, s[0:1], 0x58
	s_getreg_b32 s5, hwreg(HW_REG_IB_STS2, 6, 4)
	s_load_b128 s[16:19], s[0:1], 0x40
	s_wait_kmcnt 0x0
	s_and_b32 s14, s2, 1
	s_bitcmp1_b32 s2, 8
	s_cselect_b32 s22, -1, 0
	s_bfe_u32 s4, ttmp6, 0x4000c
	s_lshl_b32 s2, s3, 6
	s_add_co_i32 s4, s4, 1
	s_and_b32 s3, ttmp6, 15
	s_mul_i32 s4, ttmp9, s4
	s_delay_alu instid0(SALU_CYCLE_1)
	s_add_co_i32 s3, s3, s4
	s_cmp_eq_u32 s5, 0
	s_load_b256 s[4:11], s[0:1], 0x20
	s_wait_xcnt 0x0
	s_cselect_b32 s0, ttmp9, s3
	s_mov_b32 s3, 0
	v_lshl_or_b32 v1, s0, 8, v0
	s_cmp_eq_u32 s14, 0
	s_mov_b32 s1, -1
	s_delay_alu instid0(VALU_DEP_1) | instskip(NEXT) | instid1(VALU_DEP_1)
	v_dual_lshrrev_b32 v6, 2, v1 :: v_dual_bitop2_b32 v0, 3, v0 bitop3:0x40
	v_cmp_gt_i64_e64 s0, s[12:13], v[6:7]
	s_cbranch_scc0 .LBB391_9
; %bb.2:
	s_and_saveexec_b32 s1, s0
	s_cbranch_execz .LBB391_8
; %bb.3:
	v_mov_b32_e32 v1, 0
	s_mov_b32 s21, 0
	v_mov_b64_e32 v[10:11], v[6:7]
	s_wait_kmcnt 0x0
	s_add_nc_u64 s[14:15], s[10:11], 4
	s_mov_b32 s23, s21
	v_sub_nc_u64_e64 v[8:9], v[0:1], s[20:21]
	s_branch .LBB391_5
.LBB391_4:                              ;   in Loop: Header=BB391_5 Depth=1
	s_or_b32 exec_lo, exec_lo, s24
	v_add_nc_u64_e32 v[10:11], s[2:3], v[10:11]
	s_delay_alu instid0(VALU_DEP_1) | instskip(SKIP_1) | instid1(SALU_CYCLE_1)
	v_cmp_le_i64_e32 vcc_lo, s[12:13], v[10:11]
	s_or_b32 s23, vcc_lo, s23
	s_and_not1_b32 exec_lo, exec_lo, s23
	s_cbranch_execz .LBB391_8
.LBB391_5:                              ; =>This Loop Header: Depth=1
                                        ;     Child Loop BB391_7 Depth 2
	s_delay_alu instid0(VALU_DEP_2) | instskip(SKIP_1) | instid1(VALU_DEP_1)
	v_lshlrev_b64_e32 v[12:13], 3, v[10:11]
	s_mov_b32 s24, exec_lo
	v_add_nc_u64_e32 v[14:15], s[6:7], v[12:13]
	v_add_nc_u64_e32 v[12:13], s[4:5], v[12:13]
	global_load_b64 v[16:17], v[14:15], off
	global_load_b64 v[18:19], v[12:13], off
	s_wait_loadcnt 0x1
	s_wait_xcnt 0x0
	v_sub_nc_u64_e64 v[12:13], v[16:17], s[20:21]
	s_wait_loadcnt 0x0
	v_add_nc_u64_e32 v[14:15], v[18:19], v[8:9]
	s_delay_alu instid0(VALU_DEP_1)
	v_cmpx_lt_i64_e64 v[14:15], v[12:13]
	s_cbranch_execz .LBB391_4
; %bb.6:                                ;   in Loop: Header=BB391_5 Depth=1
	v_lshl_add_u64 v[16:17], v[10:11], 4, s[16:17]
	s_mov_b32 s25, 0
	global_load_b128 v[20:23], v[16:17], off
	s_wait_loadcnt 0x0
	s_wait_xcnt 0x0
	v_mul_f64_e64 v[16:17], v[22:23], -v[4:5]
	v_mul_f64_e32 v[18:19], v[2:3], v[22:23]
	v_lshlrev_b64_e32 v[22:23], 3, v[14:15]
	s_delay_alu instid0(VALU_DEP_3) | instskip(NEXT) | instid1(VALU_DEP_3)
	v_fmac_f64_e32 v[16:17], v[2:3], v[20:21]
	v_fmac_f64_e32 v[18:19], v[4:5], v[20:21]
	s_delay_alu instid0(VALU_DEP_3)
	v_add_nc_u64_e32 v[20:21], s[8:9], v[22:23]
	v_add_nc_u64_e32 v[22:23], s[14:15], v[22:23]
.LBB391_7:                              ;   Parent Loop BB391_5 Depth=1
                                        ; =>  This Inner Loop Header: Depth=2
	global_load_b64 v[24:25], v[22:23], off offset:-4
	global_load_b64 v[26:27], v[20:21], off
	v_add_nc_u64_e32 v[14:15], 4, v[14:15]
	s_wait_xcnt 0x0
	v_add_nc_u64_e32 v[20:21], 32, v[20:21]
	v_add_nc_u64_e32 v[22:23], 32, v[22:23]
	s_delay_alu instid0(VALU_DEP_3) | instskip(SKIP_4) | instid1(VALU_DEP_2)
	v_cmp_ge_i64_e32 vcc_lo, v[14:15], v[12:13]
	s_or_b32 s25, vcc_lo, s25
	s_wait_loadcnt 0x1
	v_cndmask_b32_e64 v1, v25, -v25, s22
	v_cvt_f64_f32_e32 v[24:25], v24
	v_cvt_f64_f32_e32 v[28:29], v1
	s_delay_alu instid0(VALU_DEP_1) | instskip(SKIP_1) | instid1(VALU_DEP_2)
	v_mul_f64_e64 v[30:31], -v[18:19], v[28:29]
	v_mul_f64_e32 v[28:29], v[16:17], v[28:29]
	v_fmac_f64_e32 v[30:31], v[16:17], v[24:25]
	s_delay_alu instid0(VALU_DEP_2) | instskip(SKIP_2) | instid1(VALU_DEP_1)
	v_fmac_f64_e32 v[28:29], v[18:19], v[24:25]
	s_wait_loadcnt 0x0
	v_sub_nc_u64_e64 v[24:25], v[26:27], s[20:21]
	v_lshl_add_u64 v[24:25], v[24:25], 4, s[18:19]
	global_atomic_add_f64 v[24:25], v[30:31], off scope:SCOPE_DEV
	s_wait_xcnt 0x0
	global_atomic_add_f64 v[24:25], v[28:29], off offset:8 scope:SCOPE_DEV
	s_wait_xcnt 0x0
	s_and_not1_b32 exec_lo, exec_lo, s25
	s_cbranch_execnz .LBB391_7
	s_branch .LBB391_4
.LBB391_8:
	s_or_b32 exec_lo, exec_lo, s1
	s_mov_b32 s1, 0
.LBB391_9:
	s_delay_alu instid0(SALU_CYCLE_1)
	s_and_not1_b32 vcc_lo, exec_lo, s1
	s_cbranch_vccnz .LBB391_18
; %bb.10:
	s_and_b32 exec_lo, exec_lo, s0
	s_cbranch_execz .LBB391_18
; %bb.11:
	v_mov_b32_e32 v1, 0
	s_mov_b32 s21, 0
	s_wait_kmcnt 0x0
	s_add_nc_u64 s[0:1], s[10:11], 4
	s_mov_b32 s10, s21
	v_sub_nc_u64_e64 v[0:1], v[0:1], s[20:21]
	s_branch .LBB391_13
.LBB391_12:                             ;   in Loop: Header=BB391_13 Depth=1
	s_or_b32 exec_lo, exec_lo, s11
	v_add_nc_u64_e32 v[6:7], s[2:3], v[6:7]
	s_delay_alu instid0(VALU_DEP_1) | instskip(SKIP_1) | instid1(SALU_CYCLE_1)
	v_cmp_le_i64_e32 vcc_lo, s[12:13], v[6:7]
	s_or_b32 s10, vcc_lo, s10
	s_and_not1_b32 exec_lo, exec_lo, s10
	s_cbranch_execz .LBB391_18
.LBB391_13:                             ; =>This Loop Header: Depth=1
                                        ;     Child Loop BB391_16 Depth 2
	v_lshlrev_b64_e32 v[8:9], 3, v[6:7]
	s_mov_b32 s11, exec_lo
	s_delay_alu instid0(VALU_DEP_1)
	v_add_nc_u64_e32 v[10:11], s[6:7], v[8:9]
	v_add_nc_u64_e32 v[8:9], s[4:5], v[8:9]
	global_load_b64 v[12:13], v[10:11], off
	global_load_b64 v[14:15], v[8:9], off
	s_wait_loadcnt 0x1
	s_wait_xcnt 0x0
	v_sub_nc_u64_e64 v[8:9], v[12:13], s[20:21]
	s_wait_loadcnt 0x0
	v_add_nc_u64_e32 v[10:11], v[14:15], v[0:1]
	s_delay_alu instid0(VALU_DEP_1)
	v_cmpx_lt_i64_e64 v[10:11], v[8:9]
	s_cbranch_execz .LBB391_12
; %bb.14:                               ;   in Loop: Header=BB391_13 Depth=1
	v_lshl_add_u64 v[12:13], v[6:7], 4, s[16:17]
	s_mov_b32 s14, 0
	global_load_b128 v[16:19], v[12:13], off
	s_wait_loadcnt 0x0
	v_mul_f64_e64 v[12:13], v[18:19], -v[4:5]
	v_mul_f64_e32 v[14:15], v[2:3], v[18:19]
	v_lshlrev_b64_e32 v[18:19], 3, v[10:11]
	s_delay_alu instid0(VALU_DEP_3) | instskip(NEXT) | instid1(VALU_DEP_3)
	v_fmac_f64_e32 v[12:13], v[2:3], v[16:17]
	v_fmac_f64_e32 v[14:15], v[4:5], v[16:17]
	s_delay_alu instid0(VALU_DEP_3)
	v_add_nc_u64_e32 v[16:17], s[8:9], v[18:19]
	v_add_nc_u64_e32 v[18:19], s[0:1], v[18:19]
	s_branch .LBB391_16
.LBB391_15:                             ;   in Loop: Header=BB391_16 Depth=2
	s_wait_xcnt 0x0
	s_or_b32 exec_lo, exec_lo, s15
	v_add_nc_u64_e32 v[10:11], 4, v[10:11]
	v_add_nc_u64_e32 v[16:17], 32, v[16:17]
	;; [unrolled: 1-line block ×3, first 2 shown]
	s_delay_alu instid0(VALU_DEP_3) | instskip(SKIP_1) | instid1(SALU_CYCLE_1)
	v_cmp_ge_i64_e32 vcc_lo, v[10:11], v[8:9]
	s_or_b32 s14, vcc_lo, s14
	s_and_not1_b32 exec_lo, exec_lo, s14
	s_cbranch_execz .LBB391_12
.LBB391_16:                             ;   Parent Loop BB391_13 Depth=1
                                        ; =>  This Inner Loop Header: Depth=2
	global_load_b64 v[20:21], v[16:17], off
	s_mov_b32 s15, exec_lo
	s_wait_loadcnt 0x0
	v_sub_nc_u64_e64 v[20:21], v[20:21], s[20:21]
	s_wait_xcnt 0x0
	s_delay_alu instid0(VALU_DEP_1)
	v_cmpx_ne_u64_e64 v[20:21], v[6:7]
	s_cbranch_execz .LBB391_15
; %bb.17:                               ;   in Loop: Header=BB391_16 Depth=2
	global_load_b64 v[22:23], v[18:19], off offset:-4
	v_lshl_add_u64 v[20:21], v[20:21], 4, s[18:19]
	s_wait_loadcnt 0x0
	v_cndmask_b32_e64 v23, v23, -v23, s22
	s_delay_alu instid0(VALU_DEP_1) | instskip(SKIP_1) | instid1(VALU_DEP_2)
	v_cvt_f64_f32_e32 v[24:25], v23
	v_cvt_f64_f32_e32 v[22:23], v22
	v_mul_f64_e64 v[26:27], -v[14:15], v[24:25]
	v_mul_f64_e32 v[24:25], v[12:13], v[24:25]
	s_delay_alu instid0(VALU_DEP_2) | instskip(NEXT) | instid1(VALU_DEP_2)
	v_fmac_f64_e32 v[26:27], v[12:13], v[22:23]
	v_fmac_f64_e32 v[24:25], v[14:15], v[22:23]
	s_wait_xcnt 0x0
	global_atomic_add_f64 v[20:21], v[26:27], off scope:SCOPE_DEV
	s_wait_xcnt 0x0
	global_atomic_add_f64 v[20:21], v[24:25], off offset:8 scope:SCOPE_DEV
	s_branch .LBB391_15
.LBB391_18:
	s_endpgm
	.section	.rodata,"a",@progbits
	.p2align	6, 0x0
	.amdhsa_kernel _ZN9rocsparseL21csrmvt_general_kernelILj256ELj4Ell21rocsparse_complex_numIfES1_IdES3_S3_EEvbbT2_NS_24const_host_device_scalarIT6_EEPKT1_SA_PKS4_PKT3_PKT4_PT5_21rocsparse_index_base_b
		.amdhsa_group_segment_fixed_size 0
		.amdhsa_private_segment_fixed_size 0
		.amdhsa_kernarg_size 344
		.amdhsa_user_sgpr_count 2
		.amdhsa_user_sgpr_dispatch_ptr 0
		.amdhsa_user_sgpr_queue_ptr 0
		.amdhsa_user_sgpr_kernarg_segment_ptr 1
		.amdhsa_user_sgpr_dispatch_id 0
		.amdhsa_user_sgpr_kernarg_preload_length 0
		.amdhsa_user_sgpr_kernarg_preload_offset 0
		.amdhsa_user_sgpr_private_segment_size 0
		.amdhsa_wavefront_size32 1
		.amdhsa_uses_dynamic_stack 0
		.amdhsa_enable_private_segment 0
		.amdhsa_system_sgpr_workgroup_id_x 1
		.amdhsa_system_sgpr_workgroup_id_y 0
		.amdhsa_system_sgpr_workgroup_id_z 0
		.amdhsa_system_sgpr_workgroup_info 0
		.amdhsa_system_vgpr_workitem_id 0
		.amdhsa_next_free_vgpr 32
		.amdhsa_next_free_sgpr 26
		.amdhsa_named_barrier_count 0
		.amdhsa_reserve_vcc 1
		.amdhsa_float_round_mode_32 0
		.amdhsa_float_round_mode_16_64 0
		.amdhsa_float_denorm_mode_32 3
		.amdhsa_float_denorm_mode_16_64 3
		.amdhsa_fp16_overflow 0
		.amdhsa_memory_ordered 1
		.amdhsa_forward_progress 1
		.amdhsa_inst_pref_size 9
		.amdhsa_round_robin_scheduling 0
		.amdhsa_exception_fp_ieee_invalid_op 0
		.amdhsa_exception_fp_denorm_src 0
		.amdhsa_exception_fp_ieee_div_zero 0
		.amdhsa_exception_fp_ieee_overflow 0
		.amdhsa_exception_fp_ieee_underflow 0
		.amdhsa_exception_fp_ieee_inexact 0
		.amdhsa_exception_int_div_zero 0
	.end_amdhsa_kernel
	.section	.text._ZN9rocsparseL21csrmvt_general_kernelILj256ELj4Ell21rocsparse_complex_numIfES1_IdES3_S3_EEvbbT2_NS_24const_host_device_scalarIT6_EEPKT1_SA_PKS4_PKT3_PKT4_PT5_21rocsparse_index_base_b,"axG",@progbits,_ZN9rocsparseL21csrmvt_general_kernelILj256ELj4Ell21rocsparse_complex_numIfES1_IdES3_S3_EEvbbT2_NS_24const_host_device_scalarIT6_EEPKT1_SA_PKS4_PKT3_PKT4_PT5_21rocsparse_index_base_b,comdat
.Lfunc_end391:
	.size	_ZN9rocsparseL21csrmvt_general_kernelILj256ELj4Ell21rocsparse_complex_numIfES1_IdES3_S3_EEvbbT2_NS_24const_host_device_scalarIT6_EEPKT1_SA_PKS4_PKT3_PKT4_PT5_21rocsparse_index_base_b, .Lfunc_end391-_ZN9rocsparseL21csrmvt_general_kernelILj256ELj4Ell21rocsparse_complex_numIfES1_IdES3_S3_EEvbbT2_NS_24const_host_device_scalarIT6_EEPKT1_SA_PKS4_PKT3_PKT4_PT5_21rocsparse_index_base_b
                                        ; -- End function
	.set _ZN9rocsparseL21csrmvt_general_kernelILj256ELj4Ell21rocsparse_complex_numIfES1_IdES3_S3_EEvbbT2_NS_24const_host_device_scalarIT6_EEPKT1_SA_PKS4_PKT3_PKT4_PT5_21rocsparse_index_base_b.num_vgpr, 32
	.set _ZN9rocsparseL21csrmvt_general_kernelILj256ELj4Ell21rocsparse_complex_numIfES1_IdES3_S3_EEvbbT2_NS_24const_host_device_scalarIT6_EEPKT1_SA_PKS4_PKT3_PKT4_PT5_21rocsparse_index_base_b.num_agpr, 0
	.set _ZN9rocsparseL21csrmvt_general_kernelILj256ELj4Ell21rocsparse_complex_numIfES1_IdES3_S3_EEvbbT2_NS_24const_host_device_scalarIT6_EEPKT1_SA_PKS4_PKT3_PKT4_PT5_21rocsparse_index_base_b.numbered_sgpr, 26
	.set _ZN9rocsparseL21csrmvt_general_kernelILj256ELj4Ell21rocsparse_complex_numIfES1_IdES3_S3_EEvbbT2_NS_24const_host_device_scalarIT6_EEPKT1_SA_PKS4_PKT3_PKT4_PT5_21rocsparse_index_base_b.num_named_barrier, 0
	.set _ZN9rocsparseL21csrmvt_general_kernelILj256ELj4Ell21rocsparse_complex_numIfES1_IdES3_S3_EEvbbT2_NS_24const_host_device_scalarIT6_EEPKT1_SA_PKS4_PKT3_PKT4_PT5_21rocsparse_index_base_b.private_seg_size, 0
	.set _ZN9rocsparseL21csrmvt_general_kernelILj256ELj4Ell21rocsparse_complex_numIfES1_IdES3_S3_EEvbbT2_NS_24const_host_device_scalarIT6_EEPKT1_SA_PKS4_PKT3_PKT4_PT5_21rocsparse_index_base_b.uses_vcc, 1
	.set _ZN9rocsparseL21csrmvt_general_kernelILj256ELj4Ell21rocsparse_complex_numIfES1_IdES3_S3_EEvbbT2_NS_24const_host_device_scalarIT6_EEPKT1_SA_PKS4_PKT3_PKT4_PT5_21rocsparse_index_base_b.uses_flat_scratch, 0
	.set _ZN9rocsparseL21csrmvt_general_kernelILj256ELj4Ell21rocsparse_complex_numIfES1_IdES3_S3_EEvbbT2_NS_24const_host_device_scalarIT6_EEPKT1_SA_PKS4_PKT3_PKT4_PT5_21rocsparse_index_base_b.has_dyn_sized_stack, 0
	.set _ZN9rocsparseL21csrmvt_general_kernelILj256ELj4Ell21rocsparse_complex_numIfES1_IdES3_S3_EEvbbT2_NS_24const_host_device_scalarIT6_EEPKT1_SA_PKS4_PKT3_PKT4_PT5_21rocsparse_index_base_b.has_recursion, 0
	.set _ZN9rocsparseL21csrmvt_general_kernelILj256ELj4Ell21rocsparse_complex_numIfES1_IdES3_S3_EEvbbT2_NS_24const_host_device_scalarIT6_EEPKT1_SA_PKS4_PKT3_PKT4_PT5_21rocsparse_index_base_b.has_indirect_call, 0
	.section	.AMDGPU.csdata,"",@progbits
; Kernel info:
; codeLenInByte = 1068
; TotalNumSgprs: 28
; NumVgprs: 32
; ScratchSize: 0
; MemoryBound: 0
; FloatMode: 240
; IeeeMode: 1
; LDSByteSize: 0 bytes/workgroup (compile time only)
; SGPRBlocks: 0
; VGPRBlocks: 1
; NumSGPRsForWavesPerEU: 28
; NumVGPRsForWavesPerEU: 32
; NamedBarCnt: 0
; Occupancy: 16
; WaveLimiterHint : 1
; COMPUTE_PGM_RSRC2:SCRATCH_EN: 0
; COMPUTE_PGM_RSRC2:USER_SGPR: 2
; COMPUTE_PGM_RSRC2:TRAP_HANDLER: 0
; COMPUTE_PGM_RSRC2:TGID_X_EN: 1
; COMPUTE_PGM_RSRC2:TGID_Y_EN: 0
; COMPUTE_PGM_RSRC2:TGID_Z_EN: 0
; COMPUTE_PGM_RSRC2:TIDIG_COMP_CNT: 0
	.section	.text._ZN9rocsparseL21csrmvt_general_kernelILj256ELj8Ell21rocsparse_complex_numIfES1_IdES3_S3_EEvbbT2_NS_24const_host_device_scalarIT6_EEPKT1_SA_PKS4_PKT3_PKT4_PT5_21rocsparse_index_base_b,"axG",@progbits,_ZN9rocsparseL21csrmvt_general_kernelILj256ELj8Ell21rocsparse_complex_numIfES1_IdES3_S3_EEvbbT2_NS_24const_host_device_scalarIT6_EEPKT1_SA_PKS4_PKT3_PKT4_PT5_21rocsparse_index_base_b,comdat
	.globl	_ZN9rocsparseL21csrmvt_general_kernelILj256ELj8Ell21rocsparse_complex_numIfES1_IdES3_S3_EEvbbT2_NS_24const_host_device_scalarIT6_EEPKT1_SA_PKS4_PKT3_PKT4_PT5_21rocsparse_index_base_b ; -- Begin function _ZN9rocsparseL21csrmvt_general_kernelILj256ELj8Ell21rocsparse_complex_numIfES1_IdES3_S3_EEvbbT2_NS_24const_host_device_scalarIT6_EEPKT1_SA_PKS4_PKT3_PKT4_PT5_21rocsparse_index_base_b
	.p2align	8
	.type	_ZN9rocsparseL21csrmvt_general_kernelILj256ELj8Ell21rocsparse_complex_numIfES1_IdES3_S3_EEvbbT2_NS_24const_host_device_scalarIT6_EEPKT1_SA_PKS4_PKT3_PKT4_PT5_21rocsparse_index_base_b,@function
_ZN9rocsparseL21csrmvt_general_kernelILj256ELj8Ell21rocsparse_complex_numIfES1_IdES3_S3_EEvbbT2_NS_24const_host_device_scalarIT6_EEPKT1_SA_PKS4_PKT3_PKT4_PT5_21rocsparse_index_base_b: ; @_ZN9rocsparseL21csrmvt_general_kernelILj256ELj8Ell21rocsparse_complex_numIfES1_IdES3_S3_EEvbbT2_NS_24const_host_device_scalarIT6_EEPKT1_SA_PKS4_PKT3_PKT4_PT5_21rocsparse_index_base_b
; %bb.0:
	s_clause 0x1
	s_load_b64 s[20:21], s[0:1], 0x50
	s_load_b128 s[12:15], s[0:1], 0x8
	v_mov_b32_e32 v7, 0
	s_add_nc_u64 s[2:3], s[0:1], 16
	s_wait_kmcnt 0x0
	s_bitcmp1_b32 s21, 0
	s_cselect_b32 s3, s3, s15
	s_cselect_b32 s2, s2, s14
	flat_load_b128 v[2:5], v7, s[2:3]
	s_wait_loadcnt_dscnt 0x0
	v_cmp_neq_f64_e32 vcc_lo, 0, v[2:3]
	v_cmp_neq_f64_e64 s2, 0, v[4:5]
	s_or_b32 s2, vcc_lo, s2
	s_delay_alu instid0(SALU_CYCLE_1)
	s_and_saveexec_b32 s3, s2
	s_cbranch_execz .LBB392_18
; %bb.1:
	s_clause 0x1
	s_load_b32 s2, s[0:1], 0x0
	s_load_b32 s3, s[0:1], 0x58
	s_getreg_b32 s5, hwreg(HW_REG_IB_STS2, 6, 4)
	s_load_b128 s[16:19], s[0:1], 0x40
	s_wait_kmcnt 0x0
	s_and_b32 s14, s2, 1
	s_bitcmp1_b32 s2, 8
	s_cselect_b32 s22, -1, 0
	s_bfe_u32 s4, ttmp6, 0x4000c
	s_lshl_b32 s2, s3, 5
	s_add_co_i32 s4, s4, 1
	s_and_b32 s3, ttmp6, 15
	s_mul_i32 s4, ttmp9, s4
	s_delay_alu instid0(SALU_CYCLE_1)
	s_add_co_i32 s3, s3, s4
	s_cmp_eq_u32 s5, 0
	s_load_b256 s[4:11], s[0:1], 0x20
	s_wait_xcnt 0x0
	s_cselect_b32 s0, ttmp9, s3
	s_mov_b32 s3, 0
	v_lshl_or_b32 v1, s0, 8, v0
	s_cmp_eq_u32 s14, 0
	s_mov_b32 s1, -1
	s_delay_alu instid0(VALU_DEP_1) | instskip(NEXT) | instid1(VALU_DEP_1)
	v_dual_lshrrev_b32 v6, 3, v1 :: v_dual_bitop2_b32 v0, 7, v0 bitop3:0x40
	v_cmp_gt_i64_e64 s0, s[12:13], v[6:7]
	s_cbranch_scc0 .LBB392_9
; %bb.2:
	s_and_saveexec_b32 s1, s0
	s_cbranch_execz .LBB392_8
; %bb.3:
	v_mov_b32_e32 v1, 0
	s_mov_b32 s21, 0
	v_mov_b64_e32 v[10:11], v[6:7]
	s_wait_kmcnt 0x0
	s_add_nc_u64 s[14:15], s[10:11], 4
	s_mov_b32 s23, s21
	v_sub_nc_u64_e64 v[8:9], v[0:1], s[20:21]
	s_branch .LBB392_5
.LBB392_4:                              ;   in Loop: Header=BB392_5 Depth=1
	s_or_b32 exec_lo, exec_lo, s24
	v_add_nc_u64_e32 v[10:11], s[2:3], v[10:11]
	s_delay_alu instid0(VALU_DEP_1) | instskip(SKIP_1) | instid1(SALU_CYCLE_1)
	v_cmp_le_i64_e32 vcc_lo, s[12:13], v[10:11]
	s_or_b32 s23, vcc_lo, s23
	s_and_not1_b32 exec_lo, exec_lo, s23
	s_cbranch_execz .LBB392_8
.LBB392_5:                              ; =>This Loop Header: Depth=1
                                        ;     Child Loop BB392_7 Depth 2
	s_delay_alu instid0(VALU_DEP_2) | instskip(SKIP_1) | instid1(VALU_DEP_1)
	v_lshlrev_b64_e32 v[12:13], 3, v[10:11]
	s_mov_b32 s24, exec_lo
	v_add_nc_u64_e32 v[14:15], s[6:7], v[12:13]
	v_add_nc_u64_e32 v[12:13], s[4:5], v[12:13]
	global_load_b64 v[16:17], v[14:15], off
	global_load_b64 v[18:19], v[12:13], off
	s_wait_loadcnt 0x1
	s_wait_xcnt 0x0
	v_sub_nc_u64_e64 v[12:13], v[16:17], s[20:21]
	s_wait_loadcnt 0x0
	v_add_nc_u64_e32 v[14:15], v[18:19], v[8:9]
	s_delay_alu instid0(VALU_DEP_1)
	v_cmpx_lt_i64_e64 v[14:15], v[12:13]
	s_cbranch_execz .LBB392_4
; %bb.6:                                ;   in Loop: Header=BB392_5 Depth=1
	v_lshl_add_u64 v[16:17], v[10:11], 4, s[16:17]
	s_mov_b32 s25, 0
	global_load_b128 v[20:23], v[16:17], off
	s_wait_loadcnt 0x0
	s_wait_xcnt 0x0
	v_mul_f64_e64 v[16:17], v[22:23], -v[4:5]
	v_mul_f64_e32 v[18:19], v[2:3], v[22:23]
	v_lshlrev_b64_e32 v[22:23], 3, v[14:15]
	s_delay_alu instid0(VALU_DEP_3) | instskip(NEXT) | instid1(VALU_DEP_3)
	v_fmac_f64_e32 v[16:17], v[2:3], v[20:21]
	v_fmac_f64_e32 v[18:19], v[4:5], v[20:21]
	s_delay_alu instid0(VALU_DEP_3)
	v_add_nc_u64_e32 v[20:21], s[8:9], v[22:23]
	v_add_nc_u64_e32 v[22:23], s[14:15], v[22:23]
.LBB392_7:                              ;   Parent Loop BB392_5 Depth=1
                                        ; =>  This Inner Loop Header: Depth=2
	global_load_b64 v[24:25], v[22:23], off offset:-4
	global_load_b64 v[26:27], v[20:21], off
	v_add_nc_u64_e32 v[14:15], 8, v[14:15]
	s_wait_xcnt 0x0
	v_add_nc_u64_e32 v[20:21], 64, v[20:21]
	v_add_nc_u64_e32 v[22:23], 64, v[22:23]
	s_delay_alu instid0(VALU_DEP_3) | instskip(SKIP_4) | instid1(VALU_DEP_2)
	v_cmp_ge_i64_e32 vcc_lo, v[14:15], v[12:13]
	s_or_b32 s25, vcc_lo, s25
	s_wait_loadcnt 0x1
	v_cndmask_b32_e64 v1, v25, -v25, s22
	v_cvt_f64_f32_e32 v[24:25], v24
	v_cvt_f64_f32_e32 v[28:29], v1
	s_delay_alu instid0(VALU_DEP_1) | instskip(SKIP_1) | instid1(VALU_DEP_2)
	v_mul_f64_e64 v[30:31], -v[18:19], v[28:29]
	v_mul_f64_e32 v[28:29], v[16:17], v[28:29]
	v_fmac_f64_e32 v[30:31], v[16:17], v[24:25]
	s_delay_alu instid0(VALU_DEP_2) | instskip(SKIP_2) | instid1(VALU_DEP_1)
	v_fmac_f64_e32 v[28:29], v[18:19], v[24:25]
	s_wait_loadcnt 0x0
	v_sub_nc_u64_e64 v[24:25], v[26:27], s[20:21]
	v_lshl_add_u64 v[24:25], v[24:25], 4, s[18:19]
	global_atomic_add_f64 v[24:25], v[30:31], off scope:SCOPE_DEV
	s_wait_xcnt 0x0
	global_atomic_add_f64 v[24:25], v[28:29], off offset:8 scope:SCOPE_DEV
	s_wait_xcnt 0x0
	s_and_not1_b32 exec_lo, exec_lo, s25
	s_cbranch_execnz .LBB392_7
	s_branch .LBB392_4
.LBB392_8:
	s_or_b32 exec_lo, exec_lo, s1
	s_mov_b32 s1, 0
.LBB392_9:
	s_delay_alu instid0(SALU_CYCLE_1)
	s_and_not1_b32 vcc_lo, exec_lo, s1
	s_cbranch_vccnz .LBB392_18
; %bb.10:
	s_and_b32 exec_lo, exec_lo, s0
	s_cbranch_execz .LBB392_18
; %bb.11:
	v_mov_b32_e32 v1, 0
	s_mov_b32 s21, 0
	s_wait_kmcnt 0x0
	s_add_nc_u64 s[0:1], s[10:11], 4
	s_mov_b32 s10, s21
	v_sub_nc_u64_e64 v[0:1], v[0:1], s[20:21]
	s_branch .LBB392_13
.LBB392_12:                             ;   in Loop: Header=BB392_13 Depth=1
	s_or_b32 exec_lo, exec_lo, s11
	v_add_nc_u64_e32 v[6:7], s[2:3], v[6:7]
	s_delay_alu instid0(VALU_DEP_1) | instskip(SKIP_1) | instid1(SALU_CYCLE_1)
	v_cmp_le_i64_e32 vcc_lo, s[12:13], v[6:7]
	s_or_b32 s10, vcc_lo, s10
	s_and_not1_b32 exec_lo, exec_lo, s10
	s_cbranch_execz .LBB392_18
.LBB392_13:                             ; =>This Loop Header: Depth=1
                                        ;     Child Loop BB392_16 Depth 2
	v_lshlrev_b64_e32 v[8:9], 3, v[6:7]
	s_mov_b32 s11, exec_lo
	s_delay_alu instid0(VALU_DEP_1)
	v_add_nc_u64_e32 v[10:11], s[6:7], v[8:9]
	v_add_nc_u64_e32 v[8:9], s[4:5], v[8:9]
	global_load_b64 v[12:13], v[10:11], off
	global_load_b64 v[14:15], v[8:9], off
	s_wait_loadcnt 0x1
	s_wait_xcnt 0x0
	v_sub_nc_u64_e64 v[8:9], v[12:13], s[20:21]
	s_wait_loadcnt 0x0
	v_add_nc_u64_e32 v[10:11], v[14:15], v[0:1]
	s_delay_alu instid0(VALU_DEP_1)
	v_cmpx_lt_i64_e64 v[10:11], v[8:9]
	s_cbranch_execz .LBB392_12
; %bb.14:                               ;   in Loop: Header=BB392_13 Depth=1
	v_lshl_add_u64 v[12:13], v[6:7], 4, s[16:17]
	s_mov_b32 s14, 0
	global_load_b128 v[16:19], v[12:13], off
	s_wait_loadcnt 0x0
	v_mul_f64_e64 v[12:13], v[18:19], -v[4:5]
	v_mul_f64_e32 v[14:15], v[2:3], v[18:19]
	v_lshlrev_b64_e32 v[18:19], 3, v[10:11]
	s_delay_alu instid0(VALU_DEP_3) | instskip(NEXT) | instid1(VALU_DEP_3)
	v_fmac_f64_e32 v[12:13], v[2:3], v[16:17]
	v_fmac_f64_e32 v[14:15], v[4:5], v[16:17]
	s_delay_alu instid0(VALU_DEP_3)
	v_add_nc_u64_e32 v[16:17], s[8:9], v[18:19]
	v_add_nc_u64_e32 v[18:19], s[0:1], v[18:19]
	s_branch .LBB392_16
.LBB392_15:                             ;   in Loop: Header=BB392_16 Depth=2
	s_wait_xcnt 0x0
	s_or_b32 exec_lo, exec_lo, s15
	v_add_nc_u64_e32 v[10:11], 8, v[10:11]
	v_add_nc_u64_e32 v[16:17], 64, v[16:17]
	;; [unrolled: 1-line block ×3, first 2 shown]
	s_delay_alu instid0(VALU_DEP_3) | instskip(SKIP_1) | instid1(SALU_CYCLE_1)
	v_cmp_ge_i64_e32 vcc_lo, v[10:11], v[8:9]
	s_or_b32 s14, vcc_lo, s14
	s_and_not1_b32 exec_lo, exec_lo, s14
	s_cbranch_execz .LBB392_12
.LBB392_16:                             ;   Parent Loop BB392_13 Depth=1
                                        ; =>  This Inner Loop Header: Depth=2
	global_load_b64 v[20:21], v[16:17], off
	s_mov_b32 s15, exec_lo
	s_wait_loadcnt 0x0
	v_sub_nc_u64_e64 v[20:21], v[20:21], s[20:21]
	s_wait_xcnt 0x0
	s_delay_alu instid0(VALU_DEP_1)
	v_cmpx_ne_u64_e64 v[20:21], v[6:7]
	s_cbranch_execz .LBB392_15
; %bb.17:                               ;   in Loop: Header=BB392_16 Depth=2
	global_load_b64 v[22:23], v[18:19], off offset:-4
	v_lshl_add_u64 v[20:21], v[20:21], 4, s[18:19]
	s_wait_loadcnt 0x0
	v_cndmask_b32_e64 v23, v23, -v23, s22
	s_delay_alu instid0(VALU_DEP_1) | instskip(SKIP_1) | instid1(VALU_DEP_2)
	v_cvt_f64_f32_e32 v[24:25], v23
	v_cvt_f64_f32_e32 v[22:23], v22
	v_mul_f64_e64 v[26:27], -v[14:15], v[24:25]
	v_mul_f64_e32 v[24:25], v[12:13], v[24:25]
	s_delay_alu instid0(VALU_DEP_2) | instskip(NEXT) | instid1(VALU_DEP_2)
	v_fmac_f64_e32 v[26:27], v[12:13], v[22:23]
	v_fmac_f64_e32 v[24:25], v[14:15], v[22:23]
	s_wait_xcnt 0x0
	global_atomic_add_f64 v[20:21], v[26:27], off scope:SCOPE_DEV
	s_wait_xcnt 0x0
	global_atomic_add_f64 v[20:21], v[24:25], off offset:8 scope:SCOPE_DEV
	s_branch .LBB392_15
.LBB392_18:
	s_endpgm
	.section	.rodata,"a",@progbits
	.p2align	6, 0x0
	.amdhsa_kernel _ZN9rocsparseL21csrmvt_general_kernelILj256ELj8Ell21rocsparse_complex_numIfES1_IdES3_S3_EEvbbT2_NS_24const_host_device_scalarIT6_EEPKT1_SA_PKS4_PKT3_PKT4_PT5_21rocsparse_index_base_b
		.amdhsa_group_segment_fixed_size 0
		.amdhsa_private_segment_fixed_size 0
		.amdhsa_kernarg_size 344
		.amdhsa_user_sgpr_count 2
		.amdhsa_user_sgpr_dispatch_ptr 0
		.amdhsa_user_sgpr_queue_ptr 0
		.amdhsa_user_sgpr_kernarg_segment_ptr 1
		.amdhsa_user_sgpr_dispatch_id 0
		.amdhsa_user_sgpr_kernarg_preload_length 0
		.amdhsa_user_sgpr_kernarg_preload_offset 0
		.amdhsa_user_sgpr_private_segment_size 0
		.amdhsa_wavefront_size32 1
		.amdhsa_uses_dynamic_stack 0
		.amdhsa_enable_private_segment 0
		.amdhsa_system_sgpr_workgroup_id_x 1
		.amdhsa_system_sgpr_workgroup_id_y 0
		.amdhsa_system_sgpr_workgroup_id_z 0
		.amdhsa_system_sgpr_workgroup_info 0
		.amdhsa_system_vgpr_workitem_id 0
		.amdhsa_next_free_vgpr 32
		.amdhsa_next_free_sgpr 26
		.amdhsa_named_barrier_count 0
		.amdhsa_reserve_vcc 1
		.amdhsa_float_round_mode_32 0
		.amdhsa_float_round_mode_16_64 0
		.amdhsa_float_denorm_mode_32 3
		.amdhsa_float_denorm_mode_16_64 3
		.amdhsa_fp16_overflow 0
		.amdhsa_memory_ordered 1
		.amdhsa_forward_progress 1
		.amdhsa_inst_pref_size 9
		.amdhsa_round_robin_scheduling 0
		.amdhsa_exception_fp_ieee_invalid_op 0
		.amdhsa_exception_fp_denorm_src 0
		.amdhsa_exception_fp_ieee_div_zero 0
		.amdhsa_exception_fp_ieee_overflow 0
		.amdhsa_exception_fp_ieee_underflow 0
		.amdhsa_exception_fp_ieee_inexact 0
		.amdhsa_exception_int_div_zero 0
	.end_amdhsa_kernel
	.section	.text._ZN9rocsparseL21csrmvt_general_kernelILj256ELj8Ell21rocsparse_complex_numIfES1_IdES3_S3_EEvbbT2_NS_24const_host_device_scalarIT6_EEPKT1_SA_PKS4_PKT3_PKT4_PT5_21rocsparse_index_base_b,"axG",@progbits,_ZN9rocsparseL21csrmvt_general_kernelILj256ELj8Ell21rocsparse_complex_numIfES1_IdES3_S3_EEvbbT2_NS_24const_host_device_scalarIT6_EEPKT1_SA_PKS4_PKT3_PKT4_PT5_21rocsparse_index_base_b,comdat
.Lfunc_end392:
	.size	_ZN9rocsparseL21csrmvt_general_kernelILj256ELj8Ell21rocsparse_complex_numIfES1_IdES3_S3_EEvbbT2_NS_24const_host_device_scalarIT6_EEPKT1_SA_PKS4_PKT3_PKT4_PT5_21rocsparse_index_base_b, .Lfunc_end392-_ZN9rocsparseL21csrmvt_general_kernelILj256ELj8Ell21rocsparse_complex_numIfES1_IdES3_S3_EEvbbT2_NS_24const_host_device_scalarIT6_EEPKT1_SA_PKS4_PKT3_PKT4_PT5_21rocsparse_index_base_b
                                        ; -- End function
	.set _ZN9rocsparseL21csrmvt_general_kernelILj256ELj8Ell21rocsparse_complex_numIfES1_IdES3_S3_EEvbbT2_NS_24const_host_device_scalarIT6_EEPKT1_SA_PKS4_PKT3_PKT4_PT5_21rocsparse_index_base_b.num_vgpr, 32
	.set _ZN9rocsparseL21csrmvt_general_kernelILj256ELj8Ell21rocsparse_complex_numIfES1_IdES3_S3_EEvbbT2_NS_24const_host_device_scalarIT6_EEPKT1_SA_PKS4_PKT3_PKT4_PT5_21rocsparse_index_base_b.num_agpr, 0
	.set _ZN9rocsparseL21csrmvt_general_kernelILj256ELj8Ell21rocsparse_complex_numIfES1_IdES3_S3_EEvbbT2_NS_24const_host_device_scalarIT6_EEPKT1_SA_PKS4_PKT3_PKT4_PT5_21rocsparse_index_base_b.numbered_sgpr, 26
	.set _ZN9rocsparseL21csrmvt_general_kernelILj256ELj8Ell21rocsparse_complex_numIfES1_IdES3_S3_EEvbbT2_NS_24const_host_device_scalarIT6_EEPKT1_SA_PKS4_PKT3_PKT4_PT5_21rocsparse_index_base_b.num_named_barrier, 0
	.set _ZN9rocsparseL21csrmvt_general_kernelILj256ELj8Ell21rocsparse_complex_numIfES1_IdES3_S3_EEvbbT2_NS_24const_host_device_scalarIT6_EEPKT1_SA_PKS4_PKT3_PKT4_PT5_21rocsparse_index_base_b.private_seg_size, 0
	.set _ZN9rocsparseL21csrmvt_general_kernelILj256ELj8Ell21rocsparse_complex_numIfES1_IdES3_S3_EEvbbT2_NS_24const_host_device_scalarIT6_EEPKT1_SA_PKS4_PKT3_PKT4_PT5_21rocsparse_index_base_b.uses_vcc, 1
	.set _ZN9rocsparseL21csrmvt_general_kernelILj256ELj8Ell21rocsparse_complex_numIfES1_IdES3_S3_EEvbbT2_NS_24const_host_device_scalarIT6_EEPKT1_SA_PKS4_PKT3_PKT4_PT5_21rocsparse_index_base_b.uses_flat_scratch, 0
	.set _ZN9rocsparseL21csrmvt_general_kernelILj256ELj8Ell21rocsparse_complex_numIfES1_IdES3_S3_EEvbbT2_NS_24const_host_device_scalarIT6_EEPKT1_SA_PKS4_PKT3_PKT4_PT5_21rocsparse_index_base_b.has_dyn_sized_stack, 0
	.set _ZN9rocsparseL21csrmvt_general_kernelILj256ELj8Ell21rocsparse_complex_numIfES1_IdES3_S3_EEvbbT2_NS_24const_host_device_scalarIT6_EEPKT1_SA_PKS4_PKT3_PKT4_PT5_21rocsparse_index_base_b.has_recursion, 0
	.set _ZN9rocsparseL21csrmvt_general_kernelILj256ELj8Ell21rocsparse_complex_numIfES1_IdES3_S3_EEvbbT2_NS_24const_host_device_scalarIT6_EEPKT1_SA_PKS4_PKT3_PKT4_PT5_21rocsparse_index_base_b.has_indirect_call, 0
	.section	.AMDGPU.csdata,"",@progbits
; Kernel info:
; codeLenInByte = 1068
; TotalNumSgprs: 28
; NumVgprs: 32
; ScratchSize: 0
; MemoryBound: 0
; FloatMode: 240
; IeeeMode: 1
; LDSByteSize: 0 bytes/workgroup (compile time only)
; SGPRBlocks: 0
; VGPRBlocks: 1
; NumSGPRsForWavesPerEU: 28
; NumVGPRsForWavesPerEU: 32
; NamedBarCnt: 0
; Occupancy: 16
; WaveLimiterHint : 1
; COMPUTE_PGM_RSRC2:SCRATCH_EN: 0
; COMPUTE_PGM_RSRC2:USER_SGPR: 2
; COMPUTE_PGM_RSRC2:TRAP_HANDLER: 0
; COMPUTE_PGM_RSRC2:TGID_X_EN: 1
; COMPUTE_PGM_RSRC2:TGID_Y_EN: 0
; COMPUTE_PGM_RSRC2:TGID_Z_EN: 0
; COMPUTE_PGM_RSRC2:TIDIG_COMP_CNT: 0
	.section	.text._ZN9rocsparseL21csrmvt_general_kernelILj256ELj16Ell21rocsparse_complex_numIfES1_IdES3_S3_EEvbbT2_NS_24const_host_device_scalarIT6_EEPKT1_SA_PKS4_PKT3_PKT4_PT5_21rocsparse_index_base_b,"axG",@progbits,_ZN9rocsparseL21csrmvt_general_kernelILj256ELj16Ell21rocsparse_complex_numIfES1_IdES3_S3_EEvbbT2_NS_24const_host_device_scalarIT6_EEPKT1_SA_PKS4_PKT3_PKT4_PT5_21rocsparse_index_base_b,comdat
	.globl	_ZN9rocsparseL21csrmvt_general_kernelILj256ELj16Ell21rocsparse_complex_numIfES1_IdES3_S3_EEvbbT2_NS_24const_host_device_scalarIT6_EEPKT1_SA_PKS4_PKT3_PKT4_PT5_21rocsparse_index_base_b ; -- Begin function _ZN9rocsparseL21csrmvt_general_kernelILj256ELj16Ell21rocsparse_complex_numIfES1_IdES3_S3_EEvbbT2_NS_24const_host_device_scalarIT6_EEPKT1_SA_PKS4_PKT3_PKT4_PT5_21rocsparse_index_base_b
	.p2align	8
	.type	_ZN9rocsparseL21csrmvt_general_kernelILj256ELj16Ell21rocsparse_complex_numIfES1_IdES3_S3_EEvbbT2_NS_24const_host_device_scalarIT6_EEPKT1_SA_PKS4_PKT3_PKT4_PT5_21rocsparse_index_base_b,@function
_ZN9rocsparseL21csrmvt_general_kernelILj256ELj16Ell21rocsparse_complex_numIfES1_IdES3_S3_EEvbbT2_NS_24const_host_device_scalarIT6_EEPKT1_SA_PKS4_PKT3_PKT4_PT5_21rocsparse_index_base_b: ; @_ZN9rocsparseL21csrmvt_general_kernelILj256ELj16Ell21rocsparse_complex_numIfES1_IdES3_S3_EEvbbT2_NS_24const_host_device_scalarIT6_EEPKT1_SA_PKS4_PKT3_PKT4_PT5_21rocsparse_index_base_b
; %bb.0:
	s_clause 0x1
	s_load_b64 s[20:21], s[0:1], 0x50
	s_load_b128 s[12:15], s[0:1], 0x8
	v_mov_b32_e32 v7, 0
	s_add_nc_u64 s[2:3], s[0:1], 16
	s_wait_kmcnt 0x0
	s_bitcmp1_b32 s21, 0
	s_cselect_b32 s3, s3, s15
	s_cselect_b32 s2, s2, s14
	flat_load_b128 v[2:5], v7, s[2:3]
	s_wait_loadcnt_dscnt 0x0
	v_cmp_neq_f64_e32 vcc_lo, 0, v[2:3]
	v_cmp_neq_f64_e64 s2, 0, v[4:5]
	s_or_b32 s2, vcc_lo, s2
	s_delay_alu instid0(SALU_CYCLE_1)
	s_and_saveexec_b32 s3, s2
	s_cbranch_execz .LBB393_18
; %bb.1:
	s_clause 0x1
	s_load_b32 s2, s[0:1], 0x0
	s_load_b32 s3, s[0:1], 0x58
	s_getreg_b32 s5, hwreg(HW_REG_IB_STS2, 6, 4)
	s_load_b128 s[16:19], s[0:1], 0x40
	s_wait_kmcnt 0x0
	s_and_b32 s14, s2, 1
	s_bitcmp1_b32 s2, 8
	s_cselect_b32 s22, -1, 0
	s_bfe_u32 s4, ttmp6, 0x4000c
	s_lshl_b32 s2, s3, 4
	s_add_co_i32 s4, s4, 1
	s_and_b32 s3, ttmp6, 15
	s_mul_i32 s4, ttmp9, s4
	s_delay_alu instid0(SALU_CYCLE_1)
	s_add_co_i32 s3, s3, s4
	s_cmp_eq_u32 s5, 0
	s_load_b256 s[4:11], s[0:1], 0x20
	s_wait_xcnt 0x0
	s_cselect_b32 s0, ttmp9, s3
	s_mov_b32 s3, 0
	v_lshl_or_b32 v1, s0, 8, v0
	s_cmp_eq_u32 s14, 0
	s_mov_b32 s1, -1
	s_delay_alu instid0(VALU_DEP_1) | instskip(NEXT) | instid1(VALU_DEP_1)
	v_dual_lshrrev_b32 v6, 4, v1 :: v_dual_bitop2_b32 v0, 15, v0 bitop3:0x40
	v_cmp_gt_i64_e64 s0, s[12:13], v[6:7]
	s_cbranch_scc0 .LBB393_9
; %bb.2:
	s_and_saveexec_b32 s1, s0
	s_cbranch_execz .LBB393_8
; %bb.3:
	v_mov_b32_e32 v1, 0
	s_mov_b32 s21, 0
	v_mov_b64_e32 v[10:11], v[6:7]
	s_wait_kmcnt 0x0
	s_add_nc_u64 s[14:15], s[10:11], 4
	s_mov_b32 s23, s21
	v_sub_nc_u64_e64 v[8:9], v[0:1], s[20:21]
	s_branch .LBB393_5
.LBB393_4:                              ;   in Loop: Header=BB393_5 Depth=1
	s_or_b32 exec_lo, exec_lo, s24
	v_add_nc_u64_e32 v[10:11], s[2:3], v[10:11]
	s_delay_alu instid0(VALU_DEP_1) | instskip(SKIP_1) | instid1(SALU_CYCLE_1)
	v_cmp_le_i64_e32 vcc_lo, s[12:13], v[10:11]
	s_or_b32 s23, vcc_lo, s23
	s_and_not1_b32 exec_lo, exec_lo, s23
	s_cbranch_execz .LBB393_8
.LBB393_5:                              ; =>This Loop Header: Depth=1
                                        ;     Child Loop BB393_7 Depth 2
	s_delay_alu instid0(VALU_DEP_2) | instskip(SKIP_1) | instid1(VALU_DEP_1)
	v_lshlrev_b64_e32 v[12:13], 3, v[10:11]
	s_mov_b32 s24, exec_lo
	v_add_nc_u64_e32 v[14:15], s[6:7], v[12:13]
	v_add_nc_u64_e32 v[12:13], s[4:5], v[12:13]
	global_load_b64 v[16:17], v[14:15], off
	global_load_b64 v[18:19], v[12:13], off
	s_wait_loadcnt 0x1
	s_wait_xcnt 0x0
	v_sub_nc_u64_e64 v[12:13], v[16:17], s[20:21]
	s_wait_loadcnt 0x0
	v_add_nc_u64_e32 v[14:15], v[18:19], v[8:9]
	s_delay_alu instid0(VALU_DEP_1)
	v_cmpx_lt_i64_e64 v[14:15], v[12:13]
	s_cbranch_execz .LBB393_4
; %bb.6:                                ;   in Loop: Header=BB393_5 Depth=1
	v_lshl_add_u64 v[16:17], v[10:11], 4, s[16:17]
	s_mov_b32 s25, 0
	global_load_b128 v[20:23], v[16:17], off
	s_wait_loadcnt 0x0
	s_wait_xcnt 0x0
	v_mul_f64_e64 v[16:17], v[22:23], -v[4:5]
	v_mul_f64_e32 v[18:19], v[2:3], v[22:23]
	v_lshlrev_b64_e32 v[22:23], 3, v[14:15]
	s_delay_alu instid0(VALU_DEP_3) | instskip(NEXT) | instid1(VALU_DEP_3)
	v_fmac_f64_e32 v[16:17], v[2:3], v[20:21]
	v_fmac_f64_e32 v[18:19], v[4:5], v[20:21]
	s_delay_alu instid0(VALU_DEP_3)
	v_add_nc_u64_e32 v[20:21], s[8:9], v[22:23]
	v_add_nc_u64_e32 v[22:23], s[14:15], v[22:23]
.LBB393_7:                              ;   Parent Loop BB393_5 Depth=1
                                        ; =>  This Inner Loop Header: Depth=2
	global_load_b64 v[24:25], v[22:23], off offset:-4
	global_load_b64 v[26:27], v[20:21], off
	v_add_nc_u64_e32 v[14:15], 16, v[14:15]
	s_wait_xcnt 0x0
	v_add_nc_u64_e32 v[20:21], 0x80, v[20:21]
	v_add_nc_u64_e32 v[22:23], 0x80, v[22:23]
	s_delay_alu instid0(VALU_DEP_3) | instskip(SKIP_4) | instid1(VALU_DEP_2)
	v_cmp_ge_i64_e32 vcc_lo, v[14:15], v[12:13]
	s_or_b32 s25, vcc_lo, s25
	s_wait_loadcnt 0x1
	v_cndmask_b32_e64 v1, v25, -v25, s22
	v_cvt_f64_f32_e32 v[24:25], v24
	v_cvt_f64_f32_e32 v[28:29], v1
	s_delay_alu instid0(VALU_DEP_1) | instskip(SKIP_1) | instid1(VALU_DEP_2)
	v_mul_f64_e64 v[30:31], -v[18:19], v[28:29]
	v_mul_f64_e32 v[28:29], v[16:17], v[28:29]
	v_fmac_f64_e32 v[30:31], v[16:17], v[24:25]
	s_delay_alu instid0(VALU_DEP_2) | instskip(SKIP_2) | instid1(VALU_DEP_1)
	v_fmac_f64_e32 v[28:29], v[18:19], v[24:25]
	s_wait_loadcnt 0x0
	v_sub_nc_u64_e64 v[24:25], v[26:27], s[20:21]
	v_lshl_add_u64 v[24:25], v[24:25], 4, s[18:19]
	global_atomic_add_f64 v[24:25], v[30:31], off scope:SCOPE_DEV
	s_wait_xcnt 0x0
	global_atomic_add_f64 v[24:25], v[28:29], off offset:8 scope:SCOPE_DEV
	s_wait_xcnt 0x0
	s_and_not1_b32 exec_lo, exec_lo, s25
	s_cbranch_execnz .LBB393_7
	s_branch .LBB393_4
.LBB393_8:
	s_or_b32 exec_lo, exec_lo, s1
	s_mov_b32 s1, 0
.LBB393_9:
	s_delay_alu instid0(SALU_CYCLE_1)
	s_and_not1_b32 vcc_lo, exec_lo, s1
	s_cbranch_vccnz .LBB393_18
; %bb.10:
	s_and_b32 exec_lo, exec_lo, s0
	s_cbranch_execz .LBB393_18
; %bb.11:
	v_mov_b32_e32 v1, 0
	s_mov_b32 s21, 0
	s_wait_kmcnt 0x0
	s_add_nc_u64 s[0:1], s[10:11], 4
	s_mov_b32 s10, s21
	v_sub_nc_u64_e64 v[0:1], v[0:1], s[20:21]
	s_branch .LBB393_13
.LBB393_12:                             ;   in Loop: Header=BB393_13 Depth=1
	s_or_b32 exec_lo, exec_lo, s11
	v_add_nc_u64_e32 v[6:7], s[2:3], v[6:7]
	s_delay_alu instid0(VALU_DEP_1) | instskip(SKIP_1) | instid1(SALU_CYCLE_1)
	v_cmp_le_i64_e32 vcc_lo, s[12:13], v[6:7]
	s_or_b32 s10, vcc_lo, s10
	s_and_not1_b32 exec_lo, exec_lo, s10
	s_cbranch_execz .LBB393_18
.LBB393_13:                             ; =>This Loop Header: Depth=1
                                        ;     Child Loop BB393_16 Depth 2
	v_lshlrev_b64_e32 v[8:9], 3, v[6:7]
	s_mov_b32 s11, exec_lo
	s_delay_alu instid0(VALU_DEP_1)
	v_add_nc_u64_e32 v[10:11], s[6:7], v[8:9]
	v_add_nc_u64_e32 v[8:9], s[4:5], v[8:9]
	global_load_b64 v[12:13], v[10:11], off
	global_load_b64 v[14:15], v[8:9], off
	s_wait_loadcnt 0x1
	s_wait_xcnt 0x0
	v_sub_nc_u64_e64 v[8:9], v[12:13], s[20:21]
	s_wait_loadcnt 0x0
	v_add_nc_u64_e32 v[10:11], v[14:15], v[0:1]
	s_delay_alu instid0(VALU_DEP_1)
	v_cmpx_lt_i64_e64 v[10:11], v[8:9]
	s_cbranch_execz .LBB393_12
; %bb.14:                               ;   in Loop: Header=BB393_13 Depth=1
	v_lshl_add_u64 v[12:13], v[6:7], 4, s[16:17]
	s_mov_b32 s14, 0
	global_load_b128 v[16:19], v[12:13], off
	s_wait_loadcnt 0x0
	v_mul_f64_e64 v[12:13], v[18:19], -v[4:5]
	v_mul_f64_e32 v[14:15], v[2:3], v[18:19]
	v_lshlrev_b64_e32 v[18:19], 3, v[10:11]
	s_delay_alu instid0(VALU_DEP_3) | instskip(NEXT) | instid1(VALU_DEP_3)
	v_fmac_f64_e32 v[12:13], v[2:3], v[16:17]
	v_fmac_f64_e32 v[14:15], v[4:5], v[16:17]
	s_delay_alu instid0(VALU_DEP_3)
	v_add_nc_u64_e32 v[16:17], s[8:9], v[18:19]
	v_add_nc_u64_e32 v[18:19], s[0:1], v[18:19]
	s_branch .LBB393_16
.LBB393_15:                             ;   in Loop: Header=BB393_16 Depth=2
	s_wait_xcnt 0x0
	s_or_b32 exec_lo, exec_lo, s15
	v_add_nc_u64_e32 v[10:11], 16, v[10:11]
	v_add_nc_u64_e32 v[16:17], 0x80, v[16:17]
	;; [unrolled: 1-line block ×3, first 2 shown]
	s_delay_alu instid0(VALU_DEP_3) | instskip(SKIP_1) | instid1(SALU_CYCLE_1)
	v_cmp_ge_i64_e32 vcc_lo, v[10:11], v[8:9]
	s_or_b32 s14, vcc_lo, s14
	s_and_not1_b32 exec_lo, exec_lo, s14
	s_cbranch_execz .LBB393_12
.LBB393_16:                             ;   Parent Loop BB393_13 Depth=1
                                        ; =>  This Inner Loop Header: Depth=2
	global_load_b64 v[20:21], v[16:17], off
	s_mov_b32 s15, exec_lo
	s_wait_loadcnt 0x0
	v_sub_nc_u64_e64 v[20:21], v[20:21], s[20:21]
	s_wait_xcnt 0x0
	s_delay_alu instid0(VALU_DEP_1)
	v_cmpx_ne_u64_e64 v[20:21], v[6:7]
	s_cbranch_execz .LBB393_15
; %bb.17:                               ;   in Loop: Header=BB393_16 Depth=2
	global_load_b64 v[22:23], v[18:19], off offset:-4
	v_lshl_add_u64 v[20:21], v[20:21], 4, s[18:19]
	s_wait_loadcnt 0x0
	v_cndmask_b32_e64 v23, v23, -v23, s22
	s_delay_alu instid0(VALU_DEP_1) | instskip(SKIP_1) | instid1(VALU_DEP_2)
	v_cvt_f64_f32_e32 v[24:25], v23
	v_cvt_f64_f32_e32 v[22:23], v22
	v_mul_f64_e64 v[26:27], -v[14:15], v[24:25]
	v_mul_f64_e32 v[24:25], v[12:13], v[24:25]
	s_delay_alu instid0(VALU_DEP_2) | instskip(NEXT) | instid1(VALU_DEP_2)
	v_fmac_f64_e32 v[26:27], v[12:13], v[22:23]
	v_fmac_f64_e32 v[24:25], v[14:15], v[22:23]
	s_wait_xcnt 0x0
	global_atomic_add_f64 v[20:21], v[26:27], off scope:SCOPE_DEV
	s_wait_xcnt 0x0
	global_atomic_add_f64 v[20:21], v[24:25], off offset:8 scope:SCOPE_DEV
	s_branch .LBB393_15
.LBB393_18:
	s_endpgm
	.section	.rodata,"a",@progbits
	.p2align	6, 0x0
	.amdhsa_kernel _ZN9rocsparseL21csrmvt_general_kernelILj256ELj16Ell21rocsparse_complex_numIfES1_IdES3_S3_EEvbbT2_NS_24const_host_device_scalarIT6_EEPKT1_SA_PKS4_PKT3_PKT4_PT5_21rocsparse_index_base_b
		.amdhsa_group_segment_fixed_size 0
		.amdhsa_private_segment_fixed_size 0
		.amdhsa_kernarg_size 344
		.amdhsa_user_sgpr_count 2
		.amdhsa_user_sgpr_dispatch_ptr 0
		.amdhsa_user_sgpr_queue_ptr 0
		.amdhsa_user_sgpr_kernarg_segment_ptr 1
		.amdhsa_user_sgpr_dispatch_id 0
		.amdhsa_user_sgpr_kernarg_preload_length 0
		.amdhsa_user_sgpr_kernarg_preload_offset 0
		.amdhsa_user_sgpr_private_segment_size 0
		.amdhsa_wavefront_size32 1
		.amdhsa_uses_dynamic_stack 0
		.amdhsa_enable_private_segment 0
		.amdhsa_system_sgpr_workgroup_id_x 1
		.amdhsa_system_sgpr_workgroup_id_y 0
		.amdhsa_system_sgpr_workgroup_id_z 0
		.amdhsa_system_sgpr_workgroup_info 0
		.amdhsa_system_vgpr_workitem_id 0
		.amdhsa_next_free_vgpr 32
		.amdhsa_next_free_sgpr 26
		.amdhsa_named_barrier_count 0
		.amdhsa_reserve_vcc 1
		.amdhsa_float_round_mode_32 0
		.amdhsa_float_round_mode_16_64 0
		.amdhsa_float_denorm_mode_32 3
		.amdhsa_float_denorm_mode_16_64 3
		.amdhsa_fp16_overflow 0
		.amdhsa_memory_ordered 1
		.amdhsa_forward_progress 1
		.amdhsa_inst_pref_size 9
		.amdhsa_round_robin_scheduling 0
		.amdhsa_exception_fp_ieee_invalid_op 0
		.amdhsa_exception_fp_denorm_src 0
		.amdhsa_exception_fp_ieee_div_zero 0
		.amdhsa_exception_fp_ieee_overflow 0
		.amdhsa_exception_fp_ieee_underflow 0
		.amdhsa_exception_fp_ieee_inexact 0
		.amdhsa_exception_int_div_zero 0
	.end_amdhsa_kernel
	.section	.text._ZN9rocsparseL21csrmvt_general_kernelILj256ELj16Ell21rocsparse_complex_numIfES1_IdES3_S3_EEvbbT2_NS_24const_host_device_scalarIT6_EEPKT1_SA_PKS4_PKT3_PKT4_PT5_21rocsparse_index_base_b,"axG",@progbits,_ZN9rocsparseL21csrmvt_general_kernelILj256ELj16Ell21rocsparse_complex_numIfES1_IdES3_S3_EEvbbT2_NS_24const_host_device_scalarIT6_EEPKT1_SA_PKS4_PKT3_PKT4_PT5_21rocsparse_index_base_b,comdat
.Lfunc_end393:
	.size	_ZN9rocsparseL21csrmvt_general_kernelILj256ELj16Ell21rocsparse_complex_numIfES1_IdES3_S3_EEvbbT2_NS_24const_host_device_scalarIT6_EEPKT1_SA_PKS4_PKT3_PKT4_PT5_21rocsparse_index_base_b, .Lfunc_end393-_ZN9rocsparseL21csrmvt_general_kernelILj256ELj16Ell21rocsparse_complex_numIfES1_IdES3_S3_EEvbbT2_NS_24const_host_device_scalarIT6_EEPKT1_SA_PKS4_PKT3_PKT4_PT5_21rocsparse_index_base_b
                                        ; -- End function
	.set _ZN9rocsparseL21csrmvt_general_kernelILj256ELj16Ell21rocsparse_complex_numIfES1_IdES3_S3_EEvbbT2_NS_24const_host_device_scalarIT6_EEPKT1_SA_PKS4_PKT3_PKT4_PT5_21rocsparse_index_base_b.num_vgpr, 32
	.set _ZN9rocsparseL21csrmvt_general_kernelILj256ELj16Ell21rocsparse_complex_numIfES1_IdES3_S3_EEvbbT2_NS_24const_host_device_scalarIT6_EEPKT1_SA_PKS4_PKT3_PKT4_PT5_21rocsparse_index_base_b.num_agpr, 0
	.set _ZN9rocsparseL21csrmvt_general_kernelILj256ELj16Ell21rocsparse_complex_numIfES1_IdES3_S3_EEvbbT2_NS_24const_host_device_scalarIT6_EEPKT1_SA_PKS4_PKT3_PKT4_PT5_21rocsparse_index_base_b.numbered_sgpr, 26
	.set _ZN9rocsparseL21csrmvt_general_kernelILj256ELj16Ell21rocsparse_complex_numIfES1_IdES3_S3_EEvbbT2_NS_24const_host_device_scalarIT6_EEPKT1_SA_PKS4_PKT3_PKT4_PT5_21rocsparse_index_base_b.num_named_barrier, 0
	.set _ZN9rocsparseL21csrmvt_general_kernelILj256ELj16Ell21rocsparse_complex_numIfES1_IdES3_S3_EEvbbT2_NS_24const_host_device_scalarIT6_EEPKT1_SA_PKS4_PKT3_PKT4_PT5_21rocsparse_index_base_b.private_seg_size, 0
	.set _ZN9rocsparseL21csrmvt_general_kernelILj256ELj16Ell21rocsparse_complex_numIfES1_IdES3_S3_EEvbbT2_NS_24const_host_device_scalarIT6_EEPKT1_SA_PKS4_PKT3_PKT4_PT5_21rocsparse_index_base_b.uses_vcc, 1
	.set _ZN9rocsparseL21csrmvt_general_kernelILj256ELj16Ell21rocsparse_complex_numIfES1_IdES3_S3_EEvbbT2_NS_24const_host_device_scalarIT6_EEPKT1_SA_PKS4_PKT3_PKT4_PT5_21rocsparse_index_base_b.uses_flat_scratch, 0
	.set _ZN9rocsparseL21csrmvt_general_kernelILj256ELj16Ell21rocsparse_complex_numIfES1_IdES3_S3_EEvbbT2_NS_24const_host_device_scalarIT6_EEPKT1_SA_PKS4_PKT3_PKT4_PT5_21rocsparse_index_base_b.has_dyn_sized_stack, 0
	.set _ZN9rocsparseL21csrmvt_general_kernelILj256ELj16Ell21rocsparse_complex_numIfES1_IdES3_S3_EEvbbT2_NS_24const_host_device_scalarIT6_EEPKT1_SA_PKS4_PKT3_PKT4_PT5_21rocsparse_index_base_b.has_recursion, 0
	.set _ZN9rocsparseL21csrmvt_general_kernelILj256ELj16Ell21rocsparse_complex_numIfES1_IdES3_S3_EEvbbT2_NS_24const_host_device_scalarIT6_EEPKT1_SA_PKS4_PKT3_PKT4_PT5_21rocsparse_index_base_b.has_indirect_call, 0
	.section	.AMDGPU.csdata,"",@progbits
; Kernel info:
; codeLenInByte = 1084
; TotalNumSgprs: 28
; NumVgprs: 32
; ScratchSize: 0
; MemoryBound: 0
; FloatMode: 240
; IeeeMode: 1
; LDSByteSize: 0 bytes/workgroup (compile time only)
; SGPRBlocks: 0
; VGPRBlocks: 1
; NumSGPRsForWavesPerEU: 28
; NumVGPRsForWavesPerEU: 32
; NamedBarCnt: 0
; Occupancy: 16
; WaveLimiterHint : 1
; COMPUTE_PGM_RSRC2:SCRATCH_EN: 0
; COMPUTE_PGM_RSRC2:USER_SGPR: 2
; COMPUTE_PGM_RSRC2:TRAP_HANDLER: 0
; COMPUTE_PGM_RSRC2:TGID_X_EN: 1
; COMPUTE_PGM_RSRC2:TGID_Y_EN: 0
; COMPUTE_PGM_RSRC2:TGID_Z_EN: 0
; COMPUTE_PGM_RSRC2:TIDIG_COMP_CNT: 0
	.section	.text._ZN9rocsparseL21csrmvt_general_kernelILj256ELj32Ell21rocsparse_complex_numIfES1_IdES3_S3_EEvbbT2_NS_24const_host_device_scalarIT6_EEPKT1_SA_PKS4_PKT3_PKT4_PT5_21rocsparse_index_base_b,"axG",@progbits,_ZN9rocsparseL21csrmvt_general_kernelILj256ELj32Ell21rocsparse_complex_numIfES1_IdES3_S3_EEvbbT2_NS_24const_host_device_scalarIT6_EEPKT1_SA_PKS4_PKT3_PKT4_PT5_21rocsparse_index_base_b,comdat
	.globl	_ZN9rocsparseL21csrmvt_general_kernelILj256ELj32Ell21rocsparse_complex_numIfES1_IdES3_S3_EEvbbT2_NS_24const_host_device_scalarIT6_EEPKT1_SA_PKS4_PKT3_PKT4_PT5_21rocsparse_index_base_b ; -- Begin function _ZN9rocsparseL21csrmvt_general_kernelILj256ELj32Ell21rocsparse_complex_numIfES1_IdES3_S3_EEvbbT2_NS_24const_host_device_scalarIT6_EEPKT1_SA_PKS4_PKT3_PKT4_PT5_21rocsparse_index_base_b
	.p2align	8
	.type	_ZN9rocsparseL21csrmvt_general_kernelILj256ELj32Ell21rocsparse_complex_numIfES1_IdES3_S3_EEvbbT2_NS_24const_host_device_scalarIT6_EEPKT1_SA_PKS4_PKT3_PKT4_PT5_21rocsparse_index_base_b,@function
_ZN9rocsparseL21csrmvt_general_kernelILj256ELj32Ell21rocsparse_complex_numIfES1_IdES3_S3_EEvbbT2_NS_24const_host_device_scalarIT6_EEPKT1_SA_PKS4_PKT3_PKT4_PT5_21rocsparse_index_base_b: ; @_ZN9rocsparseL21csrmvt_general_kernelILj256ELj32Ell21rocsparse_complex_numIfES1_IdES3_S3_EEvbbT2_NS_24const_host_device_scalarIT6_EEPKT1_SA_PKS4_PKT3_PKT4_PT5_21rocsparse_index_base_b
; %bb.0:
	s_clause 0x1
	s_load_b64 s[20:21], s[0:1], 0x50
	s_load_b128 s[12:15], s[0:1], 0x8
	v_mov_b32_e32 v7, 0
	s_add_nc_u64 s[2:3], s[0:1], 16
	s_wait_kmcnt 0x0
	s_bitcmp1_b32 s21, 0
	s_cselect_b32 s3, s3, s15
	s_cselect_b32 s2, s2, s14
	flat_load_b128 v[2:5], v7, s[2:3]
	s_wait_loadcnt_dscnt 0x0
	v_cmp_neq_f64_e32 vcc_lo, 0, v[2:3]
	v_cmp_neq_f64_e64 s2, 0, v[4:5]
	s_or_b32 s2, vcc_lo, s2
	s_delay_alu instid0(SALU_CYCLE_1)
	s_and_saveexec_b32 s3, s2
	s_cbranch_execz .LBB394_18
; %bb.1:
	s_clause 0x1
	s_load_b32 s2, s[0:1], 0x0
	s_load_b32 s3, s[0:1], 0x58
	s_getreg_b32 s5, hwreg(HW_REG_IB_STS2, 6, 4)
	s_load_b128 s[16:19], s[0:1], 0x40
	s_wait_kmcnt 0x0
	s_and_b32 s14, s2, 1
	s_bitcmp1_b32 s2, 8
	s_cselect_b32 s22, -1, 0
	s_bfe_u32 s4, ttmp6, 0x4000c
	s_lshl_b32 s2, s3, 3
	s_add_co_i32 s4, s4, 1
	s_and_b32 s3, ttmp6, 15
	s_mul_i32 s4, ttmp9, s4
	s_delay_alu instid0(SALU_CYCLE_1)
	s_add_co_i32 s3, s3, s4
	s_cmp_eq_u32 s5, 0
	s_load_b256 s[4:11], s[0:1], 0x20
	s_wait_xcnt 0x0
	s_cselect_b32 s0, ttmp9, s3
	s_mov_b32 s3, 0
	v_lshl_or_b32 v1, s0, 8, v0
	s_cmp_eq_u32 s14, 0
	s_mov_b32 s1, -1
	s_delay_alu instid0(VALU_DEP_1) | instskip(NEXT) | instid1(VALU_DEP_1)
	v_dual_lshrrev_b32 v6, 5, v1 :: v_dual_bitop2_b32 v0, 31, v0 bitop3:0x40
	v_cmp_gt_i64_e64 s0, s[12:13], v[6:7]
	s_cbranch_scc0 .LBB394_9
; %bb.2:
	s_and_saveexec_b32 s1, s0
	s_cbranch_execz .LBB394_8
; %bb.3:
	v_mov_b32_e32 v1, 0
	s_mov_b32 s21, 0
	v_mov_b64_e32 v[10:11], v[6:7]
	s_wait_kmcnt 0x0
	s_add_nc_u64 s[14:15], s[10:11], 4
	s_mov_b32 s23, s21
	v_sub_nc_u64_e64 v[8:9], v[0:1], s[20:21]
	s_branch .LBB394_5
.LBB394_4:                              ;   in Loop: Header=BB394_5 Depth=1
	s_or_b32 exec_lo, exec_lo, s24
	v_add_nc_u64_e32 v[10:11], s[2:3], v[10:11]
	s_delay_alu instid0(VALU_DEP_1) | instskip(SKIP_1) | instid1(SALU_CYCLE_1)
	v_cmp_le_i64_e32 vcc_lo, s[12:13], v[10:11]
	s_or_b32 s23, vcc_lo, s23
	s_and_not1_b32 exec_lo, exec_lo, s23
	s_cbranch_execz .LBB394_8
.LBB394_5:                              ; =>This Loop Header: Depth=1
                                        ;     Child Loop BB394_7 Depth 2
	s_delay_alu instid0(VALU_DEP_2) | instskip(SKIP_1) | instid1(VALU_DEP_1)
	v_lshlrev_b64_e32 v[12:13], 3, v[10:11]
	s_mov_b32 s24, exec_lo
	v_add_nc_u64_e32 v[14:15], s[6:7], v[12:13]
	v_add_nc_u64_e32 v[12:13], s[4:5], v[12:13]
	global_load_b64 v[16:17], v[14:15], off
	global_load_b64 v[18:19], v[12:13], off
	s_wait_loadcnt 0x1
	s_wait_xcnt 0x0
	v_sub_nc_u64_e64 v[12:13], v[16:17], s[20:21]
	s_wait_loadcnt 0x0
	v_add_nc_u64_e32 v[14:15], v[18:19], v[8:9]
	s_delay_alu instid0(VALU_DEP_1)
	v_cmpx_lt_i64_e64 v[14:15], v[12:13]
	s_cbranch_execz .LBB394_4
; %bb.6:                                ;   in Loop: Header=BB394_5 Depth=1
	v_lshl_add_u64 v[16:17], v[10:11], 4, s[16:17]
	s_mov_b32 s25, 0
	global_load_b128 v[20:23], v[16:17], off
	s_wait_loadcnt 0x0
	s_wait_xcnt 0x0
	v_mul_f64_e64 v[16:17], v[22:23], -v[4:5]
	v_mul_f64_e32 v[18:19], v[2:3], v[22:23]
	v_lshlrev_b64_e32 v[22:23], 3, v[14:15]
	s_delay_alu instid0(VALU_DEP_3) | instskip(NEXT) | instid1(VALU_DEP_3)
	v_fmac_f64_e32 v[16:17], v[2:3], v[20:21]
	v_fmac_f64_e32 v[18:19], v[4:5], v[20:21]
	s_delay_alu instid0(VALU_DEP_3)
	v_add_nc_u64_e32 v[20:21], s[8:9], v[22:23]
	v_add_nc_u64_e32 v[22:23], s[14:15], v[22:23]
.LBB394_7:                              ;   Parent Loop BB394_5 Depth=1
                                        ; =>  This Inner Loop Header: Depth=2
	global_load_b64 v[24:25], v[22:23], off offset:-4
	global_load_b64 v[26:27], v[20:21], off
	v_add_nc_u64_e32 v[14:15], 32, v[14:15]
	s_wait_xcnt 0x0
	v_add_nc_u64_e32 v[20:21], 0x100, v[20:21]
	v_add_nc_u64_e32 v[22:23], 0x100, v[22:23]
	s_delay_alu instid0(VALU_DEP_3) | instskip(SKIP_4) | instid1(VALU_DEP_2)
	v_cmp_ge_i64_e32 vcc_lo, v[14:15], v[12:13]
	s_or_b32 s25, vcc_lo, s25
	s_wait_loadcnt 0x1
	v_cndmask_b32_e64 v1, v25, -v25, s22
	v_cvt_f64_f32_e32 v[24:25], v24
	v_cvt_f64_f32_e32 v[28:29], v1
	s_delay_alu instid0(VALU_DEP_1) | instskip(SKIP_1) | instid1(VALU_DEP_2)
	v_mul_f64_e64 v[30:31], -v[18:19], v[28:29]
	v_mul_f64_e32 v[28:29], v[16:17], v[28:29]
	v_fmac_f64_e32 v[30:31], v[16:17], v[24:25]
	s_delay_alu instid0(VALU_DEP_2) | instskip(SKIP_2) | instid1(VALU_DEP_1)
	v_fmac_f64_e32 v[28:29], v[18:19], v[24:25]
	s_wait_loadcnt 0x0
	v_sub_nc_u64_e64 v[24:25], v[26:27], s[20:21]
	v_lshl_add_u64 v[24:25], v[24:25], 4, s[18:19]
	global_atomic_add_f64 v[24:25], v[30:31], off scope:SCOPE_DEV
	s_wait_xcnt 0x0
	global_atomic_add_f64 v[24:25], v[28:29], off offset:8 scope:SCOPE_DEV
	s_wait_xcnt 0x0
	s_and_not1_b32 exec_lo, exec_lo, s25
	s_cbranch_execnz .LBB394_7
	s_branch .LBB394_4
.LBB394_8:
	s_or_b32 exec_lo, exec_lo, s1
	s_mov_b32 s1, 0
.LBB394_9:
	s_delay_alu instid0(SALU_CYCLE_1)
	s_and_not1_b32 vcc_lo, exec_lo, s1
	s_cbranch_vccnz .LBB394_18
; %bb.10:
	s_and_b32 exec_lo, exec_lo, s0
	s_cbranch_execz .LBB394_18
; %bb.11:
	v_mov_b32_e32 v1, 0
	s_mov_b32 s21, 0
	s_wait_kmcnt 0x0
	s_add_nc_u64 s[0:1], s[10:11], 4
	s_mov_b32 s10, s21
	v_sub_nc_u64_e64 v[0:1], v[0:1], s[20:21]
	s_branch .LBB394_13
.LBB394_12:                             ;   in Loop: Header=BB394_13 Depth=1
	s_or_b32 exec_lo, exec_lo, s11
	v_add_nc_u64_e32 v[6:7], s[2:3], v[6:7]
	s_delay_alu instid0(VALU_DEP_1) | instskip(SKIP_1) | instid1(SALU_CYCLE_1)
	v_cmp_le_i64_e32 vcc_lo, s[12:13], v[6:7]
	s_or_b32 s10, vcc_lo, s10
	s_and_not1_b32 exec_lo, exec_lo, s10
	s_cbranch_execz .LBB394_18
.LBB394_13:                             ; =>This Loop Header: Depth=1
                                        ;     Child Loop BB394_16 Depth 2
	v_lshlrev_b64_e32 v[8:9], 3, v[6:7]
	s_mov_b32 s11, exec_lo
	s_delay_alu instid0(VALU_DEP_1)
	v_add_nc_u64_e32 v[10:11], s[6:7], v[8:9]
	v_add_nc_u64_e32 v[8:9], s[4:5], v[8:9]
	global_load_b64 v[12:13], v[10:11], off
	global_load_b64 v[14:15], v[8:9], off
	s_wait_loadcnt 0x1
	s_wait_xcnt 0x0
	v_sub_nc_u64_e64 v[8:9], v[12:13], s[20:21]
	s_wait_loadcnt 0x0
	v_add_nc_u64_e32 v[10:11], v[14:15], v[0:1]
	s_delay_alu instid0(VALU_DEP_1)
	v_cmpx_lt_i64_e64 v[10:11], v[8:9]
	s_cbranch_execz .LBB394_12
; %bb.14:                               ;   in Loop: Header=BB394_13 Depth=1
	v_lshl_add_u64 v[12:13], v[6:7], 4, s[16:17]
	s_mov_b32 s14, 0
	global_load_b128 v[16:19], v[12:13], off
	s_wait_loadcnt 0x0
	v_mul_f64_e64 v[12:13], v[18:19], -v[4:5]
	v_mul_f64_e32 v[14:15], v[2:3], v[18:19]
	v_lshlrev_b64_e32 v[18:19], 3, v[10:11]
	s_delay_alu instid0(VALU_DEP_3) | instskip(NEXT) | instid1(VALU_DEP_3)
	v_fmac_f64_e32 v[12:13], v[2:3], v[16:17]
	v_fmac_f64_e32 v[14:15], v[4:5], v[16:17]
	s_delay_alu instid0(VALU_DEP_3)
	v_add_nc_u64_e32 v[16:17], s[8:9], v[18:19]
	v_add_nc_u64_e32 v[18:19], s[0:1], v[18:19]
	s_branch .LBB394_16
.LBB394_15:                             ;   in Loop: Header=BB394_16 Depth=2
	s_wait_xcnt 0x0
	s_or_b32 exec_lo, exec_lo, s15
	v_add_nc_u64_e32 v[10:11], 32, v[10:11]
	v_add_nc_u64_e32 v[16:17], 0x100, v[16:17]
	;; [unrolled: 1-line block ×3, first 2 shown]
	s_delay_alu instid0(VALU_DEP_3) | instskip(SKIP_1) | instid1(SALU_CYCLE_1)
	v_cmp_ge_i64_e32 vcc_lo, v[10:11], v[8:9]
	s_or_b32 s14, vcc_lo, s14
	s_and_not1_b32 exec_lo, exec_lo, s14
	s_cbranch_execz .LBB394_12
.LBB394_16:                             ;   Parent Loop BB394_13 Depth=1
                                        ; =>  This Inner Loop Header: Depth=2
	global_load_b64 v[20:21], v[16:17], off
	s_mov_b32 s15, exec_lo
	s_wait_loadcnt 0x0
	v_sub_nc_u64_e64 v[20:21], v[20:21], s[20:21]
	s_wait_xcnt 0x0
	s_delay_alu instid0(VALU_DEP_1)
	v_cmpx_ne_u64_e64 v[20:21], v[6:7]
	s_cbranch_execz .LBB394_15
; %bb.17:                               ;   in Loop: Header=BB394_16 Depth=2
	global_load_b64 v[22:23], v[18:19], off offset:-4
	v_lshl_add_u64 v[20:21], v[20:21], 4, s[18:19]
	s_wait_loadcnt 0x0
	v_cndmask_b32_e64 v23, v23, -v23, s22
	s_delay_alu instid0(VALU_DEP_1) | instskip(SKIP_1) | instid1(VALU_DEP_2)
	v_cvt_f64_f32_e32 v[24:25], v23
	v_cvt_f64_f32_e32 v[22:23], v22
	v_mul_f64_e64 v[26:27], -v[14:15], v[24:25]
	v_mul_f64_e32 v[24:25], v[12:13], v[24:25]
	s_delay_alu instid0(VALU_DEP_2) | instskip(NEXT) | instid1(VALU_DEP_2)
	v_fmac_f64_e32 v[26:27], v[12:13], v[22:23]
	v_fmac_f64_e32 v[24:25], v[14:15], v[22:23]
	s_wait_xcnt 0x0
	global_atomic_add_f64 v[20:21], v[26:27], off scope:SCOPE_DEV
	s_wait_xcnt 0x0
	global_atomic_add_f64 v[20:21], v[24:25], off offset:8 scope:SCOPE_DEV
	s_branch .LBB394_15
.LBB394_18:
	s_endpgm
	.section	.rodata,"a",@progbits
	.p2align	6, 0x0
	.amdhsa_kernel _ZN9rocsparseL21csrmvt_general_kernelILj256ELj32Ell21rocsparse_complex_numIfES1_IdES3_S3_EEvbbT2_NS_24const_host_device_scalarIT6_EEPKT1_SA_PKS4_PKT3_PKT4_PT5_21rocsparse_index_base_b
		.amdhsa_group_segment_fixed_size 0
		.amdhsa_private_segment_fixed_size 0
		.amdhsa_kernarg_size 344
		.amdhsa_user_sgpr_count 2
		.amdhsa_user_sgpr_dispatch_ptr 0
		.amdhsa_user_sgpr_queue_ptr 0
		.amdhsa_user_sgpr_kernarg_segment_ptr 1
		.amdhsa_user_sgpr_dispatch_id 0
		.amdhsa_user_sgpr_kernarg_preload_length 0
		.amdhsa_user_sgpr_kernarg_preload_offset 0
		.amdhsa_user_sgpr_private_segment_size 0
		.amdhsa_wavefront_size32 1
		.amdhsa_uses_dynamic_stack 0
		.amdhsa_enable_private_segment 0
		.amdhsa_system_sgpr_workgroup_id_x 1
		.amdhsa_system_sgpr_workgroup_id_y 0
		.amdhsa_system_sgpr_workgroup_id_z 0
		.amdhsa_system_sgpr_workgroup_info 0
		.amdhsa_system_vgpr_workitem_id 0
		.amdhsa_next_free_vgpr 32
		.amdhsa_next_free_sgpr 26
		.amdhsa_named_barrier_count 0
		.amdhsa_reserve_vcc 1
		.amdhsa_float_round_mode_32 0
		.amdhsa_float_round_mode_16_64 0
		.amdhsa_float_denorm_mode_32 3
		.amdhsa_float_denorm_mode_16_64 3
		.amdhsa_fp16_overflow 0
		.amdhsa_memory_ordered 1
		.amdhsa_forward_progress 1
		.amdhsa_inst_pref_size 9
		.amdhsa_round_robin_scheduling 0
		.amdhsa_exception_fp_ieee_invalid_op 0
		.amdhsa_exception_fp_denorm_src 0
		.amdhsa_exception_fp_ieee_div_zero 0
		.amdhsa_exception_fp_ieee_overflow 0
		.amdhsa_exception_fp_ieee_underflow 0
		.amdhsa_exception_fp_ieee_inexact 0
		.amdhsa_exception_int_div_zero 0
	.end_amdhsa_kernel
	.section	.text._ZN9rocsparseL21csrmvt_general_kernelILj256ELj32Ell21rocsparse_complex_numIfES1_IdES3_S3_EEvbbT2_NS_24const_host_device_scalarIT6_EEPKT1_SA_PKS4_PKT3_PKT4_PT5_21rocsparse_index_base_b,"axG",@progbits,_ZN9rocsparseL21csrmvt_general_kernelILj256ELj32Ell21rocsparse_complex_numIfES1_IdES3_S3_EEvbbT2_NS_24const_host_device_scalarIT6_EEPKT1_SA_PKS4_PKT3_PKT4_PT5_21rocsparse_index_base_b,comdat
.Lfunc_end394:
	.size	_ZN9rocsparseL21csrmvt_general_kernelILj256ELj32Ell21rocsparse_complex_numIfES1_IdES3_S3_EEvbbT2_NS_24const_host_device_scalarIT6_EEPKT1_SA_PKS4_PKT3_PKT4_PT5_21rocsparse_index_base_b, .Lfunc_end394-_ZN9rocsparseL21csrmvt_general_kernelILj256ELj32Ell21rocsparse_complex_numIfES1_IdES3_S3_EEvbbT2_NS_24const_host_device_scalarIT6_EEPKT1_SA_PKS4_PKT3_PKT4_PT5_21rocsparse_index_base_b
                                        ; -- End function
	.set _ZN9rocsparseL21csrmvt_general_kernelILj256ELj32Ell21rocsparse_complex_numIfES1_IdES3_S3_EEvbbT2_NS_24const_host_device_scalarIT6_EEPKT1_SA_PKS4_PKT3_PKT4_PT5_21rocsparse_index_base_b.num_vgpr, 32
	.set _ZN9rocsparseL21csrmvt_general_kernelILj256ELj32Ell21rocsparse_complex_numIfES1_IdES3_S3_EEvbbT2_NS_24const_host_device_scalarIT6_EEPKT1_SA_PKS4_PKT3_PKT4_PT5_21rocsparse_index_base_b.num_agpr, 0
	.set _ZN9rocsparseL21csrmvt_general_kernelILj256ELj32Ell21rocsparse_complex_numIfES1_IdES3_S3_EEvbbT2_NS_24const_host_device_scalarIT6_EEPKT1_SA_PKS4_PKT3_PKT4_PT5_21rocsparse_index_base_b.numbered_sgpr, 26
	.set _ZN9rocsparseL21csrmvt_general_kernelILj256ELj32Ell21rocsparse_complex_numIfES1_IdES3_S3_EEvbbT2_NS_24const_host_device_scalarIT6_EEPKT1_SA_PKS4_PKT3_PKT4_PT5_21rocsparse_index_base_b.num_named_barrier, 0
	.set _ZN9rocsparseL21csrmvt_general_kernelILj256ELj32Ell21rocsparse_complex_numIfES1_IdES3_S3_EEvbbT2_NS_24const_host_device_scalarIT6_EEPKT1_SA_PKS4_PKT3_PKT4_PT5_21rocsparse_index_base_b.private_seg_size, 0
	.set _ZN9rocsparseL21csrmvt_general_kernelILj256ELj32Ell21rocsparse_complex_numIfES1_IdES3_S3_EEvbbT2_NS_24const_host_device_scalarIT6_EEPKT1_SA_PKS4_PKT3_PKT4_PT5_21rocsparse_index_base_b.uses_vcc, 1
	.set _ZN9rocsparseL21csrmvt_general_kernelILj256ELj32Ell21rocsparse_complex_numIfES1_IdES3_S3_EEvbbT2_NS_24const_host_device_scalarIT6_EEPKT1_SA_PKS4_PKT3_PKT4_PT5_21rocsparse_index_base_b.uses_flat_scratch, 0
	.set _ZN9rocsparseL21csrmvt_general_kernelILj256ELj32Ell21rocsparse_complex_numIfES1_IdES3_S3_EEvbbT2_NS_24const_host_device_scalarIT6_EEPKT1_SA_PKS4_PKT3_PKT4_PT5_21rocsparse_index_base_b.has_dyn_sized_stack, 0
	.set _ZN9rocsparseL21csrmvt_general_kernelILj256ELj32Ell21rocsparse_complex_numIfES1_IdES3_S3_EEvbbT2_NS_24const_host_device_scalarIT6_EEPKT1_SA_PKS4_PKT3_PKT4_PT5_21rocsparse_index_base_b.has_recursion, 0
	.set _ZN9rocsparseL21csrmvt_general_kernelILj256ELj32Ell21rocsparse_complex_numIfES1_IdES3_S3_EEvbbT2_NS_24const_host_device_scalarIT6_EEPKT1_SA_PKS4_PKT3_PKT4_PT5_21rocsparse_index_base_b.has_indirect_call, 0
	.section	.AMDGPU.csdata,"",@progbits
; Kernel info:
; codeLenInByte = 1084
; TotalNumSgprs: 28
; NumVgprs: 32
; ScratchSize: 0
; MemoryBound: 0
; FloatMode: 240
; IeeeMode: 1
; LDSByteSize: 0 bytes/workgroup (compile time only)
; SGPRBlocks: 0
; VGPRBlocks: 1
; NumSGPRsForWavesPerEU: 28
; NumVGPRsForWavesPerEU: 32
; NamedBarCnt: 0
; Occupancy: 16
; WaveLimiterHint : 1
; COMPUTE_PGM_RSRC2:SCRATCH_EN: 0
; COMPUTE_PGM_RSRC2:USER_SGPR: 2
; COMPUTE_PGM_RSRC2:TRAP_HANDLER: 0
; COMPUTE_PGM_RSRC2:TGID_X_EN: 1
; COMPUTE_PGM_RSRC2:TGID_Y_EN: 0
; COMPUTE_PGM_RSRC2:TGID_Z_EN: 0
; COMPUTE_PGM_RSRC2:TIDIG_COMP_CNT: 0
	.section	.text._ZN9rocsparseL21csrmvt_general_kernelILj256ELj64Ell21rocsparse_complex_numIfES1_IdES3_S3_EEvbbT2_NS_24const_host_device_scalarIT6_EEPKT1_SA_PKS4_PKT3_PKT4_PT5_21rocsparse_index_base_b,"axG",@progbits,_ZN9rocsparseL21csrmvt_general_kernelILj256ELj64Ell21rocsparse_complex_numIfES1_IdES3_S3_EEvbbT2_NS_24const_host_device_scalarIT6_EEPKT1_SA_PKS4_PKT3_PKT4_PT5_21rocsparse_index_base_b,comdat
	.globl	_ZN9rocsparseL21csrmvt_general_kernelILj256ELj64Ell21rocsparse_complex_numIfES1_IdES3_S3_EEvbbT2_NS_24const_host_device_scalarIT6_EEPKT1_SA_PKS4_PKT3_PKT4_PT5_21rocsparse_index_base_b ; -- Begin function _ZN9rocsparseL21csrmvt_general_kernelILj256ELj64Ell21rocsparse_complex_numIfES1_IdES3_S3_EEvbbT2_NS_24const_host_device_scalarIT6_EEPKT1_SA_PKS4_PKT3_PKT4_PT5_21rocsparse_index_base_b
	.p2align	8
	.type	_ZN9rocsparseL21csrmvt_general_kernelILj256ELj64Ell21rocsparse_complex_numIfES1_IdES3_S3_EEvbbT2_NS_24const_host_device_scalarIT6_EEPKT1_SA_PKS4_PKT3_PKT4_PT5_21rocsparse_index_base_b,@function
_ZN9rocsparseL21csrmvt_general_kernelILj256ELj64Ell21rocsparse_complex_numIfES1_IdES3_S3_EEvbbT2_NS_24const_host_device_scalarIT6_EEPKT1_SA_PKS4_PKT3_PKT4_PT5_21rocsparse_index_base_b: ; @_ZN9rocsparseL21csrmvt_general_kernelILj256ELj64Ell21rocsparse_complex_numIfES1_IdES3_S3_EEvbbT2_NS_24const_host_device_scalarIT6_EEPKT1_SA_PKS4_PKT3_PKT4_PT5_21rocsparse_index_base_b
; %bb.0:
	s_clause 0x1
	s_load_b64 s[20:21], s[0:1], 0x50
	s_load_b128 s[12:15], s[0:1], 0x8
	v_mov_b32_e32 v7, 0
	s_add_nc_u64 s[2:3], s[0:1], 16
	s_wait_kmcnt 0x0
	s_bitcmp1_b32 s21, 0
	s_cselect_b32 s3, s3, s15
	s_cselect_b32 s2, s2, s14
	flat_load_b128 v[2:5], v7, s[2:3]
	s_wait_loadcnt_dscnt 0x0
	v_cmp_neq_f64_e32 vcc_lo, 0, v[2:3]
	v_cmp_neq_f64_e64 s2, 0, v[4:5]
	s_or_b32 s2, vcc_lo, s2
	s_delay_alu instid0(SALU_CYCLE_1)
	s_and_saveexec_b32 s3, s2
	s_cbranch_execz .LBB395_18
; %bb.1:
	s_clause 0x1
	s_load_b32 s2, s[0:1], 0x0
	s_load_b32 s3, s[0:1], 0x58
	s_getreg_b32 s5, hwreg(HW_REG_IB_STS2, 6, 4)
	s_load_b128 s[16:19], s[0:1], 0x40
	s_wait_kmcnt 0x0
	s_and_b32 s14, s2, 1
	s_bitcmp1_b32 s2, 8
	s_cselect_b32 s22, -1, 0
	s_bfe_u32 s4, ttmp6, 0x4000c
	s_lshl_b32 s2, s3, 2
	s_add_co_i32 s4, s4, 1
	s_and_b32 s3, ttmp6, 15
	s_mul_i32 s4, ttmp9, s4
	s_delay_alu instid0(SALU_CYCLE_1)
	s_add_co_i32 s3, s3, s4
	s_cmp_eq_u32 s5, 0
	s_load_b256 s[4:11], s[0:1], 0x20
	s_wait_xcnt 0x0
	s_cselect_b32 s0, ttmp9, s3
	s_mov_b32 s3, 0
	v_lshl_or_b32 v1, s0, 8, v0
	s_cmp_eq_u32 s14, 0
	s_mov_b32 s1, -1
	s_delay_alu instid0(VALU_DEP_1) | instskip(NEXT) | instid1(VALU_DEP_1)
	v_dual_lshrrev_b32 v6, 6, v1 :: v_dual_bitop2_b32 v0, 63, v0 bitop3:0x40
	v_cmp_gt_i64_e64 s0, s[12:13], v[6:7]
	s_cbranch_scc0 .LBB395_9
; %bb.2:
	s_and_saveexec_b32 s1, s0
	s_cbranch_execz .LBB395_8
; %bb.3:
	v_mov_b32_e32 v1, 0
	s_mov_b32 s21, 0
	v_mov_b64_e32 v[10:11], v[6:7]
	s_wait_kmcnt 0x0
	s_add_nc_u64 s[14:15], s[10:11], 4
	s_mov_b32 s23, s21
	v_sub_nc_u64_e64 v[8:9], v[0:1], s[20:21]
	s_branch .LBB395_5
.LBB395_4:                              ;   in Loop: Header=BB395_5 Depth=1
	s_or_b32 exec_lo, exec_lo, s24
	v_add_nc_u64_e32 v[10:11], s[2:3], v[10:11]
	s_delay_alu instid0(VALU_DEP_1) | instskip(SKIP_1) | instid1(SALU_CYCLE_1)
	v_cmp_le_i64_e32 vcc_lo, s[12:13], v[10:11]
	s_or_b32 s23, vcc_lo, s23
	s_and_not1_b32 exec_lo, exec_lo, s23
	s_cbranch_execz .LBB395_8
.LBB395_5:                              ; =>This Loop Header: Depth=1
                                        ;     Child Loop BB395_7 Depth 2
	s_delay_alu instid0(VALU_DEP_2) | instskip(SKIP_1) | instid1(VALU_DEP_1)
	v_lshlrev_b64_e32 v[12:13], 3, v[10:11]
	s_mov_b32 s24, exec_lo
	v_add_nc_u64_e32 v[14:15], s[6:7], v[12:13]
	v_add_nc_u64_e32 v[12:13], s[4:5], v[12:13]
	global_load_b64 v[16:17], v[14:15], off
	global_load_b64 v[18:19], v[12:13], off
	s_wait_loadcnt 0x1
	s_wait_xcnt 0x0
	v_sub_nc_u64_e64 v[12:13], v[16:17], s[20:21]
	s_wait_loadcnt 0x0
	v_add_nc_u64_e32 v[14:15], v[18:19], v[8:9]
	s_delay_alu instid0(VALU_DEP_1)
	v_cmpx_lt_i64_e64 v[14:15], v[12:13]
	s_cbranch_execz .LBB395_4
; %bb.6:                                ;   in Loop: Header=BB395_5 Depth=1
	v_lshl_add_u64 v[16:17], v[10:11], 4, s[16:17]
	s_mov_b32 s25, 0
	global_load_b128 v[20:23], v[16:17], off
	s_wait_loadcnt 0x0
	s_wait_xcnt 0x0
	v_mul_f64_e64 v[16:17], v[22:23], -v[4:5]
	v_mul_f64_e32 v[18:19], v[2:3], v[22:23]
	v_lshlrev_b64_e32 v[22:23], 3, v[14:15]
	s_delay_alu instid0(VALU_DEP_3) | instskip(NEXT) | instid1(VALU_DEP_3)
	v_fmac_f64_e32 v[16:17], v[2:3], v[20:21]
	v_fmac_f64_e32 v[18:19], v[4:5], v[20:21]
	s_delay_alu instid0(VALU_DEP_3)
	v_add_nc_u64_e32 v[20:21], s[8:9], v[22:23]
	v_add_nc_u64_e32 v[22:23], s[14:15], v[22:23]
.LBB395_7:                              ;   Parent Loop BB395_5 Depth=1
                                        ; =>  This Inner Loop Header: Depth=2
	global_load_b64 v[24:25], v[22:23], off offset:-4
	global_load_b64 v[26:27], v[20:21], off
	v_add_nc_u64_e32 v[14:15], 64, v[14:15]
	s_wait_xcnt 0x0
	v_add_nc_u64_e32 v[20:21], 0x200, v[20:21]
	v_add_nc_u64_e32 v[22:23], 0x200, v[22:23]
	s_delay_alu instid0(VALU_DEP_3) | instskip(SKIP_4) | instid1(VALU_DEP_2)
	v_cmp_ge_i64_e32 vcc_lo, v[14:15], v[12:13]
	s_or_b32 s25, vcc_lo, s25
	s_wait_loadcnt 0x1
	v_cndmask_b32_e64 v1, v25, -v25, s22
	v_cvt_f64_f32_e32 v[24:25], v24
	v_cvt_f64_f32_e32 v[28:29], v1
	s_delay_alu instid0(VALU_DEP_1) | instskip(SKIP_1) | instid1(VALU_DEP_2)
	v_mul_f64_e64 v[30:31], -v[18:19], v[28:29]
	v_mul_f64_e32 v[28:29], v[16:17], v[28:29]
	v_fmac_f64_e32 v[30:31], v[16:17], v[24:25]
	s_delay_alu instid0(VALU_DEP_2) | instskip(SKIP_2) | instid1(VALU_DEP_1)
	v_fmac_f64_e32 v[28:29], v[18:19], v[24:25]
	s_wait_loadcnt 0x0
	v_sub_nc_u64_e64 v[24:25], v[26:27], s[20:21]
	v_lshl_add_u64 v[24:25], v[24:25], 4, s[18:19]
	global_atomic_add_f64 v[24:25], v[30:31], off scope:SCOPE_DEV
	s_wait_xcnt 0x0
	global_atomic_add_f64 v[24:25], v[28:29], off offset:8 scope:SCOPE_DEV
	s_wait_xcnt 0x0
	s_and_not1_b32 exec_lo, exec_lo, s25
	s_cbranch_execnz .LBB395_7
	s_branch .LBB395_4
.LBB395_8:
	s_or_b32 exec_lo, exec_lo, s1
	s_mov_b32 s1, 0
.LBB395_9:
	s_delay_alu instid0(SALU_CYCLE_1)
	s_and_not1_b32 vcc_lo, exec_lo, s1
	s_cbranch_vccnz .LBB395_18
; %bb.10:
	s_and_b32 exec_lo, exec_lo, s0
	s_cbranch_execz .LBB395_18
; %bb.11:
	v_mov_b32_e32 v1, 0
	s_mov_b32 s21, 0
	s_wait_kmcnt 0x0
	s_add_nc_u64 s[0:1], s[10:11], 4
	s_mov_b32 s10, s21
	v_sub_nc_u64_e64 v[0:1], v[0:1], s[20:21]
	s_branch .LBB395_13
.LBB395_12:                             ;   in Loop: Header=BB395_13 Depth=1
	s_or_b32 exec_lo, exec_lo, s11
	v_add_nc_u64_e32 v[6:7], s[2:3], v[6:7]
	s_delay_alu instid0(VALU_DEP_1) | instskip(SKIP_1) | instid1(SALU_CYCLE_1)
	v_cmp_le_i64_e32 vcc_lo, s[12:13], v[6:7]
	s_or_b32 s10, vcc_lo, s10
	s_and_not1_b32 exec_lo, exec_lo, s10
	s_cbranch_execz .LBB395_18
.LBB395_13:                             ; =>This Loop Header: Depth=1
                                        ;     Child Loop BB395_16 Depth 2
	v_lshlrev_b64_e32 v[8:9], 3, v[6:7]
	s_mov_b32 s11, exec_lo
	s_delay_alu instid0(VALU_DEP_1)
	v_add_nc_u64_e32 v[10:11], s[6:7], v[8:9]
	v_add_nc_u64_e32 v[8:9], s[4:5], v[8:9]
	global_load_b64 v[12:13], v[10:11], off
	global_load_b64 v[14:15], v[8:9], off
	s_wait_loadcnt 0x1
	s_wait_xcnt 0x0
	v_sub_nc_u64_e64 v[8:9], v[12:13], s[20:21]
	s_wait_loadcnt 0x0
	v_add_nc_u64_e32 v[10:11], v[14:15], v[0:1]
	s_delay_alu instid0(VALU_DEP_1)
	v_cmpx_lt_i64_e64 v[10:11], v[8:9]
	s_cbranch_execz .LBB395_12
; %bb.14:                               ;   in Loop: Header=BB395_13 Depth=1
	v_lshl_add_u64 v[12:13], v[6:7], 4, s[16:17]
	s_mov_b32 s14, 0
	global_load_b128 v[16:19], v[12:13], off
	s_wait_loadcnt 0x0
	v_mul_f64_e64 v[12:13], v[18:19], -v[4:5]
	v_mul_f64_e32 v[14:15], v[2:3], v[18:19]
	v_lshlrev_b64_e32 v[18:19], 3, v[10:11]
	s_delay_alu instid0(VALU_DEP_3) | instskip(NEXT) | instid1(VALU_DEP_3)
	v_fmac_f64_e32 v[12:13], v[2:3], v[16:17]
	v_fmac_f64_e32 v[14:15], v[4:5], v[16:17]
	s_delay_alu instid0(VALU_DEP_3)
	v_add_nc_u64_e32 v[16:17], s[8:9], v[18:19]
	v_add_nc_u64_e32 v[18:19], s[0:1], v[18:19]
	s_branch .LBB395_16
.LBB395_15:                             ;   in Loop: Header=BB395_16 Depth=2
	s_wait_xcnt 0x0
	s_or_b32 exec_lo, exec_lo, s15
	v_add_nc_u64_e32 v[10:11], 64, v[10:11]
	v_add_nc_u64_e32 v[16:17], 0x200, v[16:17]
	;; [unrolled: 1-line block ×3, first 2 shown]
	s_delay_alu instid0(VALU_DEP_3) | instskip(SKIP_1) | instid1(SALU_CYCLE_1)
	v_cmp_ge_i64_e32 vcc_lo, v[10:11], v[8:9]
	s_or_b32 s14, vcc_lo, s14
	s_and_not1_b32 exec_lo, exec_lo, s14
	s_cbranch_execz .LBB395_12
.LBB395_16:                             ;   Parent Loop BB395_13 Depth=1
                                        ; =>  This Inner Loop Header: Depth=2
	global_load_b64 v[20:21], v[16:17], off
	s_mov_b32 s15, exec_lo
	s_wait_loadcnt 0x0
	v_sub_nc_u64_e64 v[20:21], v[20:21], s[20:21]
	s_wait_xcnt 0x0
	s_delay_alu instid0(VALU_DEP_1)
	v_cmpx_ne_u64_e64 v[20:21], v[6:7]
	s_cbranch_execz .LBB395_15
; %bb.17:                               ;   in Loop: Header=BB395_16 Depth=2
	global_load_b64 v[22:23], v[18:19], off offset:-4
	v_lshl_add_u64 v[20:21], v[20:21], 4, s[18:19]
	s_wait_loadcnt 0x0
	v_cndmask_b32_e64 v23, v23, -v23, s22
	s_delay_alu instid0(VALU_DEP_1) | instskip(SKIP_1) | instid1(VALU_DEP_2)
	v_cvt_f64_f32_e32 v[24:25], v23
	v_cvt_f64_f32_e32 v[22:23], v22
	v_mul_f64_e64 v[26:27], -v[14:15], v[24:25]
	v_mul_f64_e32 v[24:25], v[12:13], v[24:25]
	s_delay_alu instid0(VALU_DEP_2) | instskip(NEXT) | instid1(VALU_DEP_2)
	v_fmac_f64_e32 v[26:27], v[12:13], v[22:23]
	v_fmac_f64_e32 v[24:25], v[14:15], v[22:23]
	s_wait_xcnt 0x0
	global_atomic_add_f64 v[20:21], v[26:27], off scope:SCOPE_DEV
	s_wait_xcnt 0x0
	global_atomic_add_f64 v[20:21], v[24:25], off offset:8 scope:SCOPE_DEV
	s_branch .LBB395_15
.LBB395_18:
	s_endpgm
	.section	.rodata,"a",@progbits
	.p2align	6, 0x0
	.amdhsa_kernel _ZN9rocsparseL21csrmvt_general_kernelILj256ELj64Ell21rocsparse_complex_numIfES1_IdES3_S3_EEvbbT2_NS_24const_host_device_scalarIT6_EEPKT1_SA_PKS4_PKT3_PKT4_PT5_21rocsparse_index_base_b
		.amdhsa_group_segment_fixed_size 0
		.amdhsa_private_segment_fixed_size 0
		.amdhsa_kernarg_size 344
		.amdhsa_user_sgpr_count 2
		.amdhsa_user_sgpr_dispatch_ptr 0
		.amdhsa_user_sgpr_queue_ptr 0
		.amdhsa_user_sgpr_kernarg_segment_ptr 1
		.amdhsa_user_sgpr_dispatch_id 0
		.amdhsa_user_sgpr_kernarg_preload_length 0
		.amdhsa_user_sgpr_kernarg_preload_offset 0
		.amdhsa_user_sgpr_private_segment_size 0
		.amdhsa_wavefront_size32 1
		.amdhsa_uses_dynamic_stack 0
		.amdhsa_enable_private_segment 0
		.amdhsa_system_sgpr_workgroup_id_x 1
		.amdhsa_system_sgpr_workgroup_id_y 0
		.amdhsa_system_sgpr_workgroup_id_z 0
		.amdhsa_system_sgpr_workgroup_info 0
		.amdhsa_system_vgpr_workitem_id 0
		.amdhsa_next_free_vgpr 32
		.amdhsa_next_free_sgpr 26
		.amdhsa_named_barrier_count 0
		.amdhsa_reserve_vcc 1
		.amdhsa_float_round_mode_32 0
		.amdhsa_float_round_mode_16_64 0
		.amdhsa_float_denorm_mode_32 3
		.amdhsa_float_denorm_mode_16_64 3
		.amdhsa_fp16_overflow 0
		.amdhsa_memory_ordered 1
		.amdhsa_forward_progress 1
		.amdhsa_inst_pref_size 9
		.amdhsa_round_robin_scheduling 0
		.amdhsa_exception_fp_ieee_invalid_op 0
		.amdhsa_exception_fp_denorm_src 0
		.amdhsa_exception_fp_ieee_div_zero 0
		.amdhsa_exception_fp_ieee_overflow 0
		.amdhsa_exception_fp_ieee_underflow 0
		.amdhsa_exception_fp_ieee_inexact 0
		.amdhsa_exception_int_div_zero 0
	.end_amdhsa_kernel
	.section	.text._ZN9rocsparseL21csrmvt_general_kernelILj256ELj64Ell21rocsparse_complex_numIfES1_IdES3_S3_EEvbbT2_NS_24const_host_device_scalarIT6_EEPKT1_SA_PKS4_PKT3_PKT4_PT5_21rocsparse_index_base_b,"axG",@progbits,_ZN9rocsparseL21csrmvt_general_kernelILj256ELj64Ell21rocsparse_complex_numIfES1_IdES3_S3_EEvbbT2_NS_24const_host_device_scalarIT6_EEPKT1_SA_PKS4_PKT3_PKT4_PT5_21rocsparse_index_base_b,comdat
.Lfunc_end395:
	.size	_ZN9rocsparseL21csrmvt_general_kernelILj256ELj64Ell21rocsparse_complex_numIfES1_IdES3_S3_EEvbbT2_NS_24const_host_device_scalarIT6_EEPKT1_SA_PKS4_PKT3_PKT4_PT5_21rocsparse_index_base_b, .Lfunc_end395-_ZN9rocsparseL21csrmvt_general_kernelILj256ELj64Ell21rocsparse_complex_numIfES1_IdES3_S3_EEvbbT2_NS_24const_host_device_scalarIT6_EEPKT1_SA_PKS4_PKT3_PKT4_PT5_21rocsparse_index_base_b
                                        ; -- End function
	.set _ZN9rocsparseL21csrmvt_general_kernelILj256ELj64Ell21rocsparse_complex_numIfES1_IdES3_S3_EEvbbT2_NS_24const_host_device_scalarIT6_EEPKT1_SA_PKS4_PKT3_PKT4_PT5_21rocsparse_index_base_b.num_vgpr, 32
	.set _ZN9rocsparseL21csrmvt_general_kernelILj256ELj64Ell21rocsparse_complex_numIfES1_IdES3_S3_EEvbbT2_NS_24const_host_device_scalarIT6_EEPKT1_SA_PKS4_PKT3_PKT4_PT5_21rocsparse_index_base_b.num_agpr, 0
	.set _ZN9rocsparseL21csrmvt_general_kernelILj256ELj64Ell21rocsparse_complex_numIfES1_IdES3_S3_EEvbbT2_NS_24const_host_device_scalarIT6_EEPKT1_SA_PKS4_PKT3_PKT4_PT5_21rocsparse_index_base_b.numbered_sgpr, 26
	.set _ZN9rocsparseL21csrmvt_general_kernelILj256ELj64Ell21rocsparse_complex_numIfES1_IdES3_S3_EEvbbT2_NS_24const_host_device_scalarIT6_EEPKT1_SA_PKS4_PKT3_PKT4_PT5_21rocsparse_index_base_b.num_named_barrier, 0
	.set _ZN9rocsparseL21csrmvt_general_kernelILj256ELj64Ell21rocsparse_complex_numIfES1_IdES3_S3_EEvbbT2_NS_24const_host_device_scalarIT6_EEPKT1_SA_PKS4_PKT3_PKT4_PT5_21rocsparse_index_base_b.private_seg_size, 0
	.set _ZN9rocsparseL21csrmvt_general_kernelILj256ELj64Ell21rocsparse_complex_numIfES1_IdES3_S3_EEvbbT2_NS_24const_host_device_scalarIT6_EEPKT1_SA_PKS4_PKT3_PKT4_PT5_21rocsparse_index_base_b.uses_vcc, 1
	.set _ZN9rocsparseL21csrmvt_general_kernelILj256ELj64Ell21rocsparse_complex_numIfES1_IdES3_S3_EEvbbT2_NS_24const_host_device_scalarIT6_EEPKT1_SA_PKS4_PKT3_PKT4_PT5_21rocsparse_index_base_b.uses_flat_scratch, 0
	.set _ZN9rocsparseL21csrmvt_general_kernelILj256ELj64Ell21rocsparse_complex_numIfES1_IdES3_S3_EEvbbT2_NS_24const_host_device_scalarIT6_EEPKT1_SA_PKS4_PKT3_PKT4_PT5_21rocsparse_index_base_b.has_dyn_sized_stack, 0
	.set _ZN9rocsparseL21csrmvt_general_kernelILj256ELj64Ell21rocsparse_complex_numIfES1_IdES3_S3_EEvbbT2_NS_24const_host_device_scalarIT6_EEPKT1_SA_PKS4_PKT3_PKT4_PT5_21rocsparse_index_base_b.has_recursion, 0
	.set _ZN9rocsparseL21csrmvt_general_kernelILj256ELj64Ell21rocsparse_complex_numIfES1_IdES3_S3_EEvbbT2_NS_24const_host_device_scalarIT6_EEPKT1_SA_PKS4_PKT3_PKT4_PT5_21rocsparse_index_base_b.has_indirect_call, 0
	.section	.AMDGPU.csdata,"",@progbits
; Kernel info:
; codeLenInByte = 1084
; TotalNumSgprs: 28
; NumVgprs: 32
; ScratchSize: 0
; MemoryBound: 0
; FloatMode: 240
; IeeeMode: 1
; LDSByteSize: 0 bytes/workgroup (compile time only)
; SGPRBlocks: 0
; VGPRBlocks: 1
; NumSGPRsForWavesPerEU: 28
; NumVGPRsForWavesPerEU: 32
; NamedBarCnt: 0
; Occupancy: 16
; WaveLimiterHint : 1
; COMPUTE_PGM_RSRC2:SCRATCH_EN: 0
; COMPUTE_PGM_RSRC2:USER_SGPR: 2
; COMPUTE_PGM_RSRC2:TRAP_HANDLER: 0
; COMPUTE_PGM_RSRC2:TGID_X_EN: 1
; COMPUTE_PGM_RSRC2:TGID_Y_EN: 0
; COMPUTE_PGM_RSRC2:TGID_Z_EN: 0
; COMPUTE_PGM_RSRC2:TIDIG_COMP_CNT: 0
	.section	.AMDGPU.gpr_maximums,"",@progbits
	.set amdgpu.max_num_vgpr, 0
	.set amdgpu.max_num_agpr, 0
	.set amdgpu.max_num_sgpr, 0
	.section	.AMDGPU.csdata,"",@progbits
	.type	__hip_cuid_5f80d226ccc85e0f,@object ; @__hip_cuid_5f80d226ccc85e0f
	.section	.bss,"aw",@nobits
	.globl	__hip_cuid_5f80d226ccc85e0f
__hip_cuid_5f80d226ccc85e0f:
	.byte	0                               ; 0x0
	.size	__hip_cuid_5f80d226ccc85e0f, 1

	.ident	"AMD clang version 22.0.0git (https://github.com/RadeonOpenCompute/llvm-project roc-7.2.4 26084 f58b06dce1f9c15707c5f808fd002e18c2accf7e)"
	.section	".note.GNU-stack","",@progbits
	.addrsig
	.addrsig_sym __hip_cuid_5f80d226ccc85e0f
	.amdgpu_metadata
---
amdhsa.kernels:
  - .args:
      - .offset:         0
        .size:           1
        .value_kind:     by_value
      - .offset:         4
        .size:           4
        .value_kind:     by_value
      - .offset:         8
        .size:           8
        .value_kind:     by_value
      - .address_space:  global
        .offset:         16
        .size:           8
        .value_kind:     global_buffer
      - .address_space:  global
        .offset:         24
        .size:           8
        .value_kind:     global_buffer
      - .actual_access:  read_only
        .address_space:  global
        .offset:         32
        .size:           8
        .value_kind:     global_buffer
      - .actual_access:  read_only
        .address_space:  global
        .offset:         40
        .size:           8
        .value_kind:     global_buffer
      - .actual_access:  read_only
        .address_space:  global
        .offset:         48
        .size:           8
        .value_kind:     global_buffer
      - .offset:         56
        .size:           8
        .value_kind:     by_value
      - .address_space:  global
        .offset:         64
        .size:           8
        .value_kind:     global_buffer
      - .offset:         72
        .size:           4
        .value_kind:     by_value
      - .offset:         76
        .size:           1
        .value_kind:     by_value
      - .offset:         80
        .size:           4
        .value_kind:     hidden_block_count_x
      - .offset:         84
        .size:           4
        .value_kind:     hidden_block_count_y
      - .offset:         88
        .size:           4
        .value_kind:     hidden_block_count_z
      - .offset:         92
        .size:           2
        .value_kind:     hidden_group_size_x
      - .offset:         94
        .size:           2
        .value_kind:     hidden_group_size_y
      - .offset:         96
        .size:           2
        .value_kind:     hidden_group_size_z
      - .offset:         98
        .size:           2
        .value_kind:     hidden_remainder_x
      - .offset:         100
        .size:           2
        .value_kind:     hidden_remainder_y
      - .offset:         102
        .size:           2
        .value_kind:     hidden_remainder_z
      - .offset:         120
        .size:           8
        .value_kind:     hidden_global_offset_x
      - .offset:         128
        .size:           8
        .value_kind:     hidden_global_offset_y
      - .offset:         136
        .size:           8
        .value_kind:     hidden_global_offset_z
      - .offset:         144
        .size:           2
        .value_kind:     hidden_grid_dims
    .group_segment_fixed_size: 0
    .kernarg_segment_align: 8
    .kernarg_segment_size: 336
    .language:       OpenCL C
    .language_version:
      - 2
      - 0
    .max_flat_workgroup_size: 256
    .name:           _ZN9rocsparseL21csrmvn_general_kernelILj256ELj2EiiffffEEvbT2_NS_24const_host_device_scalarIT6_EEPKT1_S7_PKS1_PKT3_PKT4_S4_PT5_21rocsparse_index_base_b
    .private_segment_fixed_size: 0
    .sgpr_count:     24
    .sgpr_spill_count: 0
    .symbol:         _ZN9rocsparseL21csrmvn_general_kernelILj256ELj2EiiffffEEvbT2_NS_24const_host_device_scalarIT6_EEPKT1_S7_PKS1_PKT3_PKT4_S4_PT5_21rocsparse_index_base_b.kd
    .uniform_work_group_size: 1
    .uses_dynamic_stack: false
    .vgpr_count:     8
    .vgpr_spill_count: 0
    .wavefront_size: 32
  - .args:
      - .offset:         0
        .size:           1
        .value_kind:     by_value
      - .offset:         4
        .size:           4
        .value_kind:     by_value
      - .offset:         8
        .size:           8
        .value_kind:     by_value
      - .address_space:  global
        .offset:         16
        .size:           8
        .value_kind:     global_buffer
      - .address_space:  global
        .offset:         24
        .size:           8
        .value_kind:     global_buffer
      - .actual_access:  read_only
        .address_space:  global
        .offset:         32
        .size:           8
        .value_kind:     global_buffer
      - .actual_access:  read_only
        .address_space:  global
        .offset:         40
        .size:           8
        .value_kind:     global_buffer
      - .actual_access:  read_only
        .address_space:  global
        .offset:         48
        .size:           8
        .value_kind:     global_buffer
      - .offset:         56
        .size:           8
        .value_kind:     by_value
      - .address_space:  global
        .offset:         64
        .size:           8
        .value_kind:     global_buffer
      - .offset:         72
        .size:           4
        .value_kind:     by_value
      - .offset:         76
        .size:           1
        .value_kind:     by_value
      - .offset:         80
        .size:           4
        .value_kind:     hidden_block_count_x
      - .offset:         84
        .size:           4
        .value_kind:     hidden_block_count_y
      - .offset:         88
        .size:           4
        .value_kind:     hidden_block_count_z
      - .offset:         92
        .size:           2
        .value_kind:     hidden_group_size_x
      - .offset:         94
        .size:           2
        .value_kind:     hidden_group_size_y
      - .offset:         96
        .size:           2
        .value_kind:     hidden_group_size_z
      - .offset:         98
        .size:           2
        .value_kind:     hidden_remainder_x
      - .offset:         100
        .size:           2
        .value_kind:     hidden_remainder_y
      - .offset:         102
        .size:           2
        .value_kind:     hidden_remainder_z
      - .offset:         120
        .size:           8
        .value_kind:     hidden_global_offset_x
      - .offset:         128
        .size:           8
        .value_kind:     hidden_global_offset_y
      - .offset:         136
        .size:           8
        .value_kind:     hidden_global_offset_z
      - .offset:         144
        .size:           2
        .value_kind:     hidden_grid_dims
    .group_segment_fixed_size: 0
    .kernarg_segment_align: 8
    .kernarg_segment_size: 336
    .language:       OpenCL C
    .language_version:
      - 2
      - 0
    .max_flat_workgroup_size: 256
    .name:           _ZN9rocsparseL21csrmvn_general_kernelILj256ELj4EiiffffEEvbT2_NS_24const_host_device_scalarIT6_EEPKT1_S7_PKS1_PKT3_PKT4_S4_PT5_21rocsparse_index_base_b
    .private_segment_fixed_size: 0
    .sgpr_count:     24
    .sgpr_spill_count: 0
    .symbol:         _ZN9rocsparseL21csrmvn_general_kernelILj256ELj4EiiffffEEvbT2_NS_24const_host_device_scalarIT6_EEPKT1_S7_PKS1_PKT3_PKT4_S4_PT5_21rocsparse_index_base_b.kd
    .uniform_work_group_size: 1
    .uses_dynamic_stack: false
    .vgpr_count:     9
    .vgpr_spill_count: 0
    .wavefront_size: 32
  - .args:
      - .offset:         0
        .size:           1
        .value_kind:     by_value
      - .offset:         4
        .size:           4
        .value_kind:     by_value
      - .offset:         8
        .size:           8
        .value_kind:     by_value
      - .address_space:  global
        .offset:         16
        .size:           8
        .value_kind:     global_buffer
      - .address_space:  global
        .offset:         24
        .size:           8
        .value_kind:     global_buffer
      - .actual_access:  read_only
        .address_space:  global
        .offset:         32
        .size:           8
        .value_kind:     global_buffer
      - .actual_access:  read_only
        .address_space:  global
        .offset:         40
        .size:           8
        .value_kind:     global_buffer
      - .actual_access:  read_only
        .address_space:  global
        .offset:         48
        .size:           8
        .value_kind:     global_buffer
      - .offset:         56
        .size:           8
        .value_kind:     by_value
      - .address_space:  global
        .offset:         64
        .size:           8
        .value_kind:     global_buffer
      - .offset:         72
        .size:           4
        .value_kind:     by_value
      - .offset:         76
        .size:           1
        .value_kind:     by_value
      - .offset:         80
        .size:           4
        .value_kind:     hidden_block_count_x
      - .offset:         84
        .size:           4
        .value_kind:     hidden_block_count_y
      - .offset:         88
        .size:           4
        .value_kind:     hidden_block_count_z
      - .offset:         92
        .size:           2
        .value_kind:     hidden_group_size_x
      - .offset:         94
        .size:           2
        .value_kind:     hidden_group_size_y
      - .offset:         96
        .size:           2
        .value_kind:     hidden_group_size_z
      - .offset:         98
        .size:           2
        .value_kind:     hidden_remainder_x
      - .offset:         100
        .size:           2
        .value_kind:     hidden_remainder_y
      - .offset:         102
        .size:           2
        .value_kind:     hidden_remainder_z
      - .offset:         120
        .size:           8
        .value_kind:     hidden_global_offset_x
      - .offset:         128
        .size:           8
        .value_kind:     hidden_global_offset_y
      - .offset:         136
        .size:           8
        .value_kind:     hidden_global_offset_z
      - .offset:         144
        .size:           2
        .value_kind:     hidden_grid_dims
    .group_segment_fixed_size: 0
    .kernarg_segment_align: 8
    .kernarg_segment_size: 336
    .language:       OpenCL C
    .language_version:
      - 2
      - 0
    .max_flat_workgroup_size: 256
    .name:           _ZN9rocsparseL21csrmvn_general_kernelILj256ELj8EiiffffEEvbT2_NS_24const_host_device_scalarIT6_EEPKT1_S7_PKS1_PKT3_PKT4_S4_PT5_21rocsparse_index_base_b
    .private_segment_fixed_size: 0
    .sgpr_count:     24
    .sgpr_spill_count: 0
    .symbol:         _ZN9rocsparseL21csrmvn_general_kernelILj256ELj8EiiffffEEvbT2_NS_24const_host_device_scalarIT6_EEPKT1_S7_PKS1_PKT3_PKT4_S4_PT5_21rocsparse_index_base_b.kd
    .uniform_work_group_size: 1
    .uses_dynamic_stack: false
    .vgpr_count:     10
    .vgpr_spill_count: 0
    .wavefront_size: 32
  - .args:
      - .offset:         0
        .size:           1
        .value_kind:     by_value
      - .offset:         4
        .size:           4
        .value_kind:     by_value
      - .offset:         8
        .size:           8
        .value_kind:     by_value
      - .address_space:  global
        .offset:         16
        .size:           8
        .value_kind:     global_buffer
      - .address_space:  global
        .offset:         24
        .size:           8
        .value_kind:     global_buffer
      - .actual_access:  read_only
        .address_space:  global
        .offset:         32
        .size:           8
        .value_kind:     global_buffer
      - .actual_access:  read_only
        .address_space:  global
        .offset:         40
        .size:           8
        .value_kind:     global_buffer
      - .actual_access:  read_only
        .address_space:  global
        .offset:         48
        .size:           8
        .value_kind:     global_buffer
      - .offset:         56
        .size:           8
        .value_kind:     by_value
      - .address_space:  global
        .offset:         64
        .size:           8
        .value_kind:     global_buffer
      - .offset:         72
        .size:           4
        .value_kind:     by_value
      - .offset:         76
        .size:           1
        .value_kind:     by_value
      - .offset:         80
        .size:           4
        .value_kind:     hidden_block_count_x
      - .offset:         84
        .size:           4
        .value_kind:     hidden_block_count_y
      - .offset:         88
        .size:           4
        .value_kind:     hidden_block_count_z
      - .offset:         92
        .size:           2
        .value_kind:     hidden_group_size_x
      - .offset:         94
        .size:           2
        .value_kind:     hidden_group_size_y
      - .offset:         96
        .size:           2
        .value_kind:     hidden_group_size_z
      - .offset:         98
        .size:           2
        .value_kind:     hidden_remainder_x
      - .offset:         100
        .size:           2
        .value_kind:     hidden_remainder_y
      - .offset:         102
        .size:           2
        .value_kind:     hidden_remainder_z
      - .offset:         120
        .size:           8
        .value_kind:     hidden_global_offset_x
      - .offset:         128
        .size:           8
        .value_kind:     hidden_global_offset_y
      - .offset:         136
        .size:           8
        .value_kind:     hidden_global_offset_z
      - .offset:         144
        .size:           2
        .value_kind:     hidden_grid_dims
    .group_segment_fixed_size: 0
    .kernarg_segment_align: 8
    .kernarg_segment_size: 336
    .language:       OpenCL C
    .language_version:
      - 2
      - 0
    .max_flat_workgroup_size: 256
    .name:           _ZN9rocsparseL21csrmvn_general_kernelILj256ELj16EiiffffEEvbT2_NS_24const_host_device_scalarIT6_EEPKT1_S7_PKS1_PKT3_PKT4_S4_PT5_21rocsparse_index_base_b
    .private_segment_fixed_size: 0
    .sgpr_count:     24
    .sgpr_spill_count: 0
    .symbol:         _ZN9rocsparseL21csrmvn_general_kernelILj256ELj16EiiffffEEvbT2_NS_24const_host_device_scalarIT6_EEPKT1_S7_PKS1_PKT3_PKT4_S4_PT5_21rocsparse_index_base_b.kd
    .uniform_work_group_size: 1
    .uses_dynamic_stack: false
    .vgpr_count:     11
    .vgpr_spill_count: 0
    .wavefront_size: 32
  - .args:
      - .offset:         0
        .size:           1
        .value_kind:     by_value
      - .offset:         4
        .size:           4
        .value_kind:     by_value
      - .offset:         8
        .size:           8
        .value_kind:     by_value
      - .address_space:  global
        .offset:         16
        .size:           8
        .value_kind:     global_buffer
      - .address_space:  global
        .offset:         24
        .size:           8
        .value_kind:     global_buffer
      - .actual_access:  read_only
        .address_space:  global
        .offset:         32
        .size:           8
        .value_kind:     global_buffer
      - .actual_access:  read_only
        .address_space:  global
        .offset:         40
        .size:           8
        .value_kind:     global_buffer
      - .actual_access:  read_only
        .address_space:  global
        .offset:         48
        .size:           8
        .value_kind:     global_buffer
      - .offset:         56
        .size:           8
        .value_kind:     by_value
      - .address_space:  global
        .offset:         64
        .size:           8
        .value_kind:     global_buffer
      - .offset:         72
        .size:           4
        .value_kind:     by_value
      - .offset:         76
        .size:           1
        .value_kind:     by_value
      - .offset:         80
        .size:           4
        .value_kind:     hidden_block_count_x
      - .offset:         84
        .size:           4
        .value_kind:     hidden_block_count_y
      - .offset:         88
        .size:           4
        .value_kind:     hidden_block_count_z
      - .offset:         92
        .size:           2
        .value_kind:     hidden_group_size_x
      - .offset:         94
        .size:           2
        .value_kind:     hidden_group_size_y
      - .offset:         96
        .size:           2
        .value_kind:     hidden_group_size_z
      - .offset:         98
        .size:           2
        .value_kind:     hidden_remainder_x
      - .offset:         100
        .size:           2
        .value_kind:     hidden_remainder_y
      - .offset:         102
        .size:           2
        .value_kind:     hidden_remainder_z
      - .offset:         120
        .size:           8
        .value_kind:     hidden_global_offset_x
      - .offset:         128
        .size:           8
        .value_kind:     hidden_global_offset_y
      - .offset:         136
        .size:           8
        .value_kind:     hidden_global_offset_z
      - .offset:         144
        .size:           2
        .value_kind:     hidden_grid_dims
    .group_segment_fixed_size: 0
    .kernarg_segment_align: 8
    .kernarg_segment_size: 336
    .language:       OpenCL C
    .language_version:
      - 2
      - 0
    .max_flat_workgroup_size: 256
    .name:           _ZN9rocsparseL21csrmvn_general_kernelILj256ELj32EiiffffEEvbT2_NS_24const_host_device_scalarIT6_EEPKT1_S7_PKS1_PKT3_PKT4_S4_PT5_21rocsparse_index_base_b
    .private_segment_fixed_size: 0
    .sgpr_count:     24
    .sgpr_spill_count: 0
    .symbol:         _ZN9rocsparseL21csrmvn_general_kernelILj256ELj32EiiffffEEvbT2_NS_24const_host_device_scalarIT6_EEPKT1_S7_PKS1_PKT3_PKT4_S4_PT5_21rocsparse_index_base_b.kd
    .uniform_work_group_size: 1
    .uses_dynamic_stack: false
    .vgpr_count:     12
    .vgpr_spill_count: 0
    .wavefront_size: 32
  - .args:
      - .offset:         0
        .size:           1
        .value_kind:     by_value
      - .offset:         4
        .size:           4
        .value_kind:     by_value
      - .offset:         8
        .size:           8
        .value_kind:     by_value
      - .address_space:  global
        .offset:         16
        .size:           8
        .value_kind:     global_buffer
      - .address_space:  global
        .offset:         24
        .size:           8
        .value_kind:     global_buffer
      - .actual_access:  read_only
        .address_space:  global
        .offset:         32
        .size:           8
        .value_kind:     global_buffer
      - .actual_access:  read_only
        .address_space:  global
        .offset:         40
        .size:           8
        .value_kind:     global_buffer
      - .actual_access:  read_only
        .address_space:  global
        .offset:         48
        .size:           8
        .value_kind:     global_buffer
      - .offset:         56
        .size:           8
        .value_kind:     by_value
      - .address_space:  global
        .offset:         64
        .size:           8
        .value_kind:     global_buffer
      - .offset:         72
        .size:           4
        .value_kind:     by_value
      - .offset:         76
        .size:           1
        .value_kind:     by_value
      - .offset:         80
        .size:           4
        .value_kind:     hidden_block_count_x
      - .offset:         84
        .size:           4
        .value_kind:     hidden_block_count_y
      - .offset:         88
        .size:           4
        .value_kind:     hidden_block_count_z
      - .offset:         92
        .size:           2
        .value_kind:     hidden_group_size_x
      - .offset:         94
        .size:           2
        .value_kind:     hidden_group_size_y
      - .offset:         96
        .size:           2
        .value_kind:     hidden_group_size_z
      - .offset:         98
        .size:           2
        .value_kind:     hidden_remainder_x
      - .offset:         100
        .size:           2
        .value_kind:     hidden_remainder_y
      - .offset:         102
        .size:           2
        .value_kind:     hidden_remainder_z
      - .offset:         120
        .size:           8
        .value_kind:     hidden_global_offset_x
      - .offset:         128
        .size:           8
        .value_kind:     hidden_global_offset_y
      - .offset:         136
        .size:           8
        .value_kind:     hidden_global_offset_z
      - .offset:         144
        .size:           2
        .value_kind:     hidden_grid_dims
    .group_segment_fixed_size: 0
    .kernarg_segment_align: 8
    .kernarg_segment_size: 336
    .language:       OpenCL C
    .language_version:
      - 2
      - 0
    .max_flat_workgroup_size: 256
    .name:           _ZN9rocsparseL21csrmvn_general_kernelILj256ELj64EiiffffEEvbT2_NS_24const_host_device_scalarIT6_EEPKT1_S7_PKS1_PKT3_PKT4_S4_PT5_21rocsparse_index_base_b
    .private_segment_fixed_size: 0
    .sgpr_count:     24
    .sgpr_spill_count: 0
    .symbol:         _ZN9rocsparseL21csrmvn_general_kernelILj256ELj64EiiffffEEvbT2_NS_24const_host_device_scalarIT6_EEPKT1_S7_PKS1_PKT3_PKT4_S4_PT5_21rocsparse_index_base_b.kd
    .uniform_work_group_size: 1
    .uses_dynamic_stack: false
    .vgpr_count:     13
    .vgpr_spill_count: 0
    .wavefront_size: 32
  - .args:
      - .offset:         0
        .size:           1
        .value_kind:     by_value
      - .offset:         1
        .size:           1
        .value_kind:     by_value
      - .offset:         4
        .size:           4
        .value_kind:     by_value
      - .offset:         8
        .size:           8
        .value_kind:     by_value
      - .address_space:  global
        .offset:         16
        .size:           8
        .value_kind:     global_buffer
      - .address_space:  global
        .offset:         24
        .size:           8
        .value_kind:     global_buffer
      - .actual_access:  read_only
        .address_space:  global
        .offset:         32
        .size:           8
        .value_kind:     global_buffer
      - .actual_access:  read_only
        .address_space:  global
        .offset:         40
        .size:           8
        .value_kind:     global_buffer
      - .actual_access:  read_only
        .address_space:  global
        .offset:         48
        .size:           8
        .value_kind:     global_buffer
      - .address_space:  global
        .offset:         56
        .size:           8
        .value_kind:     global_buffer
      - .offset:         64
        .size:           4
        .value_kind:     by_value
      - .offset:         68
        .size:           1
        .value_kind:     by_value
      - .offset:         72
        .size:           4
        .value_kind:     hidden_block_count_x
      - .offset:         76
        .size:           4
        .value_kind:     hidden_block_count_y
      - .offset:         80
        .size:           4
        .value_kind:     hidden_block_count_z
      - .offset:         84
        .size:           2
        .value_kind:     hidden_group_size_x
      - .offset:         86
        .size:           2
        .value_kind:     hidden_group_size_y
      - .offset:         88
        .size:           2
        .value_kind:     hidden_group_size_z
      - .offset:         90
        .size:           2
        .value_kind:     hidden_remainder_x
      - .offset:         92
        .size:           2
        .value_kind:     hidden_remainder_y
      - .offset:         94
        .size:           2
        .value_kind:     hidden_remainder_z
      - .offset:         112
        .size:           8
        .value_kind:     hidden_global_offset_x
      - .offset:         120
        .size:           8
        .value_kind:     hidden_global_offset_y
      - .offset:         128
        .size:           8
        .value_kind:     hidden_global_offset_z
      - .offset:         136
        .size:           2
        .value_kind:     hidden_grid_dims
    .group_segment_fixed_size: 0
    .kernarg_segment_align: 8
    .kernarg_segment_size: 328
    .language:       OpenCL C
    .language_version:
      - 2
      - 0
    .max_flat_workgroup_size: 256
    .name:           _ZN9rocsparseL21csrmvt_general_kernelILj256ELj4EiiffffEEvbbT2_NS_24const_host_device_scalarIT6_EEPKT1_S7_PKS1_PKT3_PKT4_PT5_21rocsparse_index_base_b
    .private_segment_fixed_size: 0
    .sgpr_count:     23
    .sgpr_spill_count: 0
    .symbol:         _ZN9rocsparseL21csrmvt_general_kernelILj256ELj4EiiffffEEvbbT2_NS_24const_host_device_scalarIT6_EEPKT1_S7_PKS1_PKT3_PKT4_PT5_21rocsparse_index_base_b.kd
    .uniform_work_group_size: 1
    .uses_dynamic_stack: false
    .vgpr_count:     10
    .vgpr_spill_count: 0
    .wavefront_size: 32
  - .args:
      - .offset:         0
        .size:           1
        .value_kind:     by_value
      - .offset:         1
        .size:           1
        .value_kind:     by_value
      - .offset:         4
        .size:           4
        .value_kind:     by_value
      - .offset:         8
        .size:           8
        .value_kind:     by_value
      - .address_space:  global
        .offset:         16
        .size:           8
        .value_kind:     global_buffer
      - .address_space:  global
        .offset:         24
        .size:           8
        .value_kind:     global_buffer
      - .actual_access:  read_only
        .address_space:  global
        .offset:         32
        .size:           8
        .value_kind:     global_buffer
      - .actual_access:  read_only
        .address_space:  global
        .offset:         40
        .size:           8
        .value_kind:     global_buffer
      - .actual_access:  read_only
        .address_space:  global
        .offset:         48
        .size:           8
        .value_kind:     global_buffer
      - .address_space:  global
        .offset:         56
        .size:           8
        .value_kind:     global_buffer
      - .offset:         64
        .size:           4
        .value_kind:     by_value
      - .offset:         68
        .size:           1
        .value_kind:     by_value
      - .offset:         72
        .size:           4
        .value_kind:     hidden_block_count_x
      - .offset:         76
        .size:           4
        .value_kind:     hidden_block_count_y
      - .offset:         80
        .size:           4
        .value_kind:     hidden_block_count_z
      - .offset:         84
        .size:           2
        .value_kind:     hidden_group_size_x
      - .offset:         86
        .size:           2
        .value_kind:     hidden_group_size_y
      - .offset:         88
        .size:           2
        .value_kind:     hidden_group_size_z
      - .offset:         90
        .size:           2
        .value_kind:     hidden_remainder_x
      - .offset:         92
        .size:           2
        .value_kind:     hidden_remainder_y
      - .offset:         94
        .size:           2
        .value_kind:     hidden_remainder_z
      - .offset:         112
        .size:           8
        .value_kind:     hidden_global_offset_x
      - .offset:         120
        .size:           8
        .value_kind:     hidden_global_offset_y
      - .offset:         128
        .size:           8
        .value_kind:     hidden_global_offset_z
      - .offset:         136
        .size:           2
        .value_kind:     hidden_grid_dims
    .group_segment_fixed_size: 0
    .kernarg_segment_align: 8
    .kernarg_segment_size: 328
    .language:       OpenCL C
    .language_version:
      - 2
      - 0
    .max_flat_workgroup_size: 256
    .name:           _ZN9rocsparseL21csrmvt_general_kernelILj256ELj8EiiffffEEvbbT2_NS_24const_host_device_scalarIT6_EEPKT1_S7_PKS1_PKT3_PKT4_PT5_21rocsparse_index_base_b
    .private_segment_fixed_size: 0
    .sgpr_count:     23
    .sgpr_spill_count: 0
    .symbol:         _ZN9rocsparseL21csrmvt_general_kernelILj256ELj8EiiffffEEvbbT2_NS_24const_host_device_scalarIT6_EEPKT1_S7_PKS1_PKT3_PKT4_PT5_21rocsparse_index_base_b.kd
    .uniform_work_group_size: 1
    .uses_dynamic_stack: false
    .vgpr_count:     10
    .vgpr_spill_count: 0
    .wavefront_size: 32
  - .args:
      - .offset:         0
        .size:           1
        .value_kind:     by_value
      - .offset:         1
        .size:           1
        .value_kind:     by_value
      - .offset:         4
        .size:           4
        .value_kind:     by_value
      - .offset:         8
        .size:           8
        .value_kind:     by_value
      - .address_space:  global
        .offset:         16
        .size:           8
        .value_kind:     global_buffer
      - .address_space:  global
        .offset:         24
        .size:           8
        .value_kind:     global_buffer
      - .actual_access:  read_only
        .address_space:  global
        .offset:         32
        .size:           8
        .value_kind:     global_buffer
      - .actual_access:  read_only
        .address_space:  global
        .offset:         40
        .size:           8
        .value_kind:     global_buffer
      - .actual_access:  read_only
        .address_space:  global
        .offset:         48
        .size:           8
        .value_kind:     global_buffer
      - .address_space:  global
        .offset:         56
        .size:           8
        .value_kind:     global_buffer
      - .offset:         64
        .size:           4
        .value_kind:     by_value
      - .offset:         68
        .size:           1
        .value_kind:     by_value
      - .offset:         72
        .size:           4
        .value_kind:     hidden_block_count_x
      - .offset:         76
        .size:           4
        .value_kind:     hidden_block_count_y
      - .offset:         80
        .size:           4
        .value_kind:     hidden_block_count_z
      - .offset:         84
        .size:           2
        .value_kind:     hidden_group_size_x
      - .offset:         86
        .size:           2
        .value_kind:     hidden_group_size_y
      - .offset:         88
        .size:           2
        .value_kind:     hidden_group_size_z
      - .offset:         90
        .size:           2
        .value_kind:     hidden_remainder_x
      - .offset:         92
        .size:           2
        .value_kind:     hidden_remainder_y
      - .offset:         94
        .size:           2
        .value_kind:     hidden_remainder_z
      - .offset:         112
        .size:           8
        .value_kind:     hidden_global_offset_x
      - .offset:         120
        .size:           8
        .value_kind:     hidden_global_offset_y
      - .offset:         128
        .size:           8
        .value_kind:     hidden_global_offset_z
      - .offset:         136
        .size:           2
        .value_kind:     hidden_grid_dims
    .group_segment_fixed_size: 0
    .kernarg_segment_align: 8
    .kernarg_segment_size: 328
    .language:       OpenCL C
    .language_version:
      - 2
      - 0
    .max_flat_workgroup_size: 256
    .name:           _ZN9rocsparseL21csrmvt_general_kernelILj256ELj16EiiffffEEvbbT2_NS_24const_host_device_scalarIT6_EEPKT1_S7_PKS1_PKT3_PKT4_PT5_21rocsparse_index_base_b
    .private_segment_fixed_size: 0
    .sgpr_count:     23
    .sgpr_spill_count: 0
    .symbol:         _ZN9rocsparseL21csrmvt_general_kernelILj256ELj16EiiffffEEvbbT2_NS_24const_host_device_scalarIT6_EEPKT1_S7_PKS1_PKT3_PKT4_PT5_21rocsparse_index_base_b.kd
    .uniform_work_group_size: 1
    .uses_dynamic_stack: false
    .vgpr_count:     10
    .vgpr_spill_count: 0
    .wavefront_size: 32
  - .args:
      - .offset:         0
        .size:           1
        .value_kind:     by_value
      - .offset:         1
        .size:           1
        .value_kind:     by_value
      - .offset:         4
        .size:           4
        .value_kind:     by_value
      - .offset:         8
        .size:           8
        .value_kind:     by_value
      - .address_space:  global
        .offset:         16
        .size:           8
        .value_kind:     global_buffer
      - .address_space:  global
        .offset:         24
        .size:           8
        .value_kind:     global_buffer
      - .actual_access:  read_only
        .address_space:  global
        .offset:         32
        .size:           8
        .value_kind:     global_buffer
      - .actual_access:  read_only
        .address_space:  global
        .offset:         40
        .size:           8
        .value_kind:     global_buffer
      - .actual_access:  read_only
        .address_space:  global
        .offset:         48
        .size:           8
        .value_kind:     global_buffer
      - .address_space:  global
        .offset:         56
        .size:           8
        .value_kind:     global_buffer
      - .offset:         64
        .size:           4
        .value_kind:     by_value
      - .offset:         68
        .size:           1
        .value_kind:     by_value
      - .offset:         72
        .size:           4
        .value_kind:     hidden_block_count_x
      - .offset:         76
        .size:           4
        .value_kind:     hidden_block_count_y
      - .offset:         80
        .size:           4
        .value_kind:     hidden_block_count_z
      - .offset:         84
        .size:           2
        .value_kind:     hidden_group_size_x
      - .offset:         86
        .size:           2
        .value_kind:     hidden_group_size_y
      - .offset:         88
        .size:           2
        .value_kind:     hidden_group_size_z
      - .offset:         90
        .size:           2
        .value_kind:     hidden_remainder_x
      - .offset:         92
        .size:           2
        .value_kind:     hidden_remainder_y
      - .offset:         94
        .size:           2
        .value_kind:     hidden_remainder_z
      - .offset:         112
        .size:           8
        .value_kind:     hidden_global_offset_x
      - .offset:         120
        .size:           8
        .value_kind:     hidden_global_offset_y
      - .offset:         128
        .size:           8
        .value_kind:     hidden_global_offset_z
      - .offset:         136
        .size:           2
        .value_kind:     hidden_grid_dims
    .group_segment_fixed_size: 0
    .kernarg_segment_align: 8
    .kernarg_segment_size: 328
    .language:       OpenCL C
    .language_version:
      - 2
      - 0
    .max_flat_workgroup_size: 256
    .name:           _ZN9rocsparseL21csrmvt_general_kernelILj256ELj32EiiffffEEvbbT2_NS_24const_host_device_scalarIT6_EEPKT1_S7_PKS1_PKT3_PKT4_PT5_21rocsparse_index_base_b
    .private_segment_fixed_size: 0
    .sgpr_count:     23
    .sgpr_spill_count: 0
    .symbol:         _ZN9rocsparseL21csrmvt_general_kernelILj256ELj32EiiffffEEvbbT2_NS_24const_host_device_scalarIT6_EEPKT1_S7_PKS1_PKT3_PKT4_PT5_21rocsparse_index_base_b.kd
    .uniform_work_group_size: 1
    .uses_dynamic_stack: false
    .vgpr_count:     10
    .vgpr_spill_count: 0
    .wavefront_size: 32
  - .args:
      - .offset:         0
        .size:           1
        .value_kind:     by_value
      - .offset:         1
        .size:           1
        .value_kind:     by_value
      - .offset:         4
        .size:           4
        .value_kind:     by_value
      - .offset:         8
        .size:           8
        .value_kind:     by_value
      - .address_space:  global
        .offset:         16
        .size:           8
        .value_kind:     global_buffer
      - .address_space:  global
        .offset:         24
        .size:           8
        .value_kind:     global_buffer
      - .actual_access:  read_only
        .address_space:  global
        .offset:         32
        .size:           8
        .value_kind:     global_buffer
      - .actual_access:  read_only
        .address_space:  global
        .offset:         40
        .size:           8
        .value_kind:     global_buffer
      - .actual_access:  read_only
        .address_space:  global
        .offset:         48
        .size:           8
        .value_kind:     global_buffer
      - .address_space:  global
        .offset:         56
        .size:           8
        .value_kind:     global_buffer
      - .offset:         64
        .size:           4
        .value_kind:     by_value
      - .offset:         68
        .size:           1
        .value_kind:     by_value
      - .offset:         72
        .size:           4
        .value_kind:     hidden_block_count_x
      - .offset:         76
        .size:           4
        .value_kind:     hidden_block_count_y
      - .offset:         80
        .size:           4
        .value_kind:     hidden_block_count_z
      - .offset:         84
        .size:           2
        .value_kind:     hidden_group_size_x
      - .offset:         86
        .size:           2
        .value_kind:     hidden_group_size_y
      - .offset:         88
        .size:           2
        .value_kind:     hidden_group_size_z
      - .offset:         90
        .size:           2
        .value_kind:     hidden_remainder_x
      - .offset:         92
        .size:           2
        .value_kind:     hidden_remainder_y
      - .offset:         94
        .size:           2
        .value_kind:     hidden_remainder_z
      - .offset:         112
        .size:           8
        .value_kind:     hidden_global_offset_x
      - .offset:         120
        .size:           8
        .value_kind:     hidden_global_offset_y
      - .offset:         128
        .size:           8
        .value_kind:     hidden_global_offset_z
      - .offset:         136
        .size:           2
        .value_kind:     hidden_grid_dims
    .group_segment_fixed_size: 0
    .kernarg_segment_align: 8
    .kernarg_segment_size: 328
    .language:       OpenCL C
    .language_version:
      - 2
      - 0
    .max_flat_workgroup_size: 256
    .name:           _ZN9rocsparseL21csrmvt_general_kernelILj256ELj64EiiffffEEvbbT2_NS_24const_host_device_scalarIT6_EEPKT1_S7_PKS1_PKT3_PKT4_PT5_21rocsparse_index_base_b
    .private_segment_fixed_size: 0
    .sgpr_count:     23
    .sgpr_spill_count: 0
    .symbol:         _ZN9rocsparseL21csrmvt_general_kernelILj256ELj64EiiffffEEvbbT2_NS_24const_host_device_scalarIT6_EEPKT1_S7_PKS1_PKT3_PKT4_PT5_21rocsparse_index_base_b.kd
    .uniform_work_group_size: 1
    .uses_dynamic_stack: false
    .vgpr_count:     10
    .vgpr_spill_count: 0
    .wavefront_size: 32
  - .args:
      - .offset:         0
        .size:           1
        .value_kind:     by_value
      - .offset:         4
        .size:           4
        .value_kind:     by_value
      - .offset:         8
        .size:           8
        .value_kind:     by_value
      - .address_space:  global
        .offset:         16
        .size:           8
        .value_kind:     global_buffer
      - .address_space:  global
        .offset:         24
        .size:           8
        .value_kind:     global_buffer
      - .actual_access:  read_only
        .address_space:  global
        .offset:         32
        .size:           8
        .value_kind:     global_buffer
      - .actual_access:  read_only
        .address_space:  global
        .offset:         40
        .size:           8
        .value_kind:     global_buffer
      - .actual_access:  read_only
        .address_space:  global
        .offset:         48
        .size:           8
        .value_kind:     global_buffer
      - .offset:         56
        .size:           8
        .value_kind:     by_value
      - .address_space:  global
        .offset:         64
        .size:           8
        .value_kind:     global_buffer
      - .offset:         72
        .size:           4
        .value_kind:     by_value
      - .offset:         76
        .size:           1
        .value_kind:     by_value
      - .offset:         80
        .size:           4
        .value_kind:     hidden_block_count_x
      - .offset:         84
        .size:           4
        .value_kind:     hidden_block_count_y
      - .offset:         88
        .size:           4
        .value_kind:     hidden_block_count_z
      - .offset:         92
        .size:           2
        .value_kind:     hidden_group_size_x
      - .offset:         94
        .size:           2
        .value_kind:     hidden_group_size_y
      - .offset:         96
        .size:           2
        .value_kind:     hidden_group_size_z
      - .offset:         98
        .size:           2
        .value_kind:     hidden_remainder_x
      - .offset:         100
        .size:           2
        .value_kind:     hidden_remainder_y
      - .offset:         102
        .size:           2
        .value_kind:     hidden_remainder_z
      - .offset:         120
        .size:           8
        .value_kind:     hidden_global_offset_x
      - .offset:         128
        .size:           8
        .value_kind:     hidden_global_offset_y
      - .offset:         136
        .size:           8
        .value_kind:     hidden_global_offset_z
      - .offset:         144
        .size:           2
        .value_kind:     hidden_grid_dims
    .group_segment_fixed_size: 0
    .kernarg_segment_align: 8
    .kernarg_segment_size: 336
    .language:       OpenCL C
    .language_version:
      - 2
      - 0
    .max_flat_workgroup_size: 256
    .name:           _ZN9rocsparseL21csrmvn_general_kernelILj256ELj2EliffffEEvbT2_NS_24const_host_device_scalarIT6_EEPKT1_S7_PKS1_PKT3_PKT4_S4_PT5_21rocsparse_index_base_b
    .private_segment_fixed_size: 0
    .sgpr_count:     25
    .sgpr_spill_count: 0
    .symbol:         _ZN9rocsparseL21csrmvn_general_kernelILj256ELj2EliffffEEvbT2_NS_24const_host_device_scalarIT6_EEPKT1_S7_PKS1_PKT3_PKT4_S4_PT5_21rocsparse_index_base_b.kd
    .uniform_work_group_size: 1
    .uses_dynamic_stack: false
    .vgpr_count:     15
    .vgpr_spill_count: 0
    .wavefront_size: 32
  - .args:
      - .offset:         0
        .size:           1
        .value_kind:     by_value
      - .offset:         4
        .size:           4
        .value_kind:     by_value
      - .offset:         8
        .size:           8
        .value_kind:     by_value
      - .address_space:  global
        .offset:         16
        .size:           8
        .value_kind:     global_buffer
      - .address_space:  global
        .offset:         24
        .size:           8
        .value_kind:     global_buffer
      - .actual_access:  read_only
        .address_space:  global
        .offset:         32
        .size:           8
        .value_kind:     global_buffer
      - .actual_access:  read_only
        .address_space:  global
        .offset:         40
        .size:           8
        .value_kind:     global_buffer
      - .actual_access:  read_only
        .address_space:  global
        .offset:         48
        .size:           8
        .value_kind:     global_buffer
      - .offset:         56
        .size:           8
        .value_kind:     by_value
      - .address_space:  global
        .offset:         64
        .size:           8
        .value_kind:     global_buffer
      - .offset:         72
        .size:           4
        .value_kind:     by_value
      - .offset:         76
        .size:           1
        .value_kind:     by_value
      - .offset:         80
        .size:           4
        .value_kind:     hidden_block_count_x
      - .offset:         84
        .size:           4
        .value_kind:     hidden_block_count_y
      - .offset:         88
        .size:           4
        .value_kind:     hidden_block_count_z
      - .offset:         92
        .size:           2
        .value_kind:     hidden_group_size_x
      - .offset:         94
        .size:           2
        .value_kind:     hidden_group_size_y
      - .offset:         96
        .size:           2
        .value_kind:     hidden_group_size_z
      - .offset:         98
        .size:           2
        .value_kind:     hidden_remainder_x
      - .offset:         100
        .size:           2
        .value_kind:     hidden_remainder_y
      - .offset:         102
        .size:           2
        .value_kind:     hidden_remainder_z
      - .offset:         120
        .size:           8
        .value_kind:     hidden_global_offset_x
      - .offset:         128
        .size:           8
        .value_kind:     hidden_global_offset_y
      - .offset:         136
        .size:           8
        .value_kind:     hidden_global_offset_z
      - .offset:         144
        .size:           2
        .value_kind:     hidden_grid_dims
    .group_segment_fixed_size: 0
    .kernarg_segment_align: 8
    .kernarg_segment_size: 336
    .language:       OpenCL C
    .language_version:
      - 2
      - 0
    .max_flat_workgroup_size: 256
    .name:           _ZN9rocsparseL21csrmvn_general_kernelILj256ELj4EliffffEEvbT2_NS_24const_host_device_scalarIT6_EEPKT1_S7_PKS1_PKT3_PKT4_S4_PT5_21rocsparse_index_base_b
    .private_segment_fixed_size: 0
    .sgpr_count:     25
    .sgpr_spill_count: 0
    .symbol:         _ZN9rocsparseL21csrmvn_general_kernelILj256ELj4EliffffEEvbT2_NS_24const_host_device_scalarIT6_EEPKT1_S7_PKS1_PKT3_PKT4_S4_PT5_21rocsparse_index_base_b.kd
    .uniform_work_group_size: 1
    .uses_dynamic_stack: false
    .vgpr_count:     16
    .vgpr_spill_count: 0
    .wavefront_size: 32
  - .args:
      - .offset:         0
        .size:           1
        .value_kind:     by_value
      - .offset:         4
        .size:           4
        .value_kind:     by_value
      - .offset:         8
        .size:           8
        .value_kind:     by_value
      - .address_space:  global
        .offset:         16
        .size:           8
        .value_kind:     global_buffer
      - .address_space:  global
        .offset:         24
        .size:           8
        .value_kind:     global_buffer
      - .actual_access:  read_only
        .address_space:  global
        .offset:         32
        .size:           8
        .value_kind:     global_buffer
      - .actual_access:  read_only
        .address_space:  global
        .offset:         40
        .size:           8
        .value_kind:     global_buffer
      - .actual_access:  read_only
        .address_space:  global
        .offset:         48
        .size:           8
        .value_kind:     global_buffer
      - .offset:         56
        .size:           8
        .value_kind:     by_value
      - .address_space:  global
        .offset:         64
        .size:           8
        .value_kind:     global_buffer
      - .offset:         72
        .size:           4
        .value_kind:     by_value
      - .offset:         76
        .size:           1
        .value_kind:     by_value
      - .offset:         80
        .size:           4
        .value_kind:     hidden_block_count_x
      - .offset:         84
        .size:           4
        .value_kind:     hidden_block_count_y
      - .offset:         88
        .size:           4
        .value_kind:     hidden_block_count_z
      - .offset:         92
        .size:           2
        .value_kind:     hidden_group_size_x
      - .offset:         94
        .size:           2
        .value_kind:     hidden_group_size_y
      - .offset:         96
        .size:           2
        .value_kind:     hidden_group_size_z
      - .offset:         98
        .size:           2
        .value_kind:     hidden_remainder_x
      - .offset:         100
        .size:           2
        .value_kind:     hidden_remainder_y
      - .offset:         102
        .size:           2
        .value_kind:     hidden_remainder_z
      - .offset:         120
        .size:           8
        .value_kind:     hidden_global_offset_x
      - .offset:         128
        .size:           8
        .value_kind:     hidden_global_offset_y
      - .offset:         136
        .size:           8
        .value_kind:     hidden_global_offset_z
      - .offset:         144
        .size:           2
        .value_kind:     hidden_grid_dims
    .group_segment_fixed_size: 0
    .kernarg_segment_align: 8
    .kernarg_segment_size: 336
    .language:       OpenCL C
    .language_version:
      - 2
      - 0
    .max_flat_workgroup_size: 256
    .name:           _ZN9rocsparseL21csrmvn_general_kernelILj256ELj8EliffffEEvbT2_NS_24const_host_device_scalarIT6_EEPKT1_S7_PKS1_PKT3_PKT4_S4_PT5_21rocsparse_index_base_b
    .private_segment_fixed_size: 0
    .sgpr_count:     25
    .sgpr_spill_count: 0
    .symbol:         _ZN9rocsparseL21csrmvn_general_kernelILj256ELj8EliffffEEvbT2_NS_24const_host_device_scalarIT6_EEPKT1_S7_PKS1_PKT3_PKT4_S4_PT5_21rocsparse_index_base_b.kd
    .uniform_work_group_size: 1
    .uses_dynamic_stack: false
    .vgpr_count:     17
    .vgpr_spill_count: 0
    .wavefront_size: 32
  - .args:
      - .offset:         0
        .size:           1
        .value_kind:     by_value
      - .offset:         4
        .size:           4
        .value_kind:     by_value
      - .offset:         8
        .size:           8
        .value_kind:     by_value
      - .address_space:  global
        .offset:         16
        .size:           8
        .value_kind:     global_buffer
      - .address_space:  global
        .offset:         24
        .size:           8
        .value_kind:     global_buffer
      - .actual_access:  read_only
        .address_space:  global
        .offset:         32
        .size:           8
        .value_kind:     global_buffer
      - .actual_access:  read_only
        .address_space:  global
        .offset:         40
        .size:           8
        .value_kind:     global_buffer
      - .actual_access:  read_only
        .address_space:  global
        .offset:         48
        .size:           8
        .value_kind:     global_buffer
      - .offset:         56
        .size:           8
        .value_kind:     by_value
      - .address_space:  global
        .offset:         64
        .size:           8
        .value_kind:     global_buffer
      - .offset:         72
        .size:           4
        .value_kind:     by_value
      - .offset:         76
        .size:           1
        .value_kind:     by_value
      - .offset:         80
        .size:           4
        .value_kind:     hidden_block_count_x
      - .offset:         84
        .size:           4
        .value_kind:     hidden_block_count_y
      - .offset:         88
        .size:           4
        .value_kind:     hidden_block_count_z
      - .offset:         92
        .size:           2
        .value_kind:     hidden_group_size_x
      - .offset:         94
        .size:           2
        .value_kind:     hidden_group_size_y
      - .offset:         96
        .size:           2
        .value_kind:     hidden_group_size_z
      - .offset:         98
        .size:           2
        .value_kind:     hidden_remainder_x
      - .offset:         100
        .size:           2
        .value_kind:     hidden_remainder_y
      - .offset:         102
        .size:           2
        .value_kind:     hidden_remainder_z
      - .offset:         120
        .size:           8
        .value_kind:     hidden_global_offset_x
      - .offset:         128
        .size:           8
        .value_kind:     hidden_global_offset_y
      - .offset:         136
        .size:           8
        .value_kind:     hidden_global_offset_z
      - .offset:         144
        .size:           2
        .value_kind:     hidden_grid_dims
    .group_segment_fixed_size: 0
    .kernarg_segment_align: 8
    .kernarg_segment_size: 336
    .language:       OpenCL C
    .language_version:
      - 2
      - 0
    .max_flat_workgroup_size: 256
    .name:           _ZN9rocsparseL21csrmvn_general_kernelILj256ELj16EliffffEEvbT2_NS_24const_host_device_scalarIT6_EEPKT1_S7_PKS1_PKT3_PKT4_S4_PT5_21rocsparse_index_base_b
    .private_segment_fixed_size: 0
    .sgpr_count:     25
    .sgpr_spill_count: 0
    .symbol:         _ZN9rocsparseL21csrmvn_general_kernelILj256ELj16EliffffEEvbT2_NS_24const_host_device_scalarIT6_EEPKT1_S7_PKS1_PKT3_PKT4_S4_PT5_21rocsparse_index_base_b.kd
    .uniform_work_group_size: 1
    .uses_dynamic_stack: false
    .vgpr_count:     18
    .vgpr_spill_count: 0
    .wavefront_size: 32
  - .args:
      - .offset:         0
        .size:           1
        .value_kind:     by_value
      - .offset:         4
        .size:           4
        .value_kind:     by_value
      - .offset:         8
        .size:           8
        .value_kind:     by_value
      - .address_space:  global
        .offset:         16
        .size:           8
        .value_kind:     global_buffer
      - .address_space:  global
        .offset:         24
        .size:           8
        .value_kind:     global_buffer
      - .actual_access:  read_only
        .address_space:  global
        .offset:         32
        .size:           8
        .value_kind:     global_buffer
      - .actual_access:  read_only
        .address_space:  global
        .offset:         40
        .size:           8
        .value_kind:     global_buffer
      - .actual_access:  read_only
        .address_space:  global
        .offset:         48
        .size:           8
        .value_kind:     global_buffer
      - .offset:         56
        .size:           8
        .value_kind:     by_value
      - .address_space:  global
        .offset:         64
        .size:           8
        .value_kind:     global_buffer
      - .offset:         72
        .size:           4
        .value_kind:     by_value
      - .offset:         76
        .size:           1
        .value_kind:     by_value
      - .offset:         80
        .size:           4
        .value_kind:     hidden_block_count_x
      - .offset:         84
        .size:           4
        .value_kind:     hidden_block_count_y
      - .offset:         88
        .size:           4
        .value_kind:     hidden_block_count_z
      - .offset:         92
        .size:           2
        .value_kind:     hidden_group_size_x
      - .offset:         94
        .size:           2
        .value_kind:     hidden_group_size_y
      - .offset:         96
        .size:           2
        .value_kind:     hidden_group_size_z
      - .offset:         98
        .size:           2
        .value_kind:     hidden_remainder_x
      - .offset:         100
        .size:           2
        .value_kind:     hidden_remainder_y
      - .offset:         102
        .size:           2
        .value_kind:     hidden_remainder_z
      - .offset:         120
        .size:           8
        .value_kind:     hidden_global_offset_x
      - .offset:         128
        .size:           8
        .value_kind:     hidden_global_offset_y
      - .offset:         136
        .size:           8
        .value_kind:     hidden_global_offset_z
      - .offset:         144
        .size:           2
        .value_kind:     hidden_grid_dims
    .group_segment_fixed_size: 0
    .kernarg_segment_align: 8
    .kernarg_segment_size: 336
    .language:       OpenCL C
    .language_version:
      - 2
      - 0
    .max_flat_workgroup_size: 256
    .name:           _ZN9rocsparseL21csrmvn_general_kernelILj256ELj32EliffffEEvbT2_NS_24const_host_device_scalarIT6_EEPKT1_S7_PKS1_PKT3_PKT4_S4_PT5_21rocsparse_index_base_b
    .private_segment_fixed_size: 0
    .sgpr_count:     25
    .sgpr_spill_count: 0
    .symbol:         _ZN9rocsparseL21csrmvn_general_kernelILj256ELj32EliffffEEvbT2_NS_24const_host_device_scalarIT6_EEPKT1_S7_PKS1_PKT3_PKT4_S4_PT5_21rocsparse_index_base_b.kd
    .uniform_work_group_size: 1
    .uses_dynamic_stack: false
    .vgpr_count:     19
    .vgpr_spill_count: 0
    .wavefront_size: 32
  - .args:
      - .offset:         0
        .size:           1
        .value_kind:     by_value
      - .offset:         4
        .size:           4
        .value_kind:     by_value
      - .offset:         8
        .size:           8
        .value_kind:     by_value
      - .address_space:  global
        .offset:         16
        .size:           8
        .value_kind:     global_buffer
      - .address_space:  global
        .offset:         24
        .size:           8
        .value_kind:     global_buffer
      - .actual_access:  read_only
        .address_space:  global
        .offset:         32
        .size:           8
        .value_kind:     global_buffer
      - .actual_access:  read_only
        .address_space:  global
        .offset:         40
        .size:           8
        .value_kind:     global_buffer
      - .actual_access:  read_only
        .address_space:  global
        .offset:         48
        .size:           8
        .value_kind:     global_buffer
      - .offset:         56
        .size:           8
        .value_kind:     by_value
      - .address_space:  global
        .offset:         64
        .size:           8
        .value_kind:     global_buffer
      - .offset:         72
        .size:           4
        .value_kind:     by_value
      - .offset:         76
        .size:           1
        .value_kind:     by_value
      - .offset:         80
        .size:           4
        .value_kind:     hidden_block_count_x
      - .offset:         84
        .size:           4
        .value_kind:     hidden_block_count_y
      - .offset:         88
        .size:           4
        .value_kind:     hidden_block_count_z
      - .offset:         92
        .size:           2
        .value_kind:     hidden_group_size_x
      - .offset:         94
        .size:           2
        .value_kind:     hidden_group_size_y
      - .offset:         96
        .size:           2
        .value_kind:     hidden_group_size_z
      - .offset:         98
        .size:           2
        .value_kind:     hidden_remainder_x
      - .offset:         100
        .size:           2
        .value_kind:     hidden_remainder_y
      - .offset:         102
        .size:           2
        .value_kind:     hidden_remainder_z
      - .offset:         120
        .size:           8
        .value_kind:     hidden_global_offset_x
      - .offset:         128
        .size:           8
        .value_kind:     hidden_global_offset_y
      - .offset:         136
        .size:           8
        .value_kind:     hidden_global_offset_z
      - .offset:         144
        .size:           2
        .value_kind:     hidden_grid_dims
    .group_segment_fixed_size: 0
    .kernarg_segment_align: 8
    .kernarg_segment_size: 336
    .language:       OpenCL C
    .language_version:
      - 2
      - 0
    .max_flat_workgroup_size: 256
    .name:           _ZN9rocsparseL21csrmvn_general_kernelILj256ELj64EliffffEEvbT2_NS_24const_host_device_scalarIT6_EEPKT1_S7_PKS1_PKT3_PKT4_S4_PT5_21rocsparse_index_base_b
    .private_segment_fixed_size: 0
    .sgpr_count:     25
    .sgpr_spill_count: 0
    .symbol:         _ZN9rocsparseL21csrmvn_general_kernelILj256ELj64EliffffEEvbT2_NS_24const_host_device_scalarIT6_EEPKT1_S7_PKS1_PKT3_PKT4_S4_PT5_21rocsparse_index_base_b.kd
    .uniform_work_group_size: 1
    .uses_dynamic_stack: false
    .vgpr_count:     20
    .vgpr_spill_count: 0
    .wavefront_size: 32
  - .args:
      - .offset:         0
        .size:           1
        .value_kind:     by_value
      - .offset:         1
        .size:           1
        .value_kind:     by_value
      - .offset:         4
        .size:           4
        .value_kind:     by_value
      - .offset:         8
        .size:           8
        .value_kind:     by_value
      - .address_space:  global
        .offset:         16
        .size:           8
        .value_kind:     global_buffer
      - .address_space:  global
        .offset:         24
        .size:           8
        .value_kind:     global_buffer
      - .actual_access:  read_only
        .address_space:  global
        .offset:         32
        .size:           8
        .value_kind:     global_buffer
      - .actual_access:  read_only
        .address_space:  global
        .offset:         40
        .size:           8
        .value_kind:     global_buffer
      - .actual_access:  read_only
        .address_space:  global
        .offset:         48
        .size:           8
        .value_kind:     global_buffer
      - .address_space:  global
        .offset:         56
        .size:           8
        .value_kind:     global_buffer
      - .offset:         64
        .size:           4
        .value_kind:     by_value
      - .offset:         68
        .size:           1
        .value_kind:     by_value
      - .offset:         72
        .size:           4
        .value_kind:     hidden_block_count_x
      - .offset:         76
        .size:           4
        .value_kind:     hidden_block_count_y
      - .offset:         80
        .size:           4
        .value_kind:     hidden_block_count_z
      - .offset:         84
        .size:           2
        .value_kind:     hidden_group_size_x
      - .offset:         86
        .size:           2
        .value_kind:     hidden_group_size_y
      - .offset:         88
        .size:           2
        .value_kind:     hidden_group_size_z
      - .offset:         90
        .size:           2
        .value_kind:     hidden_remainder_x
      - .offset:         92
        .size:           2
        .value_kind:     hidden_remainder_y
      - .offset:         94
        .size:           2
        .value_kind:     hidden_remainder_z
      - .offset:         112
        .size:           8
        .value_kind:     hidden_global_offset_x
      - .offset:         120
        .size:           8
        .value_kind:     hidden_global_offset_y
      - .offset:         128
        .size:           8
        .value_kind:     hidden_global_offset_z
      - .offset:         136
        .size:           2
        .value_kind:     hidden_grid_dims
    .group_segment_fixed_size: 0
    .kernarg_segment_align: 8
    .kernarg_segment_size: 328
    .language:       OpenCL C
    .language_version:
      - 2
      - 0
    .max_flat_workgroup_size: 256
    .name:           _ZN9rocsparseL21csrmvt_general_kernelILj256ELj4EliffffEEvbbT2_NS_24const_host_device_scalarIT6_EEPKT1_S7_PKS1_PKT3_PKT4_PT5_21rocsparse_index_base_b
    .private_segment_fixed_size: 0
    .sgpr_count:     24
    .sgpr_spill_count: 0
    .symbol:         _ZN9rocsparseL21csrmvt_general_kernelILj256ELj4EliffffEEvbbT2_NS_24const_host_device_scalarIT6_EEPKT1_S7_PKS1_PKT3_PKT4_PT5_21rocsparse_index_base_b.kd
    .uniform_work_group_size: 1
    .uses_dynamic_stack: false
    .vgpr_count:     16
    .vgpr_spill_count: 0
    .wavefront_size: 32
  - .args:
      - .offset:         0
        .size:           1
        .value_kind:     by_value
      - .offset:         1
        .size:           1
        .value_kind:     by_value
      - .offset:         4
        .size:           4
        .value_kind:     by_value
      - .offset:         8
        .size:           8
        .value_kind:     by_value
      - .address_space:  global
        .offset:         16
        .size:           8
        .value_kind:     global_buffer
      - .address_space:  global
        .offset:         24
        .size:           8
        .value_kind:     global_buffer
      - .actual_access:  read_only
        .address_space:  global
        .offset:         32
        .size:           8
        .value_kind:     global_buffer
      - .actual_access:  read_only
        .address_space:  global
        .offset:         40
        .size:           8
        .value_kind:     global_buffer
      - .actual_access:  read_only
        .address_space:  global
        .offset:         48
        .size:           8
        .value_kind:     global_buffer
      - .address_space:  global
        .offset:         56
        .size:           8
        .value_kind:     global_buffer
      - .offset:         64
        .size:           4
        .value_kind:     by_value
      - .offset:         68
        .size:           1
        .value_kind:     by_value
      - .offset:         72
        .size:           4
        .value_kind:     hidden_block_count_x
      - .offset:         76
        .size:           4
        .value_kind:     hidden_block_count_y
      - .offset:         80
        .size:           4
        .value_kind:     hidden_block_count_z
      - .offset:         84
        .size:           2
        .value_kind:     hidden_group_size_x
      - .offset:         86
        .size:           2
        .value_kind:     hidden_group_size_y
      - .offset:         88
        .size:           2
        .value_kind:     hidden_group_size_z
      - .offset:         90
        .size:           2
        .value_kind:     hidden_remainder_x
      - .offset:         92
        .size:           2
        .value_kind:     hidden_remainder_y
      - .offset:         94
        .size:           2
        .value_kind:     hidden_remainder_z
      - .offset:         112
        .size:           8
        .value_kind:     hidden_global_offset_x
      - .offset:         120
        .size:           8
        .value_kind:     hidden_global_offset_y
      - .offset:         128
        .size:           8
        .value_kind:     hidden_global_offset_z
      - .offset:         136
        .size:           2
        .value_kind:     hidden_grid_dims
    .group_segment_fixed_size: 0
    .kernarg_segment_align: 8
    .kernarg_segment_size: 328
    .language:       OpenCL C
    .language_version:
      - 2
      - 0
    .max_flat_workgroup_size: 256
    .name:           _ZN9rocsparseL21csrmvt_general_kernelILj256ELj8EliffffEEvbbT2_NS_24const_host_device_scalarIT6_EEPKT1_S7_PKS1_PKT3_PKT4_PT5_21rocsparse_index_base_b
    .private_segment_fixed_size: 0
    .sgpr_count:     24
    .sgpr_spill_count: 0
    .symbol:         _ZN9rocsparseL21csrmvt_general_kernelILj256ELj8EliffffEEvbbT2_NS_24const_host_device_scalarIT6_EEPKT1_S7_PKS1_PKT3_PKT4_PT5_21rocsparse_index_base_b.kd
    .uniform_work_group_size: 1
    .uses_dynamic_stack: false
    .vgpr_count:     16
    .vgpr_spill_count: 0
    .wavefront_size: 32
  - .args:
      - .offset:         0
        .size:           1
        .value_kind:     by_value
      - .offset:         1
        .size:           1
        .value_kind:     by_value
      - .offset:         4
        .size:           4
        .value_kind:     by_value
      - .offset:         8
        .size:           8
        .value_kind:     by_value
      - .address_space:  global
        .offset:         16
        .size:           8
        .value_kind:     global_buffer
      - .address_space:  global
        .offset:         24
        .size:           8
        .value_kind:     global_buffer
      - .actual_access:  read_only
        .address_space:  global
        .offset:         32
        .size:           8
        .value_kind:     global_buffer
      - .actual_access:  read_only
        .address_space:  global
        .offset:         40
        .size:           8
        .value_kind:     global_buffer
      - .actual_access:  read_only
        .address_space:  global
        .offset:         48
        .size:           8
        .value_kind:     global_buffer
      - .address_space:  global
        .offset:         56
        .size:           8
        .value_kind:     global_buffer
      - .offset:         64
        .size:           4
        .value_kind:     by_value
      - .offset:         68
        .size:           1
        .value_kind:     by_value
      - .offset:         72
        .size:           4
        .value_kind:     hidden_block_count_x
      - .offset:         76
        .size:           4
        .value_kind:     hidden_block_count_y
      - .offset:         80
        .size:           4
        .value_kind:     hidden_block_count_z
      - .offset:         84
        .size:           2
        .value_kind:     hidden_group_size_x
      - .offset:         86
        .size:           2
        .value_kind:     hidden_group_size_y
      - .offset:         88
        .size:           2
        .value_kind:     hidden_group_size_z
      - .offset:         90
        .size:           2
        .value_kind:     hidden_remainder_x
      - .offset:         92
        .size:           2
        .value_kind:     hidden_remainder_y
      - .offset:         94
        .size:           2
        .value_kind:     hidden_remainder_z
      - .offset:         112
        .size:           8
        .value_kind:     hidden_global_offset_x
      - .offset:         120
        .size:           8
        .value_kind:     hidden_global_offset_y
      - .offset:         128
        .size:           8
        .value_kind:     hidden_global_offset_z
      - .offset:         136
        .size:           2
        .value_kind:     hidden_grid_dims
    .group_segment_fixed_size: 0
    .kernarg_segment_align: 8
    .kernarg_segment_size: 328
    .language:       OpenCL C
    .language_version:
      - 2
      - 0
    .max_flat_workgroup_size: 256
    .name:           _ZN9rocsparseL21csrmvt_general_kernelILj256ELj16EliffffEEvbbT2_NS_24const_host_device_scalarIT6_EEPKT1_S7_PKS1_PKT3_PKT4_PT5_21rocsparse_index_base_b
    .private_segment_fixed_size: 0
    .sgpr_count:     24
    .sgpr_spill_count: 0
    .symbol:         _ZN9rocsparseL21csrmvt_general_kernelILj256ELj16EliffffEEvbbT2_NS_24const_host_device_scalarIT6_EEPKT1_S7_PKS1_PKT3_PKT4_PT5_21rocsparse_index_base_b.kd
    .uniform_work_group_size: 1
    .uses_dynamic_stack: false
    .vgpr_count:     16
    .vgpr_spill_count: 0
    .wavefront_size: 32
  - .args:
      - .offset:         0
        .size:           1
        .value_kind:     by_value
      - .offset:         1
        .size:           1
        .value_kind:     by_value
      - .offset:         4
        .size:           4
        .value_kind:     by_value
      - .offset:         8
        .size:           8
        .value_kind:     by_value
      - .address_space:  global
        .offset:         16
        .size:           8
        .value_kind:     global_buffer
      - .address_space:  global
        .offset:         24
        .size:           8
        .value_kind:     global_buffer
      - .actual_access:  read_only
        .address_space:  global
        .offset:         32
        .size:           8
        .value_kind:     global_buffer
      - .actual_access:  read_only
        .address_space:  global
        .offset:         40
        .size:           8
        .value_kind:     global_buffer
      - .actual_access:  read_only
        .address_space:  global
        .offset:         48
        .size:           8
        .value_kind:     global_buffer
      - .address_space:  global
        .offset:         56
        .size:           8
        .value_kind:     global_buffer
      - .offset:         64
        .size:           4
        .value_kind:     by_value
      - .offset:         68
        .size:           1
        .value_kind:     by_value
      - .offset:         72
        .size:           4
        .value_kind:     hidden_block_count_x
      - .offset:         76
        .size:           4
        .value_kind:     hidden_block_count_y
      - .offset:         80
        .size:           4
        .value_kind:     hidden_block_count_z
      - .offset:         84
        .size:           2
        .value_kind:     hidden_group_size_x
      - .offset:         86
        .size:           2
        .value_kind:     hidden_group_size_y
      - .offset:         88
        .size:           2
        .value_kind:     hidden_group_size_z
      - .offset:         90
        .size:           2
        .value_kind:     hidden_remainder_x
      - .offset:         92
        .size:           2
        .value_kind:     hidden_remainder_y
      - .offset:         94
        .size:           2
        .value_kind:     hidden_remainder_z
      - .offset:         112
        .size:           8
        .value_kind:     hidden_global_offset_x
      - .offset:         120
        .size:           8
        .value_kind:     hidden_global_offset_y
      - .offset:         128
        .size:           8
        .value_kind:     hidden_global_offset_z
      - .offset:         136
        .size:           2
        .value_kind:     hidden_grid_dims
    .group_segment_fixed_size: 0
    .kernarg_segment_align: 8
    .kernarg_segment_size: 328
    .language:       OpenCL C
    .language_version:
      - 2
      - 0
    .max_flat_workgroup_size: 256
    .name:           _ZN9rocsparseL21csrmvt_general_kernelILj256ELj32EliffffEEvbbT2_NS_24const_host_device_scalarIT6_EEPKT1_S7_PKS1_PKT3_PKT4_PT5_21rocsparse_index_base_b
    .private_segment_fixed_size: 0
    .sgpr_count:     24
    .sgpr_spill_count: 0
    .symbol:         _ZN9rocsparseL21csrmvt_general_kernelILj256ELj32EliffffEEvbbT2_NS_24const_host_device_scalarIT6_EEPKT1_S7_PKS1_PKT3_PKT4_PT5_21rocsparse_index_base_b.kd
    .uniform_work_group_size: 1
    .uses_dynamic_stack: false
    .vgpr_count:     16
    .vgpr_spill_count: 0
    .wavefront_size: 32
  - .args:
      - .offset:         0
        .size:           1
        .value_kind:     by_value
      - .offset:         1
        .size:           1
        .value_kind:     by_value
      - .offset:         4
        .size:           4
        .value_kind:     by_value
      - .offset:         8
        .size:           8
        .value_kind:     by_value
      - .address_space:  global
        .offset:         16
        .size:           8
        .value_kind:     global_buffer
      - .address_space:  global
        .offset:         24
        .size:           8
        .value_kind:     global_buffer
      - .actual_access:  read_only
        .address_space:  global
        .offset:         32
        .size:           8
        .value_kind:     global_buffer
      - .actual_access:  read_only
        .address_space:  global
        .offset:         40
        .size:           8
        .value_kind:     global_buffer
      - .actual_access:  read_only
        .address_space:  global
        .offset:         48
        .size:           8
        .value_kind:     global_buffer
      - .address_space:  global
        .offset:         56
        .size:           8
        .value_kind:     global_buffer
      - .offset:         64
        .size:           4
        .value_kind:     by_value
      - .offset:         68
        .size:           1
        .value_kind:     by_value
      - .offset:         72
        .size:           4
        .value_kind:     hidden_block_count_x
      - .offset:         76
        .size:           4
        .value_kind:     hidden_block_count_y
      - .offset:         80
        .size:           4
        .value_kind:     hidden_block_count_z
      - .offset:         84
        .size:           2
        .value_kind:     hidden_group_size_x
      - .offset:         86
        .size:           2
        .value_kind:     hidden_group_size_y
      - .offset:         88
        .size:           2
        .value_kind:     hidden_group_size_z
      - .offset:         90
        .size:           2
        .value_kind:     hidden_remainder_x
      - .offset:         92
        .size:           2
        .value_kind:     hidden_remainder_y
      - .offset:         94
        .size:           2
        .value_kind:     hidden_remainder_z
      - .offset:         112
        .size:           8
        .value_kind:     hidden_global_offset_x
      - .offset:         120
        .size:           8
        .value_kind:     hidden_global_offset_y
      - .offset:         128
        .size:           8
        .value_kind:     hidden_global_offset_z
      - .offset:         136
        .size:           2
        .value_kind:     hidden_grid_dims
    .group_segment_fixed_size: 0
    .kernarg_segment_align: 8
    .kernarg_segment_size: 328
    .language:       OpenCL C
    .language_version:
      - 2
      - 0
    .max_flat_workgroup_size: 256
    .name:           _ZN9rocsparseL21csrmvt_general_kernelILj256ELj64EliffffEEvbbT2_NS_24const_host_device_scalarIT6_EEPKT1_S7_PKS1_PKT3_PKT4_PT5_21rocsparse_index_base_b
    .private_segment_fixed_size: 0
    .sgpr_count:     24
    .sgpr_spill_count: 0
    .symbol:         _ZN9rocsparseL21csrmvt_general_kernelILj256ELj64EliffffEEvbbT2_NS_24const_host_device_scalarIT6_EEPKT1_S7_PKS1_PKT3_PKT4_PT5_21rocsparse_index_base_b.kd
    .uniform_work_group_size: 1
    .uses_dynamic_stack: false
    .vgpr_count:     16
    .vgpr_spill_count: 0
    .wavefront_size: 32
  - .args:
      - .offset:         0
        .size:           1
        .value_kind:     by_value
      - .offset:         8
        .size:           8
        .value_kind:     by_value
      - .offset:         16
        .size:           8
        .value_kind:     by_value
      - .address_space:  global
        .offset:         24
        .size:           8
        .value_kind:     global_buffer
      - .address_space:  global
        .offset:         32
        .size:           8
        .value_kind:     global_buffer
      - .actual_access:  read_only
        .address_space:  global
        .offset:         40
        .size:           8
        .value_kind:     global_buffer
      - .actual_access:  read_only
        .address_space:  global
        .offset:         48
        .size:           8
        .value_kind:     global_buffer
      - .actual_access:  read_only
        .address_space:  global
        .offset:         56
        .size:           8
        .value_kind:     global_buffer
      - .offset:         64
        .size:           8
        .value_kind:     by_value
      - .address_space:  global
        .offset:         72
        .size:           8
        .value_kind:     global_buffer
      - .offset:         80
        .size:           4
        .value_kind:     by_value
      - .offset:         84
        .size:           1
        .value_kind:     by_value
      - .offset:         88
        .size:           4
        .value_kind:     hidden_block_count_x
      - .offset:         92
        .size:           4
        .value_kind:     hidden_block_count_y
      - .offset:         96
        .size:           4
        .value_kind:     hidden_block_count_z
      - .offset:         100
        .size:           2
        .value_kind:     hidden_group_size_x
      - .offset:         102
        .size:           2
        .value_kind:     hidden_group_size_y
      - .offset:         104
        .size:           2
        .value_kind:     hidden_group_size_z
      - .offset:         106
        .size:           2
        .value_kind:     hidden_remainder_x
      - .offset:         108
        .size:           2
        .value_kind:     hidden_remainder_y
      - .offset:         110
        .size:           2
        .value_kind:     hidden_remainder_z
      - .offset:         128
        .size:           8
        .value_kind:     hidden_global_offset_x
      - .offset:         136
        .size:           8
        .value_kind:     hidden_global_offset_y
      - .offset:         144
        .size:           8
        .value_kind:     hidden_global_offset_z
      - .offset:         152
        .size:           2
        .value_kind:     hidden_grid_dims
    .group_segment_fixed_size: 0
    .kernarg_segment_align: 8
    .kernarg_segment_size: 344
    .language:       OpenCL C
    .language_version:
      - 2
      - 0
    .max_flat_workgroup_size: 256
    .name:           _ZN9rocsparseL21csrmvn_general_kernelILj256ELj2EllffffEEvbT2_NS_24const_host_device_scalarIT6_EEPKT1_S7_PKS1_PKT3_PKT4_S4_PT5_21rocsparse_index_base_b
    .private_segment_fixed_size: 0
    .sgpr_count:     28
    .sgpr_spill_count: 0
    .symbol:         _ZN9rocsparseL21csrmvn_general_kernelILj256ELj2EllffffEEvbT2_NS_24const_host_device_scalarIT6_EEPKT1_S7_PKS1_PKT3_PKT4_S4_PT5_21rocsparse_index_base_b.kd
    .uniform_work_group_size: 1
    .uses_dynamic_stack: false
    .vgpr_count:     17
    .vgpr_spill_count: 0
    .wavefront_size: 32
  - .args:
      - .offset:         0
        .size:           1
        .value_kind:     by_value
      - .offset:         8
        .size:           8
        .value_kind:     by_value
      - .offset:         16
        .size:           8
        .value_kind:     by_value
      - .address_space:  global
        .offset:         24
        .size:           8
        .value_kind:     global_buffer
      - .address_space:  global
        .offset:         32
        .size:           8
        .value_kind:     global_buffer
      - .actual_access:  read_only
        .address_space:  global
        .offset:         40
        .size:           8
        .value_kind:     global_buffer
      - .actual_access:  read_only
        .address_space:  global
        .offset:         48
        .size:           8
        .value_kind:     global_buffer
      - .actual_access:  read_only
        .address_space:  global
        .offset:         56
        .size:           8
        .value_kind:     global_buffer
      - .offset:         64
        .size:           8
        .value_kind:     by_value
      - .address_space:  global
        .offset:         72
        .size:           8
        .value_kind:     global_buffer
      - .offset:         80
        .size:           4
        .value_kind:     by_value
      - .offset:         84
        .size:           1
        .value_kind:     by_value
      - .offset:         88
        .size:           4
        .value_kind:     hidden_block_count_x
      - .offset:         92
        .size:           4
        .value_kind:     hidden_block_count_y
      - .offset:         96
        .size:           4
        .value_kind:     hidden_block_count_z
      - .offset:         100
        .size:           2
        .value_kind:     hidden_group_size_x
      - .offset:         102
        .size:           2
        .value_kind:     hidden_group_size_y
      - .offset:         104
        .size:           2
        .value_kind:     hidden_group_size_z
      - .offset:         106
        .size:           2
        .value_kind:     hidden_remainder_x
      - .offset:         108
        .size:           2
        .value_kind:     hidden_remainder_y
      - .offset:         110
        .size:           2
        .value_kind:     hidden_remainder_z
      - .offset:         128
        .size:           8
        .value_kind:     hidden_global_offset_x
      - .offset:         136
        .size:           8
        .value_kind:     hidden_global_offset_y
      - .offset:         144
        .size:           8
        .value_kind:     hidden_global_offset_z
      - .offset:         152
        .size:           2
        .value_kind:     hidden_grid_dims
    .group_segment_fixed_size: 0
    .kernarg_segment_align: 8
    .kernarg_segment_size: 344
    .language:       OpenCL C
    .language_version:
      - 2
      - 0
    .max_flat_workgroup_size: 256
    .name:           _ZN9rocsparseL21csrmvn_general_kernelILj256ELj4EllffffEEvbT2_NS_24const_host_device_scalarIT6_EEPKT1_S7_PKS1_PKT3_PKT4_S4_PT5_21rocsparse_index_base_b
    .private_segment_fixed_size: 0
    .sgpr_count:     28
    .sgpr_spill_count: 0
    .symbol:         _ZN9rocsparseL21csrmvn_general_kernelILj256ELj4EllffffEEvbT2_NS_24const_host_device_scalarIT6_EEPKT1_S7_PKS1_PKT3_PKT4_S4_PT5_21rocsparse_index_base_b.kd
    .uniform_work_group_size: 1
    .uses_dynamic_stack: false
    .vgpr_count:     18
    .vgpr_spill_count: 0
    .wavefront_size: 32
  - .args:
      - .offset:         0
        .size:           1
        .value_kind:     by_value
      - .offset:         8
        .size:           8
        .value_kind:     by_value
      - .offset:         16
        .size:           8
        .value_kind:     by_value
      - .address_space:  global
        .offset:         24
        .size:           8
        .value_kind:     global_buffer
      - .address_space:  global
        .offset:         32
        .size:           8
        .value_kind:     global_buffer
      - .actual_access:  read_only
        .address_space:  global
        .offset:         40
        .size:           8
        .value_kind:     global_buffer
      - .actual_access:  read_only
        .address_space:  global
        .offset:         48
        .size:           8
        .value_kind:     global_buffer
      - .actual_access:  read_only
        .address_space:  global
        .offset:         56
        .size:           8
        .value_kind:     global_buffer
      - .offset:         64
        .size:           8
        .value_kind:     by_value
      - .address_space:  global
        .offset:         72
        .size:           8
        .value_kind:     global_buffer
      - .offset:         80
        .size:           4
        .value_kind:     by_value
      - .offset:         84
        .size:           1
        .value_kind:     by_value
      - .offset:         88
        .size:           4
        .value_kind:     hidden_block_count_x
      - .offset:         92
        .size:           4
        .value_kind:     hidden_block_count_y
      - .offset:         96
        .size:           4
        .value_kind:     hidden_block_count_z
      - .offset:         100
        .size:           2
        .value_kind:     hidden_group_size_x
      - .offset:         102
        .size:           2
        .value_kind:     hidden_group_size_y
      - .offset:         104
        .size:           2
        .value_kind:     hidden_group_size_z
      - .offset:         106
        .size:           2
        .value_kind:     hidden_remainder_x
      - .offset:         108
        .size:           2
        .value_kind:     hidden_remainder_y
      - .offset:         110
        .size:           2
        .value_kind:     hidden_remainder_z
      - .offset:         128
        .size:           8
        .value_kind:     hidden_global_offset_x
      - .offset:         136
        .size:           8
        .value_kind:     hidden_global_offset_y
      - .offset:         144
        .size:           8
        .value_kind:     hidden_global_offset_z
      - .offset:         152
        .size:           2
        .value_kind:     hidden_grid_dims
    .group_segment_fixed_size: 0
    .kernarg_segment_align: 8
    .kernarg_segment_size: 344
    .language:       OpenCL C
    .language_version:
      - 2
      - 0
    .max_flat_workgroup_size: 256
    .name:           _ZN9rocsparseL21csrmvn_general_kernelILj256ELj8EllffffEEvbT2_NS_24const_host_device_scalarIT6_EEPKT1_S7_PKS1_PKT3_PKT4_S4_PT5_21rocsparse_index_base_b
    .private_segment_fixed_size: 0
    .sgpr_count:     28
    .sgpr_spill_count: 0
    .symbol:         _ZN9rocsparseL21csrmvn_general_kernelILj256ELj8EllffffEEvbT2_NS_24const_host_device_scalarIT6_EEPKT1_S7_PKS1_PKT3_PKT4_S4_PT5_21rocsparse_index_base_b.kd
    .uniform_work_group_size: 1
    .uses_dynamic_stack: false
    .vgpr_count:     19
    .vgpr_spill_count: 0
    .wavefront_size: 32
  - .args:
      - .offset:         0
        .size:           1
        .value_kind:     by_value
      - .offset:         8
        .size:           8
        .value_kind:     by_value
      - .offset:         16
        .size:           8
        .value_kind:     by_value
      - .address_space:  global
        .offset:         24
        .size:           8
        .value_kind:     global_buffer
      - .address_space:  global
        .offset:         32
        .size:           8
        .value_kind:     global_buffer
      - .actual_access:  read_only
        .address_space:  global
        .offset:         40
        .size:           8
        .value_kind:     global_buffer
      - .actual_access:  read_only
        .address_space:  global
        .offset:         48
        .size:           8
        .value_kind:     global_buffer
      - .actual_access:  read_only
        .address_space:  global
        .offset:         56
        .size:           8
        .value_kind:     global_buffer
      - .offset:         64
        .size:           8
        .value_kind:     by_value
      - .address_space:  global
        .offset:         72
        .size:           8
        .value_kind:     global_buffer
      - .offset:         80
        .size:           4
        .value_kind:     by_value
      - .offset:         84
        .size:           1
        .value_kind:     by_value
      - .offset:         88
        .size:           4
        .value_kind:     hidden_block_count_x
      - .offset:         92
        .size:           4
        .value_kind:     hidden_block_count_y
      - .offset:         96
        .size:           4
        .value_kind:     hidden_block_count_z
      - .offset:         100
        .size:           2
        .value_kind:     hidden_group_size_x
      - .offset:         102
        .size:           2
        .value_kind:     hidden_group_size_y
      - .offset:         104
        .size:           2
        .value_kind:     hidden_group_size_z
      - .offset:         106
        .size:           2
        .value_kind:     hidden_remainder_x
      - .offset:         108
        .size:           2
        .value_kind:     hidden_remainder_y
      - .offset:         110
        .size:           2
        .value_kind:     hidden_remainder_z
      - .offset:         128
        .size:           8
        .value_kind:     hidden_global_offset_x
      - .offset:         136
        .size:           8
        .value_kind:     hidden_global_offset_y
      - .offset:         144
        .size:           8
        .value_kind:     hidden_global_offset_z
      - .offset:         152
        .size:           2
        .value_kind:     hidden_grid_dims
    .group_segment_fixed_size: 0
    .kernarg_segment_align: 8
    .kernarg_segment_size: 344
    .language:       OpenCL C
    .language_version:
      - 2
      - 0
    .max_flat_workgroup_size: 256
    .name:           _ZN9rocsparseL21csrmvn_general_kernelILj256ELj16EllffffEEvbT2_NS_24const_host_device_scalarIT6_EEPKT1_S7_PKS1_PKT3_PKT4_S4_PT5_21rocsparse_index_base_b
    .private_segment_fixed_size: 0
    .sgpr_count:     28
    .sgpr_spill_count: 0
    .symbol:         _ZN9rocsparseL21csrmvn_general_kernelILj256ELj16EllffffEEvbT2_NS_24const_host_device_scalarIT6_EEPKT1_S7_PKS1_PKT3_PKT4_S4_PT5_21rocsparse_index_base_b.kd
    .uniform_work_group_size: 1
    .uses_dynamic_stack: false
    .vgpr_count:     20
    .vgpr_spill_count: 0
    .wavefront_size: 32
  - .args:
      - .offset:         0
        .size:           1
        .value_kind:     by_value
      - .offset:         8
        .size:           8
        .value_kind:     by_value
      - .offset:         16
        .size:           8
        .value_kind:     by_value
      - .address_space:  global
        .offset:         24
        .size:           8
        .value_kind:     global_buffer
      - .address_space:  global
        .offset:         32
        .size:           8
        .value_kind:     global_buffer
      - .actual_access:  read_only
        .address_space:  global
        .offset:         40
        .size:           8
        .value_kind:     global_buffer
      - .actual_access:  read_only
        .address_space:  global
        .offset:         48
        .size:           8
        .value_kind:     global_buffer
      - .actual_access:  read_only
        .address_space:  global
        .offset:         56
        .size:           8
        .value_kind:     global_buffer
      - .offset:         64
        .size:           8
        .value_kind:     by_value
      - .address_space:  global
        .offset:         72
        .size:           8
        .value_kind:     global_buffer
      - .offset:         80
        .size:           4
        .value_kind:     by_value
      - .offset:         84
        .size:           1
        .value_kind:     by_value
      - .offset:         88
        .size:           4
        .value_kind:     hidden_block_count_x
      - .offset:         92
        .size:           4
        .value_kind:     hidden_block_count_y
      - .offset:         96
        .size:           4
        .value_kind:     hidden_block_count_z
      - .offset:         100
        .size:           2
        .value_kind:     hidden_group_size_x
      - .offset:         102
        .size:           2
        .value_kind:     hidden_group_size_y
      - .offset:         104
        .size:           2
        .value_kind:     hidden_group_size_z
      - .offset:         106
        .size:           2
        .value_kind:     hidden_remainder_x
      - .offset:         108
        .size:           2
        .value_kind:     hidden_remainder_y
      - .offset:         110
        .size:           2
        .value_kind:     hidden_remainder_z
      - .offset:         128
        .size:           8
        .value_kind:     hidden_global_offset_x
      - .offset:         136
        .size:           8
        .value_kind:     hidden_global_offset_y
      - .offset:         144
        .size:           8
        .value_kind:     hidden_global_offset_z
      - .offset:         152
        .size:           2
        .value_kind:     hidden_grid_dims
    .group_segment_fixed_size: 0
    .kernarg_segment_align: 8
    .kernarg_segment_size: 344
    .language:       OpenCL C
    .language_version:
      - 2
      - 0
    .max_flat_workgroup_size: 256
    .name:           _ZN9rocsparseL21csrmvn_general_kernelILj256ELj32EllffffEEvbT2_NS_24const_host_device_scalarIT6_EEPKT1_S7_PKS1_PKT3_PKT4_S4_PT5_21rocsparse_index_base_b
    .private_segment_fixed_size: 0
    .sgpr_count:     28
    .sgpr_spill_count: 0
    .symbol:         _ZN9rocsparseL21csrmvn_general_kernelILj256ELj32EllffffEEvbT2_NS_24const_host_device_scalarIT6_EEPKT1_S7_PKS1_PKT3_PKT4_S4_PT5_21rocsparse_index_base_b.kd
    .uniform_work_group_size: 1
    .uses_dynamic_stack: false
    .vgpr_count:     21
    .vgpr_spill_count: 0
    .wavefront_size: 32
  - .args:
      - .offset:         0
        .size:           1
        .value_kind:     by_value
      - .offset:         8
        .size:           8
        .value_kind:     by_value
      - .offset:         16
        .size:           8
        .value_kind:     by_value
      - .address_space:  global
        .offset:         24
        .size:           8
        .value_kind:     global_buffer
      - .address_space:  global
        .offset:         32
        .size:           8
        .value_kind:     global_buffer
      - .actual_access:  read_only
        .address_space:  global
        .offset:         40
        .size:           8
        .value_kind:     global_buffer
      - .actual_access:  read_only
        .address_space:  global
        .offset:         48
        .size:           8
        .value_kind:     global_buffer
      - .actual_access:  read_only
        .address_space:  global
        .offset:         56
        .size:           8
        .value_kind:     global_buffer
      - .offset:         64
        .size:           8
        .value_kind:     by_value
      - .address_space:  global
        .offset:         72
        .size:           8
        .value_kind:     global_buffer
      - .offset:         80
        .size:           4
        .value_kind:     by_value
      - .offset:         84
        .size:           1
        .value_kind:     by_value
      - .offset:         88
        .size:           4
        .value_kind:     hidden_block_count_x
      - .offset:         92
        .size:           4
        .value_kind:     hidden_block_count_y
      - .offset:         96
        .size:           4
        .value_kind:     hidden_block_count_z
      - .offset:         100
        .size:           2
        .value_kind:     hidden_group_size_x
      - .offset:         102
        .size:           2
        .value_kind:     hidden_group_size_y
      - .offset:         104
        .size:           2
        .value_kind:     hidden_group_size_z
      - .offset:         106
        .size:           2
        .value_kind:     hidden_remainder_x
      - .offset:         108
        .size:           2
        .value_kind:     hidden_remainder_y
      - .offset:         110
        .size:           2
        .value_kind:     hidden_remainder_z
      - .offset:         128
        .size:           8
        .value_kind:     hidden_global_offset_x
      - .offset:         136
        .size:           8
        .value_kind:     hidden_global_offset_y
      - .offset:         144
        .size:           8
        .value_kind:     hidden_global_offset_z
      - .offset:         152
        .size:           2
        .value_kind:     hidden_grid_dims
    .group_segment_fixed_size: 0
    .kernarg_segment_align: 8
    .kernarg_segment_size: 344
    .language:       OpenCL C
    .language_version:
      - 2
      - 0
    .max_flat_workgroup_size: 256
    .name:           _ZN9rocsparseL21csrmvn_general_kernelILj256ELj64EllffffEEvbT2_NS_24const_host_device_scalarIT6_EEPKT1_S7_PKS1_PKT3_PKT4_S4_PT5_21rocsparse_index_base_b
    .private_segment_fixed_size: 0
    .sgpr_count:     28
    .sgpr_spill_count: 0
    .symbol:         _ZN9rocsparseL21csrmvn_general_kernelILj256ELj64EllffffEEvbT2_NS_24const_host_device_scalarIT6_EEPKT1_S7_PKS1_PKT3_PKT4_S4_PT5_21rocsparse_index_base_b.kd
    .uniform_work_group_size: 1
    .uses_dynamic_stack: false
    .vgpr_count:     22
    .vgpr_spill_count: 0
    .wavefront_size: 32
  - .args:
      - .offset:         0
        .size:           1
        .value_kind:     by_value
      - .offset:         1
        .size:           1
        .value_kind:     by_value
      - .offset:         8
        .size:           8
        .value_kind:     by_value
      - .offset:         16
        .size:           8
        .value_kind:     by_value
      - .address_space:  global
        .offset:         24
        .size:           8
        .value_kind:     global_buffer
      - .address_space:  global
        .offset:         32
        .size:           8
        .value_kind:     global_buffer
      - .actual_access:  read_only
        .address_space:  global
        .offset:         40
        .size:           8
        .value_kind:     global_buffer
      - .actual_access:  read_only
        .address_space:  global
        .offset:         48
        .size:           8
        .value_kind:     global_buffer
      - .actual_access:  read_only
        .address_space:  global
        .offset:         56
        .size:           8
        .value_kind:     global_buffer
      - .address_space:  global
        .offset:         64
        .size:           8
        .value_kind:     global_buffer
      - .offset:         72
        .size:           4
        .value_kind:     by_value
      - .offset:         76
        .size:           1
        .value_kind:     by_value
      - .offset:         80
        .size:           4
        .value_kind:     hidden_block_count_x
      - .offset:         84
        .size:           4
        .value_kind:     hidden_block_count_y
      - .offset:         88
        .size:           4
        .value_kind:     hidden_block_count_z
      - .offset:         92
        .size:           2
        .value_kind:     hidden_group_size_x
      - .offset:         94
        .size:           2
        .value_kind:     hidden_group_size_y
      - .offset:         96
        .size:           2
        .value_kind:     hidden_group_size_z
      - .offset:         98
        .size:           2
        .value_kind:     hidden_remainder_x
      - .offset:         100
        .size:           2
        .value_kind:     hidden_remainder_y
      - .offset:         102
        .size:           2
        .value_kind:     hidden_remainder_z
      - .offset:         120
        .size:           8
        .value_kind:     hidden_global_offset_x
      - .offset:         128
        .size:           8
        .value_kind:     hidden_global_offset_y
      - .offset:         136
        .size:           8
        .value_kind:     hidden_global_offset_z
      - .offset:         144
        .size:           2
        .value_kind:     hidden_grid_dims
    .group_segment_fixed_size: 0
    .kernarg_segment_align: 8
    .kernarg_segment_size: 336
    .language:       OpenCL C
    .language_version:
      - 2
      - 0
    .max_flat_workgroup_size: 256
    .name:           _ZN9rocsparseL21csrmvt_general_kernelILj256ELj4EllffffEEvbbT2_NS_24const_host_device_scalarIT6_EEPKT1_S7_PKS1_PKT3_PKT4_PT5_21rocsparse_index_base_b
    .private_segment_fixed_size: 0
    .sgpr_count:     26
    .sgpr_spill_count: 0
    .symbol:         _ZN9rocsparseL21csrmvt_general_kernelILj256ELj4EllffffEEvbbT2_NS_24const_host_device_scalarIT6_EEPKT1_S7_PKS1_PKT3_PKT4_PT5_21rocsparse_index_base_b.kd
    .uniform_work_group_size: 1
    .uses_dynamic_stack: false
    .vgpr_count:     19
    .vgpr_spill_count: 0
    .wavefront_size: 32
  - .args:
      - .offset:         0
        .size:           1
        .value_kind:     by_value
      - .offset:         1
        .size:           1
        .value_kind:     by_value
      - .offset:         8
        .size:           8
        .value_kind:     by_value
      - .offset:         16
        .size:           8
        .value_kind:     by_value
      - .address_space:  global
        .offset:         24
        .size:           8
        .value_kind:     global_buffer
      - .address_space:  global
        .offset:         32
        .size:           8
        .value_kind:     global_buffer
      - .actual_access:  read_only
        .address_space:  global
        .offset:         40
        .size:           8
        .value_kind:     global_buffer
      - .actual_access:  read_only
        .address_space:  global
        .offset:         48
        .size:           8
        .value_kind:     global_buffer
      - .actual_access:  read_only
        .address_space:  global
        .offset:         56
        .size:           8
        .value_kind:     global_buffer
      - .address_space:  global
        .offset:         64
        .size:           8
        .value_kind:     global_buffer
      - .offset:         72
        .size:           4
        .value_kind:     by_value
      - .offset:         76
        .size:           1
        .value_kind:     by_value
      - .offset:         80
        .size:           4
        .value_kind:     hidden_block_count_x
      - .offset:         84
        .size:           4
        .value_kind:     hidden_block_count_y
      - .offset:         88
        .size:           4
        .value_kind:     hidden_block_count_z
      - .offset:         92
        .size:           2
        .value_kind:     hidden_group_size_x
      - .offset:         94
        .size:           2
        .value_kind:     hidden_group_size_y
      - .offset:         96
        .size:           2
        .value_kind:     hidden_group_size_z
      - .offset:         98
        .size:           2
        .value_kind:     hidden_remainder_x
      - .offset:         100
        .size:           2
        .value_kind:     hidden_remainder_y
      - .offset:         102
        .size:           2
        .value_kind:     hidden_remainder_z
      - .offset:         120
        .size:           8
        .value_kind:     hidden_global_offset_x
      - .offset:         128
        .size:           8
        .value_kind:     hidden_global_offset_y
      - .offset:         136
        .size:           8
        .value_kind:     hidden_global_offset_z
      - .offset:         144
        .size:           2
        .value_kind:     hidden_grid_dims
    .group_segment_fixed_size: 0
    .kernarg_segment_align: 8
    .kernarg_segment_size: 336
    .language:       OpenCL C
    .language_version:
      - 2
      - 0
    .max_flat_workgroup_size: 256
    .name:           _ZN9rocsparseL21csrmvt_general_kernelILj256ELj8EllffffEEvbbT2_NS_24const_host_device_scalarIT6_EEPKT1_S7_PKS1_PKT3_PKT4_PT5_21rocsparse_index_base_b
    .private_segment_fixed_size: 0
    .sgpr_count:     26
    .sgpr_spill_count: 0
    .symbol:         _ZN9rocsparseL21csrmvt_general_kernelILj256ELj8EllffffEEvbbT2_NS_24const_host_device_scalarIT6_EEPKT1_S7_PKS1_PKT3_PKT4_PT5_21rocsparse_index_base_b.kd
    .uniform_work_group_size: 1
    .uses_dynamic_stack: false
    .vgpr_count:     19
    .vgpr_spill_count: 0
    .wavefront_size: 32
  - .args:
      - .offset:         0
        .size:           1
        .value_kind:     by_value
      - .offset:         1
        .size:           1
        .value_kind:     by_value
      - .offset:         8
        .size:           8
        .value_kind:     by_value
      - .offset:         16
        .size:           8
        .value_kind:     by_value
      - .address_space:  global
        .offset:         24
        .size:           8
        .value_kind:     global_buffer
      - .address_space:  global
        .offset:         32
        .size:           8
        .value_kind:     global_buffer
      - .actual_access:  read_only
        .address_space:  global
        .offset:         40
        .size:           8
        .value_kind:     global_buffer
      - .actual_access:  read_only
        .address_space:  global
        .offset:         48
        .size:           8
        .value_kind:     global_buffer
      - .actual_access:  read_only
        .address_space:  global
        .offset:         56
        .size:           8
        .value_kind:     global_buffer
      - .address_space:  global
        .offset:         64
        .size:           8
        .value_kind:     global_buffer
      - .offset:         72
        .size:           4
        .value_kind:     by_value
      - .offset:         76
        .size:           1
        .value_kind:     by_value
      - .offset:         80
        .size:           4
        .value_kind:     hidden_block_count_x
      - .offset:         84
        .size:           4
        .value_kind:     hidden_block_count_y
      - .offset:         88
        .size:           4
        .value_kind:     hidden_block_count_z
      - .offset:         92
        .size:           2
        .value_kind:     hidden_group_size_x
      - .offset:         94
        .size:           2
        .value_kind:     hidden_group_size_y
      - .offset:         96
        .size:           2
        .value_kind:     hidden_group_size_z
      - .offset:         98
        .size:           2
        .value_kind:     hidden_remainder_x
      - .offset:         100
        .size:           2
        .value_kind:     hidden_remainder_y
      - .offset:         102
        .size:           2
        .value_kind:     hidden_remainder_z
      - .offset:         120
        .size:           8
        .value_kind:     hidden_global_offset_x
      - .offset:         128
        .size:           8
        .value_kind:     hidden_global_offset_y
      - .offset:         136
        .size:           8
        .value_kind:     hidden_global_offset_z
      - .offset:         144
        .size:           2
        .value_kind:     hidden_grid_dims
    .group_segment_fixed_size: 0
    .kernarg_segment_align: 8
    .kernarg_segment_size: 336
    .language:       OpenCL C
    .language_version:
      - 2
      - 0
    .max_flat_workgroup_size: 256
    .name:           _ZN9rocsparseL21csrmvt_general_kernelILj256ELj16EllffffEEvbbT2_NS_24const_host_device_scalarIT6_EEPKT1_S7_PKS1_PKT3_PKT4_PT5_21rocsparse_index_base_b
    .private_segment_fixed_size: 0
    .sgpr_count:     26
    .sgpr_spill_count: 0
    .symbol:         _ZN9rocsparseL21csrmvt_general_kernelILj256ELj16EllffffEEvbbT2_NS_24const_host_device_scalarIT6_EEPKT1_S7_PKS1_PKT3_PKT4_PT5_21rocsparse_index_base_b.kd
    .uniform_work_group_size: 1
    .uses_dynamic_stack: false
    .vgpr_count:     19
    .vgpr_spill_count: 0
    .wavefront_size: 32
  - .args:
      - .offset:         0
        .size:           1
        .value_kind:     by_value
      - .offset:         1
        .size:           1
        .value_kind:     by_value
      - .offset:         8
        .size:           8
        .value_kind:     by_value
      - .offset:         16
        .size:           8
        .value_kind:     by_value
      - .address_space:  global
        .offset:         24
        .size:           8
        .value_kind:     global_buffer
      - .address_space:  global
        .offset:         32
        .size:           8
        .value_kind:     global_buffer
      - .actual_access:  read_only
        .address_space:  global
        .offset:         40
        .size:           8
        .value_kind:     global_buffer
      - .actual_access:  read_only
        .address_space:  global
        .offset:         48
        .size:           8
        .value_kind:     global_buffer
      - .actual_access:  read_only
        .address_space:  global
        .offset:         56
        .size:           8
        .value_kind:     global_buffer
      - .address_space:  global
        .offset:         64
        .size:           8
        .value_kind:     global_buffer
      - .offset:         72
        .size:           4
        .value_kind:     by_value
      - .offset:         76
        .size:           1
        .value_kind:     by_value
      - .offset:         80
        .size:           4
        .value_kind:     hidden_block_count_x
      - .offset:         84
        .size:           4
        .value_kind:     hidden_block_count_y
      - .offset:         88
        .size:           4
        .value_kind:     hidden_block_count_z
      - .offset:         92
        .size:           2
        .value_kind:     hidden_group_size_x
      - .offset:         94
        .size:           2
        .value_kind:     hidden_group_size_y
      - .offset:         96
        .size:           2
        .value_kind:     hidden_group_size_z
      - .offset:         98
        .size:           2
        .value_kind:     hidden_remainder_x
      - .offset:         100
        .size:           2
        .value_kind:     hidden_remainder_y
      - .offset:         102
        .size:           2
        .value_kind:     hidden_remainder_z
      - .offset:         120
        .size:           8
        .value_kind:     hidden_global_offset_x
      - .offset:         128
        .size:           8
        .value_kind:     hidden_global_offset_y
      - .offset:         136
        .size:           8
        .value_kind:     hidden_global_offset_z
      - .offset:         144
        .size:           2
        .value_kind:     hidden_grid_dims
    .group_segment_fixed_size: 0
    .kernarg_segment_align: 8
    .kernarg_segment_size: 336
    .language:       OpenCL C
    .language_version:
      - 2
      - 0
    .max_flat_workgroup_size: 256
    .name:           _ZN9rocsparseL21csrmvt_general_kernelILj256ELj32EllffffEEvbbT2_NS_24const_host_device_scalarIT6_EEPKT1_S7_PKS1_PKT3_PKT4_PT5_21rocsparse_index_base_b
    .private_segment_fixed_size: 0
    .sgpr_count:     26
    .sgpr_spill_count: 0
    .symbol:         _ZN9rocsparseL21csrmvt_general_kernelILj256ELj32EllffffEEvbbT2_NS_24const_host_device_scalarIT6_EEPKT1_S7_PKS1_PKT3_PKT4_PT5_21rocsparse_index_base_b.kd
    .uniform_work_group_size: 1
    .uses_dynamic_stack: false
    .vgpr_count:     19
    .vgpr_spill_count: 0
    .wavefront_size: 32
  - .args:
      - .offset:         0
        .size:           1
        .value_kind:     by_value
      - .offset:         1
        .size:           1
        .value_kind:     by_value
      - .offset:         8
        .size:           8
        .value_kind:     by_value
      - .offset:         16
        .size:           8
        .value_kind:     by_value
      - .address_space:  global
        .offset:         24
        .size:           8
        .value_kind:     global_buffer
      - .address_space:  global
        .offset:         32
        .size:           8
        .value_kind:     global_buffer
      - .actual_access:  read_only
        .address_space:  global
        .offset:         40
        .size:           8
        .value_kind:     global_buffer
      - .actual_access:  read_only
        .address_space:  global
        .offset:         48
        .size:           8
        .value_kind:     global_buffer
      - .actual_access:  read_only
        .address_space:  global
        .offset:         56
        .size:           8
        .value_kind:     global_buffer
      - .address_space:  global
        .offset:         64
        .size:           8
        .value_kind:     global_buffer
      - .offset:         72
        .size:           4
        .value_kind:     by_value
      - .offset:         76
        .size:           1
        .value_kind:     by_value
      - .offset:         80
        .size:           4
        .value_kind:     hidden_block_count_x
      - .offset:         84
        .size:           4
        .value_kind:     hidden_block_count_y
      - .offset:         88
        .size:           4
        .value_kind:     hidden_block_count_z
      - .offset:         92
        .size:           2
        .value_kind:     hidden_group_size_x
      - .offset:         94
        .size:           2
        .value_kind:     hidden_group_size_y
      - .offset:         96
        .size:           2
        .value_kind:     hidden_group_size_z
      - .offset:         98
        .size:           2
        .value_kind:     hidden_remainder_x
      - .offset:         100
        .size:           2
        .value_kind:     hidden_remainder_y
      - .offset:         102
        .size:           2
        .value_kind:     hidden_remainder_z
      - .offset:         120
        .size:           8
        .value_kind:     hidden_global_offset_x
      - .offset:         128
        .size:           8
        .value_kind:     hidden_global_offset_y
      - .offset:         136
        .size:           8
        .value_kind:     hidden_global_offset_z
      - .offset:         144
        .size:           2
        .value_kind:     hidden_grid_dims
    .group_segment_fixed_size: 0
    .kernarg_segment_align: 8
    .kernarg_segment_size: 336
    .language:       OpenCL C
    .language_version:
      - 2
      - 0
    .max_flat_workgroup_size: 256
    .name:           _ZN9rocsparseL21csrmvt_general_kernelILj256ELj64EllffffEEvbbT2_NS_24const_host_device_scalarIT6_EEPKT1_S7_PKS1_PKT3_PKT4_PT5_21rocsparse_index_base_b
    .private_segment_fixed_size: 0
    .sgpr_count:     26
    .sgpr_spill_count: 0
    .symbol:         _ZN9rocsparseL21csrmvt_general_kernelILj256ELj64EllffffEEvbbT2_NS_24const_host_device_scalarIT6_EEPKT1_S7_PKS1_PKT3_PKT4_PT5_21rocsparse_index_base_b.kd
    .uniform_work_group_size: 1
    .uses_dynamic_stack: false
    .vgpr_count:     19
    .vgpr_spill_count: 0
    .wavefront_size: 32
  - .args:
      - .offset:         0
        .size:           1
        .value_kind:     by_value
      - .offset:         4
        .size:           4
        .value_kind:     by_value
      - .offset:         8
        .size:           8
        .value_kind:     by_value
      - .address_space:  global
        .offset:         16
        .size:           8
        .value_kind:     global_buffer
      - .address_space:  global
        .offset:         24
        .size:           8
        .value_kind:     global_buffer
      - .actual_access:  read_only
        .address_space:  global
        .offset:         32
        .size:           8
        .value_kind:     global_buffer
      - .actual_access:  read_only
        .address_space:  global
        .offset:         40
        .size:           8
        .value_kind:     global_buffer
      - .actual_access:  read_only
        .address_space:  global
        .offset:         48
        .size:           8
        .value_kind:     global_buffer
      - .offset:         56
        .size:           8
        .value_kind:     by_value
      - .address_space:  global
        .offset:         64
        .size:           8
        .value_kind:     global_buffer
      - .offset:         72
        .size:           4
        .value_kind:     by_value
      - .offset:         76
        .size:           1
        .value_kind:     by_value
      - .offset:         80
        .size:           4
        .value_kind:     hidden_block_count_x
      - .offset:         84
        .size:           4
        .value_kind:     hidden_block_count_y
      - .offset:         88
        .size:           4
        .value_kind:     hidden_block_count_z
      - .offset:         92
        .size:           2
        .value_kind:     hidden_group_size_x
      - .offset:         94
        .size:           2
        .value_kind:     hidden_group_size_y
      - .offset:         96
        .size:           2
        .value_kind:     hidden_group_size_z
      - .offset:         98
        .size:           2
        .value_kind:     hidden_remainder_x
      - .offset:         100
        .size:           2
        .value_kind:     hidden_remainder_y
      - .offset:         102
        .size:           2
        .value_kind:     hidden_remainder_z
      - .offset:         120
        .size:           8
        .value_kind:     hidden_global_offset_x
      - .offset:         128
        .size:           8
        .value_kind:     hidden_global_offset_y
      - .offset:         136
        .size:           8
        .value_kind:     hidden_global_offset_z
      - .offset:         144
        .size:           2
        .value_kind:     hidden_grid_dims
    .group_segment_fixed_size: 0
    .kernarg_segment_align: 8
    .kernarg_segment_size: 336
    .language:       OpenCL C
    .language_version:
      - 2
      - 0
    .max_flat_workgroup_size: 256
    .name:           _ZN9rocsparseL21csrmvn_general_kernelILj256ELj2EiiddddEEvbT2_NS_24const_host_device_scalarIT6_EEPKT1_S7_PKS1_PKT3_PKT4_S4_PT5_21rocsparse_index_base_b
    .private_segment_fixed_size: 0
    .sgpr_count:     23
    .sgpr_spill_count: 0
    .symbol:         _ZN9rocsparseL21csrmvn_general_kernelILj256ELj2EiiddddEEvbT2_NS_24const_host_device_scalarIT6_EEPKT1_S7_PKS1_PKT3_PKT4_S4_PT5_21rocsparse_index_base_b.kd
    .uniform_work_group_size: 1
    .uses_dynamic_stack: false
    .vgpr_count:     16
    .vgpr_spill_count: 0
    .wavefront_size: 32
  - .args:
      - .offset:         0
        .size:           1
        .value_kind:     by_value
      - .offset:         4
        .size:           4
        .value_kind:     by_value
      - .offset:         8
        .size:           8
        .value_kind:     by_value
      - .address_space:  global
        .offset:         16
        .size:           8
        .value_kind:     global_buffer
      - .address_space:  global
        .offset:         24
        .size:           8
        .value_kind:     global_buffer
      - .actual_access:  read_only
        .address_space:  global
        .offset:         32
        .size:           8
        .value_kind:     global_buffer
      - .actual_access:  read_only
        .address_space:  global
        .offset:         40
        .size:           8
        .value_kind:     global_buffer
      - .actual_access:  read_only
        .address_space:  global
        .offset:         48
        .size:           8
        .value_kind:     global_buffer
      - .offset:         56
        .size:           8
        .value_kind:     by_value
      - .address_space:  global
        .offset:         64
        .size:           8
        .value_kind:     global_buffer
      - .offset:         72
        .size:           4
        .value_kind:     by_value
      - .offset:         76
        .size:           1
        .value_kind:     by_value
      - .offset:         80
        .size:           4
        .value_kind:     hidden_block_count_x
      - .offset:         84
        .size:           4
        .value_kind:     hidden_block_count_y
      - .offset:         88
        .size:           4
        .value_kind:     hidden_block_count_z
      - .offset:         92
        .size:           2
        .value_kind:     hidden_group_size_x
      - .offset:         94
        .size:           2
        .value_kind:     hidden_group_size_y
      - .offset:         96
        .size:           2
        .value_kind:     hidden_group_size_z
      - .offset:         98
        .size:           2
        .value_kind:     hidden_remainder_x
      - .offset:         100
        .size:           2
        .value_kind:     hidden_remainder_y
      - .offset:         102
        .size:           2
        .value_kind:     hidden_remainder_z
      - .offset:         120
        .size:           8
        .value_kind:     hidden_global_offset_x
      - .offset:         128
        .size:           8
        .value_kind:     hidden_global_offset_y
      - .offset:         136
        .size:           8
        .value_kind:     hidden_global_offset_z
      - .offset:         144
        .size:           2
        .value_kind:     hidden_grid_dims
    .group_segment_fixed_size: 0
    .kernarg_segment_align: 8
    .kernarg_segment_size: 336
    .language:       OpenCL C
    .language_version:
      - 2
      - 0
    .max_flat_workgroup_size: 256
    .name:           _ZN9rocsparseL21csrmvn_general_kernelILj256ELj4EiiddddEEvbT2_NS_24const_host_device_scalarIT6_EEPKT1_S7_PKS1_PKT3_PKT4_S4_PT5_21rocsparse_index_base_b
    .private_segment_fixed_size: 0
    .sgpr_count:     23
    .sgpr_spill_count: 0
    .symbol:         _ZN9rocsparseL21csrmvn_general_kernelILj256ELj4EiiddddEEvbT2_NS_24const_host_device_scalarIT6_EEPKT1_S7_PKS1_PKT3_PKT4_S4_PT5_21rocsparse_index_base_b.kd
    .uniform_work_group_size: 1
    .uses_dynamic_stack: false
    .vgpr_count:     18
    .vgpr_spill_count: 0
    .wavefront_size: 32
  - .args:
      - .offset:         0
        .size:           1
        .value_kind:     by_value
      - .offset:         4
        .size:           4
        .value_kind:     by_value
      - .offset:         8
        .size:           8
        .value_kind:     by_value
      - .address_space:  global
        .offset:         16
        .size:           8
        .value_kind:     global_buffer
      - .address_space:  global
        .offset:         24
        .size:           8
        .value_kind:     global_buffer
      - .actual_access:  read_only
        .address_space:  global
        .offset:         32
        .size:           8
        .value_kind:     global_buffer
      - .actual_access:  read_only
        .address_space:  global
        .offset:         40
        .size:           8
        .value_kind:     global_buffer
      - .actual_access:  read_only
        .address_space:  global
        .offset:         48
        .size:           8
        .value_kind:     global_buffer
      - .offset:         56
        .size:           8
        .value_kind:     by_value
      - .address_space:  global
        .offset:         64
        .size:           8
        .value_kind:     global_buffer
      - .offset:         72
        .size:           4
        .value_kind:     by_value
      - .offset:         76
        .size:           1
        .value_kind:     by_value
      - .offset:         80
        .size:           4
        .value_kind:     hidden_block_count_x
      - .offset:         84
        .size:           4
        .value_kind:     hidden_block_count_y
      - .offset:         88
        .size:           4
        .value_kind:     hidden_block_count_z
      - .offset:         92
        .size:           2
        .value_kind:     hidden_group_size_x
      - .offset:         94
        .size:           2
        .value_kind:     hidden_group_size_y
      - .offset:         96
        .size:           2
        .value_kind:     hidden_group_size_z
      - .offset:         98
        .size:           2
        .value_kind:     hidden_remainder_x
      - .offset:         100
        .size:           2
        .value_kind:     hidden_remainder_y
      - .offset:         102
        .size:           2
        .value_kind:     hidden_remainder_z
      - .offset:         120
        .size:           8
        .value_kind:     hidden_global_offset_x
      - .offset:         128
        .size:           8
        .value_kind:     hidden_global_offset_y
      - .offset:         136
        .size:           8
        .value_kind:     hidden_global_offset_z
      - .offset:         144
        .size:           2
        .value_kind:     hidden_grid_dims
    .group_segment_fixed_size: 0
    .kernarg_segment_align: 8
    .kernarg_segment_size: 336
    .language:       OpenCL C
    .language_version:
      - 2
      - 0
    .max_flat_workgroup_size: 256
    .name:           _ZN9rocsparseL21csrmvn_general_kernelILj256ELj8EiiddddEEvbT2_NS_24const_host_device_scalarIT6_EEPKT1_S7_PKS1_PKT3_PKT4_S4_PT5_21rocsparse_index_base_b
    .private_segment_fixed_size: 0
    .sgpr_count:     23
    .sgpr_spill_count: 0
    .symbol:         _ZN9rocsparseL21csrmvn_general_kernelILj256ELj8EiiddddEEvbT2_NS_24const_host_device_scalarIT6_EEPKT1_S7_PKS1_PKT3_PKT4_S4_PT5_21rocsparse_index_base_b.kd
    .uniform_work_group_size: 1
    .uses_dynamic_stack: false
    .vgpr_count:     18
    .vgpr_spill_count: 0
    .wavefront_size: 32
  - .args:
      - .offset:         0
        .size:           1
        .value_kind:     by_value
      - .offset:         4
        .size:           4
        .value_kind:     by_value
      - .offset:         8
        .size:           8
        .value_kind:     by_value
      - .address_space:  global
        .offset:         16
        .size:           8
        .value_kind:     global_buffer
      - .address_space:  global
        .offset:         24
        .size:           8
        .value_kind:     global_buffer
      - .actual_access:  read_only
        .address_space:  global
        .offset:         32
        .size:           8
        .value_kind:     global_buffer
      - .actual_access:  read_only
        .address_space:  global
        .offset:         40
        .size:           8
        .value_kind:     global_buffer
      - .actual_access:  read_only
        .address_space:  global
        .offset:         48
        .size:           8
        .value_kind:     global_buffer
      - .offset:         56
        .size:           8
        .value_kind:     by_value
      - .address_space:  global
        .offset:         64
        .size:           8
        .value_kind:     global_buffer
      - .offset:         72
        .size:           4
        .value_kind:     by_value
      - .offset:         76
        .size:           1
        .value_kind:     by_value
      - .offset:         80
        .size:           4
        .value_kind:     hidden_block_count_x
      - .offset:         84
        .size:           4
        .value_kind:     hidden_block_count_y
      - .offset:         88
        .size:           4
        .value_kind:     hidden_block_count_z
      - .offset:         92
        .size:           2
        .value_kind:     hidden_group_size_x
      - .offset:         94
        .size:           2
        .value_kind:     hidden_group_size_y
      - .offset:         96
        .size:           2
        .value_kind:     hidden_group_size_z
      - .offset:         98
        .size:           2
        .value_kind:     hidden_remainder_x
      - .offset:         100
        .size:           2
        .value_kind:     hidden_remainder_y
      - .offset:         102
        .size:           2
        .value_kind:     hidden_remainder_z
      - .offset:         120
        .size:           8
        .value_kind:     hidden_global_offset_x
      - .offset:         128
        .size:           8
        .value_kind:     hidden_global_offset_y
      - .offset:         136
        .size:           8
        .value_kind:     hidden_global_offset_z
      - .offset:         144
        .size:           2
        .value_kind:     hidden_grid_dims
    .group_segment_fixed_size: 0
    .kernarg_segment_align: 8
    .kernarg_segment_size: 336
    .language:       OpenCL C
    .language_version:
      - 2
      - 0
    .max_flat_workgroup_size: 256
    .name:           _ZN9rocsparseL21csrmvn_general_kernelILj256ELj16EiiddddEEvbT2_NS_24const_host_device_scalarIT6_EEPKT1_S7_PKS1_PKT3_PKT4_S4_PT5_21rocsparse_index_base_b
    .private_segment_fixed_size: 0
    .sgpr_count:     23
    .sgpr_spill_count: 0
    .symbol:         _ZN9rocsparseL21csrmvn_general_kernelILj256ELj16EiiddddEEvbT2_NS_24const_host_device_scalarIT6_EEPKT1_S7_PKS1_PKT3_PKT4_S4_PT5_21rocsparse_index_base_b.kd
    .uniform_work_group_size: 1
    .uses_dynamic_stack: false
    .vgpr_count:     20
    .vgpr_spill_count: 0
    .wavefront_size: 32
  - .args:
      - .offset:         0
        .size:           1
        .value_kind:     by_value
      - .offset:         4
        .size:           4
        .value_kind:     by_value
      - .offset:         8
        .size:           8
        .value_kind:     by_value
      - .address_space:  global
        .offset:         16
        .size:           8
        .value_kind:     global_buffer
      - .address_space:  global
        .offset:         24
        .size:           8
        .value_kind:     global_buffer
      - .actual_access:  read_only
        .address_space:  global
        .offset:         32
        .size:           8
        .value_kind:     global_buffer
      - .actual_access:  read_only
        .address_space:  global
        .offset:         40
        .size:           8
        .value_kind:     global_buffer
      - .actual_access:  read_only
        .address_space:  global
        .offset:         48
        .size:           8
        .value_kind:     global_buffer
      - .offset:         56
        .size:           8
        .value_kind:     by_value
      - .address_space:  global
        .offset:         64
        .size:           8
        .value_kind:     global_buffer
      - .offset:         72
        .size:           4
        .value_kind:     by_value
      - .offset:         76
        .size:           1
        .value_kind:     by_value
      - .offset:         80
        .size:           4
        .value_kind:     hidden_block_count_x
      - .offset:         84
        .size:           4
        .value_kind:     hidden_block_count_y
      - .offset:         88
        .size:           4
        .value_kind:     hidden_block_count_z
      - .offset:         92
        .size:           2
        .value_kind:     hidden_group_size_x
      - .offset:         94
        .size:           2
        .value_kind:     hidden_group_size_y
      - .offset:         96
        .size:           2
        .value_kind:     hidden_group_size_z
      - .offset:         98
        .size:           2
        .value_kind:     hidden_remainder_x
      - .offset:         100
        .size:           2
        .value_kind:     hidden_remainder_y
      - .offset:         102
        .size:           2
        .value_kind:     hidden_remainder_z
      - .offset:         120
        .size:           8
        .value_kind:     hidden_global_offset_x
      - .offset:         128
        .size:           8
        .value_kind:     hidden_global_offset_y
      - .offset:         136
        .size:           8
        .value_kind:     hidden_global_offset_z
      - .offset:         144
        .size:           2
        .value_kind:     hidden_grid_dims
    .group_segment_fixed_size: 0
    .kernarg_segment_align: 8
    .kernarg_segment_size: 336
    .language:       OpenCL C
    .language_version:
      - 2
      - 0
    .max_flat_workgroup_size: 256
    .name:           _ZN9rocsparseL21csrmvn_general_kernelILj256ELj32EiiddddEEvbT2_NS_24const_host_device_scalarIT6_EEPKT1_S7_PKS1_PKT3_PKT4_S4_PT5_21rocsparse_index_base_b
    .private_segment_fixed_size: 0
    .sgpr_count:     23
    .sgpr_spill_count: 0
    .symbol:         _ZN9rocsparseL21csrmvn_general_kernelILj256ELj32EiiddddEEvbT2_NS_24const_host_device_scalarIT6_EEPKT1_S7_PKS1_PKT3_PKT4_S4_PT5_21rocsparse_index_base_b.kd
    .uniform_work_group_size: 1
    .uses_dynamic_stack: false
    .vgpr_count:     20
    .vgpr_spill_count: 0
    .wavefront_size: 32
  - .args:
      - .offset:         0
        .size:           1
        .value_kind:     by_value
      - .offset:         4
        .size:           4
        .value_kind:     by_value
      - .offset:         8
        .size:           8
        .value_kind:     by_value
      - .address_space:  global
        .offset:         16
        .size:           8
        .value_kind:     global_buffer
      - .address_space:  global
        .offset:         24
        .size:           8
        .value_kind:     global_buffer
      - .actual_access:  read_only
        .address_space:  global
        .offset:         32
        .size:           8
        .value_kind:     global_buffer
      - .actual_access:  read_only
        .address_space:  global
        .offset:         40
        .size:           8
        .value_kind:     global_buffer
      - .actual_access:  read_only
        .address_space:  global
        .offset:         48
        .size:           8
        .value_kind:     global_buffer
      - .offset:         56
        .size:           8
        .value_kind:     by_value
      - .address_space:  global
        .offset:         64
        .size:           8
        .value_kind:     global_buffer
      - .offset:         72
        .size:           4
        .value_kind:     by_value
      - .offset:         76
        .size:           1
        .value_kind:     by_value
      - .offset:         80
        .size:           4
        .value_kind:     hidden_block_count_x
      - .offset:         84
        .size:           4
        .value_kind:     hidden_block_count_y
      - .offset:         88
        .size:           4
        .value_kind:     hidden_block_count_z
      - .offset:         92
        .size:           2
        .value_kind:     hidden_group_size_x
      - .offset:         94
        .size:           2
        .value_kind:     hidden_group_size_y
      - .offset:         96
        .size:           2
        .value_kind:     hidden_group_size_z
      - .offset:         98
        .size:           2
        .value_kind:     hidden_remainder_x
      - .offset:         100
        .size:           2
        .value_kind:     hidden_remainder_y
      - .offset:         102
        .size:           2
        .value_kind:     hidden_remainder_z
      - .offset:         120
        .size:           8
        .value_kind:     hidden_global_offset_x
      - .offset:         128
        .size:           8
        .value_kind:     hidden_global_offset_y
      - .offset:         136
        .size:           8
        .value_kind:     hidden_global_offset_z
      - .offset:         144
        .size:           2
        .value_kind:     hidden_grid_dims
    .group_segment_fixed_size: 0
    .kernarg_segment_align: 8
    .kernarg_segment_size: 336
    .language:       OpenCL C
    .language_version:
      - 2
      - 0
    .max_flat_workgroup_size: 256
    .name:           _ZN9rocsparseL21csrmvn_general_kernelILj256ELj64EiiddddEEvbT2_NS_24const_host_device_scalarIT6_EEPKT1_S7_PKS1_PKT3_PKT4_S4_PT5_21rocsparse_index_base_b
    .private_segment_fixed_size: 0
    .sgpr_count:     23
    .sgpr_spill_count: 0
    .symbol:         _ZN9rocsparseL21csrmvn_general_kernelILj256ELj64EiiddddEEvbT2_NS_24const_host_device_scalarIT6_EEPKT1_S7_PKS1_PKT3_PKT4_S4_PT5_21rocsparse_index_base_b.kd
    .uniform_work_group_size: 1
    .uses_dynamic_stack: false
    .vgpr_count:     22
    .vgpr_spill_count: 0
    .wavefront_size: 32
  - .args:
      - .offset:         0
        .size:           1
        .value_kind:     by_value
      - .offset:         1
        .size:           1
        .value_kind:     by_value
      - .offset:         4
        .size:           4
        .value_kind:     by_value
      - .offset:         8
        .size:           8
        .value_kind:     by_value
      - .address_space:  global
        .offset:         16
        .size:           8
        .value_kind:     global_buffer
      - .address_space:  global
        .offset:         24
        .size:           8
        .value_kind:     global_buffer
      - .actual_access:  read_only
        .address_space:  global
        .offset:         32
        .size:           8
        .value_kind:     global_buffer
      - .actual_access:  read_only
        .address_space:  global
        .offset:         40
        .size:           8
        .value_kind:     global_buffer
      - .actual_access:  read_only
        .address_space:  global
        .offset:         48
        .size:           8
        .value_kind:     global_buffer
      - .address_space:  global
        .offset:         56
        .size:           8
        .value_kind:     global_buffer
      - .offset:         64
        .size:           4
        .value_kind:     by_value
      - .offset:         68
        .size:           1
        .value_kind:     by_value
      - .offset:         72
        .size:           4
        .value_kind:     hidden_block_count_x
      - .offset:         76
        .size:           4
        .value_kind:     hidden_block_count_y
      - .offset:         80
        .size:           4
        .value_kind:     hidden_block_count_z
      - .offset:         84
        .size:           2
        .value_kind:     hidden_group_size_x
      - .offset:         86
        .size:           2
        .value_kind:     hidden_group_size_y
      - .offset:         88
        .size:           2
        .value_kind:     hidden_group_size_z
      - .offset:         90
        .size:           2
        .value_kind:     hidden_remainder_x
      - .offset:         92
        .size:           2
        .value_kind:     hidden_remainder_y
      - .offset:         94
        .size:           2
        .value_kind:     hidden_remainder_z
      - .offset:         112
        .size:           8
        .value_kind:     hidden_global_offset_x
      - .offset:         120
        .size:           8
        .value_kind:     hidden_global_offset_y
      - .offset:         128
        .size:           8
        .value_kind:     hidden_global_offset_z
      - .offset:         136
        .size:           2
        .value_kind:     hidden_grid_dims
    .group_segment_fixed_size: 0
    .kernarg_segment_align: 8
    .kernarg_segment_size: 328
    .language:       OpenCL C
    .language_version:
      - 2
      - 0
    .max_flat_workgroup_size: 256
    .name:           _ZN9rocsparseL21csrmvt_general_kernelILj256ELj4EiiddddEEvbbT2_NS_24const_host_device_scalarIT6_EEPKT1_S7_PKS1_PKT3_PKT4_PT5_21rocsparse_index_base_b
    .private_segment_fixed_size: 0
    .sgpr_count:     22
    .sgpr_spill_count: 0
    .symbol:         _ZN9rocsparseL21csrmvt_general_kernelILj256ELj4EiiddddEEvbbT2_NS_24const_host_device_scalarIT6_EEPKT1_S7_PKS1_PKT3_PKT4_PT5_21rocsparse_index_base_b.kd
    .uniform_work_group_size: 1
    .uses_dynamic_stack: false
    .vgpr_count:     14
    .vgpr_spill_count: 0
    .wavefront_size: 32
  - .args:
      - .offset:         0
        .size:           1
        .value_kind:     by_value
      - .offset:         1
        .size:           1
        .value_kind:     by_value
      - .offset:         4
        .size:           4
        .value_kind:     by_value
      - .offset:         8
        .size:           8
        .value_kind:     by_value
      - .address_space:  global
        .offset:         16
        .size:           8
        .value_kind:     global_buffer
      - .address_space:  global
        .offset:         24
        .size:           8
        .value_kind:     global_buffer
      - .actual_access:  read_only
        .address_space:  global
        .offset:         32
        .size:           8
        .value_kind:     global_buffer
      - .actual_access:  read_only
        .address_space:  global
        .offset:         40
        .size:           8
        .value_kind:     global_buffer
      - .actual_access:  read_only
        .address_space:  global
        .offset:         48
        .size:           8
        .value_kind:     global_buffer
      - .address_space:  global
        .offset:         56
        .size:           8
        .value_kind:     global_buffer
      - .offset:         64
        .size:           4
        .value_kind:     by_value
      - .offset:         68
        .size:           1
        .value_kind:     by_value
      - .offset:         72
        .size:           4
        .value_kind:     hidden_block_count_x
      - .offset:         76
        .size:           4
        .value_kind:     hidden_block_count_y
      - .offset:         80
        .size:           4
        .value_kind:     hidden_block_count_z
      - .offset:         84
        .size:           2
        .value_kind:     hidden_group_size_x
      - .offset:         86
        .size:           2
        .value_kind:     hidden_group_size_y
      - .offset:         88
        .size:           2
        .value_kind:     hidden_group_size_z
      - .offset:         90
        .size:           2
        .value_kind:     hidden_remainder_x
      - .offset:         92
        .size:           2
        .value_kind:     hidden_remainder_y
      - .offset:         94
        .size:           2
        .value_kind:     hidden_remainder_z
      - .offset:         112
        .size:           8
        .value_kind:     hidden_global_offset_x
      - .offset:         120
        .size:           8
        .value_kind:     hidden_global_offset_y
      - .offset:         128
        .size:           8
        .value_kind:     hidden_global_offset_z
      - .offset:         136
        .size:           2
        .value_kind:     hidden_grid_dims
    .group_segment_fixed_size: 0
    .kernarg_segment_align: 8
    .kernarg_segment_size: 328
    .language:       OpenCL C
    .language_version:
      - 2
      - 0
    .max_flat_workgroup_size: 256
    .name:           _ZN9rocsparseL21csrmvt_general_kernelILj256ELj8EiiddddEEvbbT2_NS_24const_host_device_scalarIT6_EEPKT1_S7_PKS1_PKT3_PKT4_PT5_21rocsparse_index_base_b
    .private_segment_fixed_size: 0
    .sgpr_count:     22
    .sgpr_spill_count: 0
    .symbol:         _ZN9rocsparseL21csrmvt_general_kernelILj256ELj8EiiddddEEvbbT2_NS_24const_host_device_scalarIT6_EEPKT1_S7_PKS1_PKT3_PKT4_PT5_21rocsparse_index_base_b.kd
    .uniform_work_group_size: 1
    .uses_dynamic_stack: false
    .vgpr_count:     14
    .vgpr_spill_count: 0
    .wavefront_size: 32
  - .args:
      - .offset:         0
        .size:           1
        .value_kind:     by_value
      - .offset:         1
        .size:           1
        .value_kind:     by_value
      - .offset:         4
        .size:           4
        .value_kind:     by_value
      - .offset:         8
        .size:           8
        .value_kind:     by_value
      - .address_space:  global
        .offset:         16
        .size:           8
        .value_kind:     global_buffer
      - .address_space:  global
        .offset:         24
        .size:           8
        .value_kind:     global_buffer
      - .actual_access:  read_only
        .address_space:  global
        .offset:         32
        .size:           8
        .value_kind:     global_buffer
      - .actual_access:  read_only
        .address_space:  global
        .offset:         40
        .size:           8
        .value_kind:     global_buffer
      - .actual_access:  read_only
        .address_space:  global
        .offset:         48
        .size:           8
        .value_kind:     global_buffer
      - .address_space:  global
        .offset:         56
        .size:           8
        .value_kind:     global_buffer
      - .offset:         64
        .size:           4
        .value_kind:     by_value
      - .offset:         68
        .size:           1
        .value_kind:     by_value
      - .offset:         72
        .size:           4
        .value_kind:     hidden_block_count_x
      - .offset:         76
        .size:           4
        .value_kind:     hidden_block_count_y
      - .offset:         80
        .size:           4
        .value_kind:     hidden_block_count_z
      - .offset:         84
        .size:           2
        .value_kind:     hidden_group_size_x
      - .offset:         86
        .size:           2
        .value_kind:     hidden_group_size_y
      - .offset:         88
        .size:           2
        .value_kind:     hidden_group_size_z
      - .offset:         90
        .size:           2
        .value_kind:     hidden_remainder_x
      - .offset:         92
        .size:           2
        .value_kind:     hidden_remainder_y
      - .offset:         94
        .size:           2
        .value_kind:     hidden_remainder_z
      - .offset:         112
        .size:           8
        .value_kind:     hidden_global_offset_x
      - .offset:         120
        .size:           8
        .value_kind:     hidden_global_offset_y
      - .offset:         128
        .size:           8
        .value_kind:     hidden_global_offset_z
      - .offset:         136
        .size:           2
        .value_kind:     hidden_grid_dims
    .group_segment_fixed_size: 0
    .kernarg_segment_align: 8
    .kernarg_segment_size: 328
    .language:       OpenCL C
    .language_version:
      - 2
      - 0
    .max_flat_workgroup_size: 256
    .name:           _ZN9rocsparseL21csrmvt_general_kernelILj256ELj16EiiddddEEvbbT2_NS_24const_host_device_scalarIT6_EEPKT1_S7_PKS1_PKT3_PKT4_PT5_21rocsparse_index_base_b
    .private_segment_fixed_size: 0
    .sgpr_count:     22
    .sgpr_spill_count: 0
    .symbol:         _ZN9rocsparseL21csrmvt_general_kernelILj256ELj16EiiddddEEvbbT2_NS_24const_host_device_scalarIT6_EEPKT1_S7_PKS1_PKT3_PKT4_PT5_21rocsparse_index_base_b.kd
    .uniform_work_group_size: 1
    .uses_dynamic_stack: false
    .vgpr_count:     14
    .vgpr_spill_count: 0
    .wavefront_size: 32
  - .args:
      - .offset:         0
        .size:           1
        .value_kind:     by_value
      - .offset:         1
        .size:           1
        .value_kind:     by_value
      - .offset:         4
        .size:           4
        .value_kind:     by_value
      - .offset:         8
        .size:           8
        .value_kind:     by_value
      - .address_space:  global
        .offset:         16
        .size:           8
        .value_kind:     global_buffer
      - .address_space:  global
        .offset:         24
        .size:           8
        .value_kind:     global_buffer
      - .actual_access:  read_only
        .address_space:  global
        .offset:         32
        .size:           8
        .value_kind:     global_buffer
      - .actual_access:  read_only
        .address_space:  global
        .offset:         40
        .size:           8
        .value_kind:     global_buffer
      - .actual_access:  read_only
        .address_space:  global
        .offset:         48
        .size:           8
        .value_kind:     global_buffer
      - .address_space:  global
        .offset:         56
        .size:           8
        .value_kind:     global_buffer
      - .offset:         64
        .size:           4
        .value_kind:     by_value
      - .offset:         68
        .size:           1
        .value_kind:     by_value
      - .offset:         72
        .size:           4
        .value_kind:     hidden_block_count_x
      - .offset:         76
        .size:           4
        .value_kind:     hidden_block_count_y
      - .offset:         80
        .size:           4
        .value_kind:     hidden_block_count_z
      - .offset:         84
        .size:           2
        .value_kind:     hidden_group_size_x
      - .offset:         86
        .size:           2
        .value_kind:     hidden_group_size_y
      - .offset:         88
        .size:           2
        .value_kind:     hidden_group_size_z
      - .offset:         90
        .size:           2
        .value_kind:     hidden_remainder_x
      - .offset:         92
        .size:           2
        .value_kind:     hidden_remainder_y
      - .offset:         94
        .size:           2
        .value_kind:     hidden_remainder_z
      - .offset:         112
        .size:           8
        .value_kind:     hidden_global_offset_x
      - .offset:         120
        .size:           8
        .value_kind:     hidden_global_offset_y
      - .offset:         128
        .size:           8
        .value_kind:     hidden_global_offset_z
      - .offset:         136
        .size:           2
        .value_kind:     hidden_grid_dims
    .group_segment_fixed_size: 0
    .kernarg_segment_align: 8
    .kernarg_segment_size: 328
    .language:       OpenCL C
    .language_version:
      - 2
      - 0
    .max_flat_workgroup_size: 256
    .name:           _ZN9rocsparseL21csrmvt_general_kernelILj256ELj32EiiddddEEvbbT2_NS_24const_host_device_scalarIT6_EEPKT1_S7_PKS1_PKT3_PKT4_PT5_21rocsparse_index_base_b
    .private_segment_fixed_size: 0
    .sgpr_count:     22
    .sgpr_spill_count: 0
    .symbol:         _ZN9rocsparseL21csrmvt_general_kernelILj256ELj32EiiddddEEvbbT2_NS_24const_host_device_scalarIT6_EEPKT1_S7_PKS1_PKT3_PKT4_PT5_21rocsparse_index_base_b.kd
    .uniform_work_group_size: 1
    .uses_dynamic_stack: false
    .vgpr_count:     14
    .vgpr_spill_count: 0
    .wavefront_size: 32
  - .args:
      - .offset:         0
        .size:           1
        .value_kind:     by_value
      - .offset:         1
        .size:           1
        .value_kind:     by_value
      - .offset:         4
        .size:           4
        .value_kind:     by_value
      - .offset:         8
        .size:           8
        .value_kind:     by_value
      - .address_space:  global
        .offset:         16
        .size:           8
        .value_kind:     global_buffer
      - .address_space:  global
        .offset:         24
        .size:           8
        .value_kind:     global_buffer
      - .actual_access:  read_only
        .address_space:  global
        .offset:         32
        .size:           8
        .value_kind:     global_buffer
      - .actual_access:  read_only
        .address_space:  global
        .offset:         40
        .size:           8
        .value_kind:     global_buffer
      - .actual_access:  read_only
        .address_space:  global
        .offset:         48
        .size:           8
        .value_kind:     global_buffer
      - .address_space:  global
        .offset:         56
        .size:           8
        .value_kind:     global_buffer
      - .offset:         64
        .size:           4
        .value_kind:     by_value
      - .offset:         68
        .size:           1
        .value_kind:     by_value
      - .offset:         72
        .size:           4
        .value_kind:     hidden_block_count_x
      - .offset:         76
        .size:           4
        .value_kind:     hidden_block_count_y
      - .offset:         80
        .size:           4
        .value_kind:     hidden_block_count_z
      - .offset:         84
        .size:           2
        .value_kind:     hidden_group_size_x
      - .offset:         86
        .size:           2
        .value_kind:     hidden_group_size_y
      - .offset:         88
        .size:           2
        .value_kind:     hidden_group_size_z
      - .offset:         90
        .size:           2
        .value_kind:     hidden_remainder_x
      - .offset:         92
        .size:           2
        .value_kind:     hidden_remainder_y
      - .offset:         94
        .size:           2
        .value_kind:     hidden_remainder_z
      - .offset:         112
        .size:           8
        .value_kind:     hidden_global_offset_x
      - .offset:         120
        .size:           8
        .value_kind:     hidden_global_offset_y
      - .offset:         128
        .size:           8
        .value_kind:     hidden_global_offset_z
      - .offset:         136
        .size:           2
        .value_kind:     hidden_grid_dims
    .group_segment_fixed_size: 0
    .kernarg_segment_align: 8
    .kernarg_segment_size: 328
    .language:       OpenCL C
    .language_version:
      - 2
      - 0
    .max_flat_workgroup_size: 256
    .name:           _ZN9rocsparseL21csrmvt_general_kernelILj256ELj64EiiddddEEvbbT2_NS_24const_host_device_scalarIT6_EEPKT1_S7_PKS1_PKT3_PKT4_PT5_21rocsparse_index_base_b
    .private_segment_fixed_size: 0
    .sgpr_count:     22
    .sgpr_spill_count: 0
    .symbol:         _ZN9rocsparseL21csrmvt_general_kernelILj256ELj64EiiddddEEvbbT2_NS_24const_host_device_scalarIT6_EEPKT1_S7_PKS1_PKT3_PKT4_PT5_21rocsparse_index_base_b.kd
    .uniform_work_group_size: 1
    .uses_dynamic_stack: false
    .vgpr_count:     14
    .vgpr_spill_count: 0
    .wavefront_size: 32
  - .args:
      - .offset:         0
        .size:           1
        .value_kind:     by_value
      - .offset:         4
        .size:           4
        .value_kind:     by_value
      - .offset:         8
        .size:           8
        .value_kind:     by_value
      - .address_space:  global
        .offset:         16
        .size:           8
        .value_kind:     global_buffer
      - .address_space:  global
        .offset:         24
        .size:           8
        .value_kind:     global_buffer
      - .actual_access:  read_only
        .address_space:  global
        .offset:         32
        .size:           8
        .value_kind:     global_buffer
      - .actual_access:  read_only
        .address_space:  global
        .offset:         40
        .size:           8
        .value_kind:     global_buffer
      - .actual_access:  read_only
        .address_space:  global
        .offset:         48
        .size:           8
        .value_kind:     global_buffer
      - .offset:         56
        .size:           8
        .value_kind:     by_value
      - .address_space:  global
        .offset:         64
        .size:           8
        .value_kind:     global_buffer
      - .offset:         72
        .size:           4
        .value_kind:     by_value
      - .offset:         76
        .size:           1
        .value_kind:     by_value
      - .offset:         80
        .size:           4
        .value_kind:     hidden_block_count_x
      - .offset:         84
        .size:           4
        .value_kind:     hidden_block_count_y
      - .offset:         88
        .size:           4
        .value_kind:     hidden_block_count_z
      - .offset:         92
        .size:           2
        .value_kind:     hidden_group_size_x
      - .offset:         94
        .size:           2
        .value_kind:     hidden_group_size_y
      - .offset:         96
        .size:           2
        .value_kind:     hidden_group_size_z
      - .offset:         98
        .size:           2
        .value_kind:     hidden_remainder_x
      - .offset:         100
        .size:           2
        .value_kind:     hidden_remainder_y
      - .offset:         102
        .size:           2
        .value_kind:     hidden_remainder_z
      - .offset:         120
        .size:           8
        .value_kind:     hidden_global_offset_x
      - .offset:         128
        .size:           8
        .value_kind:     hidden_global_offset_y
      - .offset:         136
        .size:           8
        .value_kind:     hidden_global_offset_z
      - .offset:         144
        .size:           2
        .value_kind:     hidden_grid_dims
    .group_segment_fixed_size: 0
    .kernarg_segment_align: 8
    .kernarg_segment_size: 336
    .language:       OpenCL C
    .language_version:
      - 2
      - 0
    .max_flat_workgroup_size: 256
    .name:           _ZN9rocsparseL21csrmvn_general_kernelILj256ELj2EliddddEEvbT2_NS_24const_host_device_scalarIT6_EEPKT1_S7_PKS1_PKT3_PKT4_S4_PT5_21rocsparse_index_base_b
    .private_segment_fixed_size: 0
    .sgpr_count:     23
    .sgpr_spill_count: 0
    .symbol:         _ZN9rocsparseL21csrmvn_general_kernelILj256ELj2EliddddEEvbT2_NS_24const_host_device_scalarIT6_EEPKT1_S7_PKS1_PKT3_PKT4_S4_PT5_21rocsparse_index_base_b.kd
    .uniform_work_group_size: 1
    .uses_dynamic_stack: false
    .vgpr_count:     24
    .vgpr_spill_count: 0
    .wavefront_size: 32
  - .args:
      - .offset:         0
        .size:           1
        .value_kind:     by_value
      - .offset:         4
        .size:           4
        .value_kind:     by_value
      - .offset:         8
        .size:           8
        .value_kind:     by_value
      - .address_space:  global
        .offset:         16
        .size:           8
        .value_kind:     global_buffer
      - .address_space:  global
        .offset:         24
        .size:           8
        .value_kind:     global_buffer
      - .actual_access:  read_only
        .address_space:  global
        .offset:         32
        .size:           8
        .value_kind:     global_buffer
      - .actual_access:  read_only
        .address_space:  global
        .offset:         40
        .size:           8
        .value_kind:     global_buffer
      - .actual_access:  read_only
        .address_space:  global
        .offset:         48
        .size:           8
        .value_kind:     global_buffer
      - .offset:         56
        .size:           8
        .value_kind:     by_value
      - .address_space:  global
        .offset:         64
        .size:           8
        .value_kind:     global_buffer
      - .offset:         72
        .size:           4
        .value_kind:     by_value
      - .offset:         76
        .size:           1
        .value_kind:     by_value
      - .offset:         80
        .size:           4
        .value_kind:     hidden_block_count_x
      - .offset:         84
        .size:           4
        .value_kind:     hidden_block_count_y
      - .offset:         88
        .size:           4
        .value_kind:     hidden_block_count_z
      - .offset:         92
        .size:           2
        .value_kind:     hidden_group_size_x
      - .offset:         94
        .size:           2
        .value_kind:     hidden_group_size_y
      - .offset:         96
        .size:           2
        .value_kind:     hidden_group_size_z
      - .offset:         98
        .size:           2
        .value_kind:     hidden_remainder_x
      - .offset:         100
        .size:           2
        .value_kind:     hidden_remainder_y
      - .offset:         102
        .size:           2
        .value_kind:     hidden_remainder_z
      - .offset:         120
        .size:           8
        .value_kind:     hidden_global_offset_x
      - .offset:         128
        .size:           8
        .value_kind:     hidden_global_offset_y
      - .offset:         136
        .size:           8
        .value_kind:     hidden_global_offset_z
      - .offset:         144
        .size:           2
        .value_kind:     hidden_grid_dims
    .group_segment_fixed_size: 0
    .kernarg_segment_align: 8
    .kernarg_segment_size: 336
    .language:       OpenCL C
    .language_version:
      - 2
      - 0
    .max_flat_workgroup_size: 256
    .name:           _ZN9rocsparseL21csrmvn_general_kernelILj256ELj4EliddddEEvbT2_NS_24const_host_device_scalarIT6_EEPKT1_S7_PKS1_PKT3_PKT4_S4_PT5_21rocsparse_index_base_b
    .private_segment_fixed_size: 0
    .sgpr_count:     23
    .sgpr_spill_count: 0
    .symbol:         _ZN9rocsparseL21csrmvn_general_kernelILj256ELj4EliddddEEvbT2_NS_24const_host_device_scalarIT6_EEPKT1_S7_PKS1_PKT3_PKT4_S4_PT5_21rocsparse_index_base_b.kd
    .uniform_work_group_size: 1
    .uses_dynamic_stack: false
    .vgpr_count:     24
    .vgpr_spill_count: 0
    .wavefront_size: 32
  - .args:
      - .offset:         0
        .size:           1
        .value_kind:     by_value
      - .offset:         4
        .size:           4
        .value_kind:     by_value
      - .offset:         8
        .size:           8
        .value_kind:     by_value
      - .address_space:  global
        .offset:         16
        .size:           8
        .value_kind:     global_buffer
      - .address_space:  global
        .offset:         24
        .size:           8
        .value_kind:     global_buffer
      - .actual_access:  read_only
        .address_space:  global
        .offset:         32
        .size:           8
        .value_kind:     global_buffer
      - .actual_access:  read_only
        .address_space:  global
        .offset:         40
        .size:           8
        .value_kind:     global_buffer
      - .actual_access:  read_only
        .address_space:  global
        .offset:         48
        .size:           8
        .value_kind:     global_buffer
      - .offset:         56
        .size:           8
        .value_kind:     by_value
      - .address_space:  global
        .offset:         64
        .size:           8
        .value_kind:     global_buffer
      - .offset:         72
        .size:           4
        .value_kind:     by_value
      - .offset:         76
        .size:           1
        .value_kind:     by_value
      - .offset:         80
        .size:           4
        .value_kind:     hidden_block_count_x
      - .offset:         84
        .size:           4
        .value_kind:     hidden_block_count_y
      - .offset:         88
        .size:           4
        .value_kind:     hidden_block_count_z
      - .offset:         92
        .size:           2
        .value_kind:     hidden_group_size_x
      - .offset:         94
        .size:           2
        .value_kind:     hidden_group_size_y
      - .offset:         96
        .size:           2
        .value_kind:     hidden_group_size_z
      - .offset:         98
        .size:           2
        .value_kind:     hidden_remainder_x
      - .offset:         100
        .size:           2
        .value_kind:     hidden_remainder_y
      - .offset:         102
        .size:           2
        .value_kind:     hidden_remainder_z
      - .offset:         120
        .size:           8
        .value_kind:     hidden_global_offset_x
      - .offset:         128
        .size:           8
        .value_kind:     hidden_global_offset_y
      - .offset:         136
        .size:           8
        .value_kind:     hidden_global_offset_z
      - .offset:         144
        .size:           2
        .value_kind:     hidden_grid_dims
    .group_segment_fixed_size: 0
    .kernarg_segment_align: 8
    .kernarg_segment_size: 336
    .language:       OpenCL C
    .language_version:
      - 2
      - 0
    .max_flat_workgroup_size: 256
    .name:           _ZN9rocsparseL21csrmvn_general_kernelILj256ELj8EliddddEEvbT2_NS_24const_host_device_scalarIT6_EEPKT1_S7_PKS1_PKT3_PKT4_S4_PT5_21rocsparse_index_base_b
    .private_segment_fixed_size: 0
    .sgpr_count:     23
    .sgpr_spill_count: 0
    .symbol:         _ZN9rocsparseL21csrmvn_general_kernelILj256ELj8EliddddEEvbT2_NS_24const_host_device_scalarIT6_EEPKT1_S7_PKS1_PKT3_PKT4_S4_PT5_21rocsparse_index_base_b.kd
    .uniform_work_group_size: 1
    .uses_dynamic_stack: false
    .vgpr_count:     26
    .vgpr_spill_count: 0
    .wavefront_size: 32
  - .args:
      - .offset:         0
        .size:           1
        .value_kind:     by_value
      - .offset:         4
        .size:           4
        .value_kind:     by_value
      - .offset:         8
        .size:           8
        .value_kind:     by_value
      - .address_space:  global
        .offset:         16
        .size:           8
        .value_kind:     global_buffer
      - .address_space:  global
        .offset:         24
        .size:           8
        .value_kind:     global_buffer
      - .actual_access:  read_only
        .address_space:  global
        .offset:         32
        .size:           8
        .value_kind:     global_buffer
      - .actual_access:  read_only
        .address_space:  global
        .offset:         40
        .size:           8
        .value_kind:     global_buffer
      - .actual_access:  read_only
        .address_space:  global
        .offset:         48
        .size:           8
        .value_kind:     global_buffer
      - .offset:         56
        .size:           8
        .value_kind:     by_value
      - .address_space:  global
        .offset:         64
        .size:           8
        .value_kind:     global_buffer
      - .offset:         72
        .size:           4
        .value_kind:     by_value
      - .offset:         76
        .size:           1
        .value_kind:     by_value
      - .offset:         80
        .size:           4
        .value_kind:     hidden_block_count_x
      - .offset:         84
        .size:           4
        .value_kind:     hidden_block_count_y
      - .offset:         88
        .size:           4
        .value_kind:     hidden_block_count_z
      - .offset:         92
        .size:           2
        .value_kind:     hidden_group_size_x
      - .offset:         94
        .size:           2
        .value_kind:     hidden_group_size_y
      - .offset:         96
        .size:           2
        .value_kind:     hidden_group_size_z
      - .offset:         98
        .size:           2
        .value_kind:     hidden_remainder_x
      - .offset:         100
        .size:           2
        .value_kind:     hidden_remainder_y
      - .offset:         102
        .size:           2
        .value_kind:     hidden_remainder_z
      - .offset:         120
        .size:           8
        .value_kind:     hidden_global_offset_x
      - .offset:         128
        .size:           8
        .value_kind:     hidden_global_offset_y
      - .offset:         136
        .size:           8
        .value_kind:     hidden_global_offset_z
      - .offset:         144
        .size:           2
        .value_kind:     hidden_grid_dims
    .group_segment_fixed_size: 0
    .kernarg_segment_align: 8
    .kernarg_segment_size: 336
    .language:       OpenCL C
    .language_version:
      - 2
      - 0
    .max_flat_workgroup_size: 256
    .name:           _ZN9rocsparseL21csrmvn_general_kernelILj256ELj16EliddddEEvbT2_NS_24const_host_device_scalarIT6_EEPKT1_S7_PKS1_PKT3_PKT4_S4_PT5_21rocsparse_index_base_b
    .private_segment_fixed_size: 0
    .sgpr_count:     23
    .sgpr_spill_count: 0
    .symbol:         _ZN9rocsparseL21csrmvn_general_kernelILj256ELj16EliddddEEvbT2_NS_24const_host_device_scalarIT6_EEPKT1_S7_PKS1_PKT3_PKT4_S4_PT5_21rocsparse_index_base_b.kd
    .uniform_work_group_size: 1
    .uses_dynamic_stack: false
    .vgpr_count:     26
    .vgpr_spill_count: 0
    .wavefront_size: 32
  - .args:
      - .offset:         0
        .size:           1
        .value_kind:     by_value
      - .offset:         4
        .size:           4
        .value_kind:     by_value
      - .offset:         8
        .size:           8
        .value_kind:     by_value
      - .address_space:  global
        .offset:         16
        .size:           8
        .value_kind:     global_buffer
      - .address_space:  global
        .offset:         24
        .size:           8
        .value_kind:     global_buffer
      - .actual_access:  read_only
        .address_space:  global
        .offset:         32
        .size:           8
        .value_kind:     global_buffer
      - .actual_access:  read_only
        .address_space:  global
        .offset:         40
        .size:           8
        .value_kind:     global_buffer
      - .actual_access:  read_only
        .address_space:  global
        .offset:         48
        .size:           8
        .value_kind:     global_buffer
      - .offset:         56
        .size:           8
        .value_kind:     by_value
      - .address_space:  global
        .offset:         64
        .size:           8
        .value_kind:     global_buffer
      - .offset:         72
        .size:           4
        .value_kind:     by_value
      - .offset:         76
        .size:           1
        .value_kind:     by_value
      - .offset:         80
        .size:           4
        .value_kind:     hidden_block_count_x
      - .offset:         84
        .size:           4
        .value_kind:     hidden_block_count_y
      - .offset:         88
        .size:           4
        .value_kind:     hidden_block_count_z
      - .offset:         92
        .size:           2
        .value_kind:     hidden_group_size_x
      - .offset:         94
        .size:           2
        .value_kind:     hidden_group_size_y
      - .offset:         96
        .size:           2
        .value_kind:     hidden_group_size_z
      - .offset:         98
        .size:           2
        .value_kind:     hidden_remainder_x
      - .offset:         100
        .size:           2
        .value_kind:     hidden_remainder_y
      - .offset:         102
        .size:           2
        .value_kind:     hidden_remainder_z
      - .offset:         120
        .size:           8
        .value_kind:     hidden_global_offset_x
      - .offset:         128
        .size:           8
        .value_kind:     hidden_global_offset_y
      - .offset:         136
        .size:           8
        .value_kind:     hidden_global_offset_z
      - .offset:         144
        .size:           2
        .value_kind:     hidden_grid_dims
    .group_segment_fixed_size: 0
    .kernarg_segment_align: 8
    .kernarg_segment_size: 336
    .language:       OpenCL C
    .language_version:
      - 2
      - 0
    .max_flat_workgroup_size: 256
    .name:           _ZN9rocsparseL21csrmvn_general_kernelILj256ELj32EliddddEEvbT2_NS_24const_host_device_scalarIT6_EEPKT1_S7_PKS1_PKT3_PKT4_S4_PT5_21rocsparse_index_base_b
    .private_segment_fixed_size: 0
    .sgpr_count:     23
    .sgpr_spill_count: 0
    .symbol:         _ZN9rocsparseL21csrmvn_general_kernelILj256ELj32EliddddEEvbT2_NS_24const_host_device_scalarIT6_EEPKT1_S7_PKS1_PKT3_PKT4_S4_PT5_21rocsparse_index_base_b.kd
    .uniform_work_group_size: 1
    .uses_dynamic_stack: false
    .vgpr_count:     28
    .vgpr_spill_count: 0
    .wavefront_size: 32
  - .args:
      - .offset:         0
        .size:           1
        .value_kind:     by_value
      - .offset:         4
        .size:           4
        .value_kind:     by_value
      - .offset:         8
        .size:           8
        .value_kind:     by_value
      - .address_space:  global
        .offset:         16
        .size:           8
        .value_kind:     global_buffer
      - .address_space:  global
        .offset:         24
        .size:           8
        .value_kind:     global_buffer
      - .actual_access:  read_only
        .address_space:  global
        .offset:         32
        .size:           8
        .value_kind:     global_buffer
      - .actual_access:  read_only
        .address_space:  global
        .offset:         40
        .size:           8
        .value_kind:     global_buffer
      - .actual_access:  read_only
        .address_space:  global
        .offset:         48
        .size:           8
        .value_kind:     global_buffer
      - .offset:         56
        .size:           8
        .value_kind:     by_value
      - .address_space:  global
        .offset:         64
        .size:           8
        .value_kind:     global_buffer
      - .offset:         72
        .size:           4
        .value_kind:     by_value
      - .offset:         76
        .size:           1
        .value_kind:     by_value
      - .offset:         80
        .size:           4
        .value_kind:     hidden_block_count_x
      - .offset:         84
        .size:           4
        .value_kind:     hidden_block_count_y
      - .offset:         88
        .size:           4
        .value_kind:     hidden_block_count_z
      - .offset:         92
        .size:           2
        .value_kind:     hidden_group_size_x
      - .offset:         94
        .size:           2
        .value_kind:     hidden_group_size_y
      - .offset:         96
        .size:           2
        .value_kind:     hidden_group_size_z
      - .offset:         98
        .size:           2
        .value_kind:     hidden_remainder_x
      - .offset:         100
        .size:           2
        .value_kind:     hidden_remainder_y
      - .offset:         102
        .size:           2
        .value_kind:     hidden_remainder_z
      - .offset:         120
        .size:           8
        .value_kind:     hidden_global_offset_x
      - .offset:         128
        .size:           8
        .value_kind:     hidden_global_offset_y
      - .offset:         136
        .size:           8
        .value_kind:     hidden_global_offset_z
      - .offset:         144
        .size:           2
        .value_kind:     hidden_grid_dims
    .group_segment_fixed_size: 0
    .kernarg_segment_align: 8
    .kernarg_segment_size: 336
    .language:       OpenCL C
    .language_version:
      - 2
      - 0
    .max_flat_workgroup_size: 256
    .name:           _ZN9rocsparseL21csrmvn_general_kernelILj256ELj64EliddddEEvbT2_NS_24const_host_device_scalarIT6_EEPKT1_S7_PKS1_PKT3_PKT4_S4_PT5_21rocsparse_index_base_b
    .private_segment_fixed_size: 0
    .sgpr_count:     23
    .sgpr_spill_count: 0
    .symbol:         _ZN9rocsparseL21csrmvn_general_kernelILj256ELj64EliddddEEvbT2_NS_24const_host_device_scalarIT6_EEPKT1_S7_PKS1_PKT3_PKT4_S4_PT5_21rocsparse_index_base_b.kd
    .uniform_work_group_size: 1
    .uses_dynamic_stack: false
    .vgpr_count:     28
    .vgpr_spill_count: 0
    .wavefront_size: 32
  - .args:
      - .offset:         0
        .size:           1
        .value_kind:     by_value
      - .offset:         1
        .size:           1
        .value_kind:     by_value
      - .offset:         4
        .size:           4
        .value_kind:     by_value
      - .offset:         8
        .size:           8
        .value_kind:     by_value
      - .address_space:  global
        .offset:         16
        .size:           8
        .value_kind:     global_buffer
      - .address_space:  global
        .offset:         24
        .size:           8
        .value_kind:     global_buffer
      - .actual_access:  read_only
        .address_space:  global
        .offset:         32
        .size:           8
        .value_kind:     global_buffer
      - .actual_access:  read_only
        .address_space:  global
        .offset:         40
        .size:           8
        .value_kind:     global_buffer
      - .actual_access:  read_only
        .address_space:  global
        .offset:         48
        .size:           8
        .value_kind:     global_buffer
      - .address_space:  global
        .offset:         56
        .size:           8
        .value_kind:     global_buffer
      - .offset:         64
        .size:           4
        .value_kind:     by_value
      - .offset:         68
        .size:           1
        .value_kind:     by_value
      - .offset:         72
        .size:           4
        .value_kind:     hidden_block_count_x
      - .offset:         76
        .size:           4
        .value_kind:     hidden_block_count_y
      - .offset:         80
        .size:           4
        .value_kind:     hidden_block_count_z
      - .offset:         84
        .size:           2
        .value_kind:     hidden_group_size_x
      - .offset:         86
        .size:           2
        .value_kind:     hidden_group_size_y
      - .offset:         88
        .size:           2
        .value_kind:     hidden_group_size_z
      - .offset:         90
        .size:           2
        .value_kind:     hidden_remainder_x
      - .offset:         92
        .size:           2
        .value_kind:     hidden_remainder_y
      - .offset:         94
        .size:           2
        .value_kind:     hidden_remainder_z
      - .offset:         112
        .size:           8
        .value_kind:     hidden_global_offset_x
      - .offset:         120
        .size:           8
        .value_kind:     hidden_global_offset_y
      - .offset:         128
        .size:           8
        .value_kind:     hidden_global_offset_z
      - .offset:         136
        .size:           2
        .value_kind:     hidden_grid_dims
    .group_segment_fixed_size: 0
    .kernarg_segment_align: 8
    .kernarg_segment_size: 328
    .language:       OpenCL C
    .language_version:
      - 2
      - 0
    .max_flat_workgroup_size: 256
    .name:           _ZN9rocsparseL21csrmvt_general_kernelILj256ELj4EliddddEEvbbT2_NS_24const_host_device_scalarIT6_EEPKT1_S7_PKS1_PKT3_PKT4_PT5_21rocsparse_index_base_b
    .private_segment_fixed_size: 0
    .sgpr_count:     23
    .sgpr_spill_count: 0
    .symbol:         _ZN9rocsparseL21csrmvt_general_kernelILj256ELj4EliddddEEvbbT2_NS_24const_host_device_scalarIT6_EEPKT1_S7_PKS1_PKT3_PKT4_PT5_21rocsparse_index_base_b.kd
    .uniform_work_group_size: 1
    .uses_dynamic_stack: false
    .vgpr_count:     22
    .vgpr_spill_count: 0
    .wavefront_size: 32
  - .args:
      - .offset:         0
        .size:           1
        .value_kind:     by_value
      - .offset:         1
        .size:           1
        .value_kind:     by_value
      - .offset:         4
        .size:           4
        .value_kind:     by_value
      - .offset:         8
        .size:           8
        .value_kind:     by_value
      - .address_space:  global
        .offset:         16
        .size:           8
        .value_kind:     global_buffer
      - .address_space:  global
        .offset:         24
        .size:           8
        .value_kind:     global_buffer
      - .actual_access:  read_only
        .address_space:  global
        .offset:         32
        .size:           8
        .value_kind:     global_buffer
      - .actual_access:  read_only
        .address_space:  global
        .offset:         40
        .size:           8
        .value_kind:     global_buffer
      - .actual_access:  read_only
        .address_space:  global
        .offset:         48
        .size:           8
        .value_kind:     global_buffer
      - .address_space:  global
        .offset:         56
        .size:           8
        .value_kind:     global_buffer
      - .offset:         64
        .size:           4
        .value_kind:     by_value
      - .offset:         68
        .size:           1
        .value_kind:     by_value
      - .offset:         72
        .size:           4
        .value_kind:     hidden_block_count_x
      - .offset:         76
        .size:           4
        .value_kind:     hidden_block_count_y
      - .offset:         80
        .size:           4
        .value_kind:     hidden_block_count_z
      - .offset:         84
        .size:           2
        .value_kind:     hidden_group_size_x
      - .offset:         86
        .size:           2
        .value_kind:     hidden_group_size_y
      - .offset:         88
        .size:           2
        .value_kind:     hidden_group_size_z
      - .offset:         90
        .size:           2
        .value_kind:     hidden_remainder_x
      - .offset:         92
        .size:           2
        .value_kind:     hidden_remainder_y
      - .offset:         94
        .size:           2
        .value_kind:     hidden_remainder_z
      - .offset:         112
        .size:           8
        .value_kind:     hidden_global_offset_x
      - .offset:         120
        .size:           8
        .value_kind:     hidden_global_offset_y
      - .offset:         128
        .size:           8
        .value_kind:     hidden_global_offset_z
      - .offset:         136
        .size:           2
        .value_kind:     hidden_grid_dims
    .group_segment_fixed_size: 0
    .kernarg_segment_align: 8
    .kernarg_segment_size: 328
    .language:       OpenCL C
    .language_version:
      - 2
      - 0
    .max_flat_workgroup_size: 256
    .name:           _ZN9rocsparseL21csrmvt_general_kernelILj256ELj8EliddddEEvbbT2_NS_24const_host_device_scalarIT6_EEPKT1_S7_PKS1_PKT3_PKT4_PT5_21rocsparse_index_base_b
    .private_segment_fixed_size: 0
    .sgpr_count:     23
    .sgpr_spill_count: 0
    .symbol:         _ZN9rocsparseL21csrmvt_general_kernelILj256ELj8EliddddEEvbbT2_NS_24const_host_device_scalarIT6_EEPKT1_S7_PKS1_PKT3_PKT4_PT5_21rocsparse_index_base_b.kd
    .uniform_work_group_size: 1
    .uses_dynamic_stack: false
    .vgpr_count:     22
    .vgpr_spill_count: 0
    .wavefront_size: 32
  - .args:
      - .offset:         0
        .size:           1
        .value_kind:     by_value
      - .offset:         1
        .size:           1
        .value_kind:     by_value
      - .offset:         4
        .size:           4
        .value_kind:     by_value
      - .offset:         8
        .size:           8
        .value_kind:     by_value
      - .address_space:  global
        .offset:         16
        .size:           8
        .value_kind:     global_buffer
      - .address_space:  global
        .offset:         24
        .size:           8
        .value_kind:     global_buffer
      - .actual_access:  read_only
        .address_space:  global
        .offset:         32
        .size:           8
        .value_kind:     global_buffer
      - .actual_access:  read_only
        .address_space:  global
        .offset:         40
        .size:           8
        .value_kind:     global_buffer
      - .actual_access:  read_only
        .address_space:  global
        .offset:         48
        .size:           8
        .value_kind:     global_buffer
      - .address_space:  global
        .offset:         56
        .size:           8
        .value_kind:     global_buffer
      - .offset:         64
        .size:           4
        .value_kind:     by_value
      - .offset:         68
        .size:           1
        .value_kind:     by_value
      - .offset:         72
        .size:           4
        .value_kind:     hidden_block_count_x
      - .offset:         76
        .size:           4
        .value_kind:     hidden_block_count_y
      - .offset:         80
        .size:           4
        .value_kind:     hidden_block_count_z
      - .offset:         84
        .size:           2
        .value_kind:     hidden_group_size_x
      - .offset:         86
        .size:           2
        .value_kind:     hidden_group_size_y
      - .offset:         88
        .size:           2
        .value_kind:     hidden_group_size_z
      - .offset:         90
        .size:           2
        .value_kind:     hidden_remainder_x
      - .offset:         92
        .size:           2
        .value_kind:     hidden_remainder_y
      - .offset:         94
        .size:           2
        .value_kind:     hidden_remainder_z
      - .offset:         112
        .size:           8
        .value_kind:     hidden_global_offset_x
      - .offset:         120
        .size:           8
        .value_kind:     hidden_global_offset_y
      - .offset:         128
        .size:           8
        .value_kind:     hidden_global_offset_z
      - .offset:         136
        .size:           2
        .value_kind:     hidden_grid_dims
    .group_segment_fixed_size: 0
    .kernarg_segment_align: 8
    .kernarg_segment_size: 328
    .language:       OpenCL C
    .language_version:
      - 2
      - 0
    .max_flat_workgroup_size: 256
    .name:           _ZN9rocsparseL21csrmvt_general_kernelILj256ELj16EliddddEEvbbT2_NS_24const_host_device_scalarIT6_EEPKT1_S7_PKS1_PKT3_PKT4_PT5_21rocsparse_index_base_b
    .private_segment_fixed_size: 0
    .sgpr_count:     23
    .sgpr_spill_count: 0
    .symbol:         _ZN9rocsparseL21csrmvt_general_kernelILj256ELj16EliddddEEvbbT2_NS_24const_host_device_scalarIT6_EEPKT1_S7_PKS1_PKT3_PKT4_PT5_21rocsparse_index_base_b.kd
    .uniform_work_group_size: 1
    .uses_dynamic_stack: false
    .vgpr_count:     22
    .vgpr_spill_count: 0
    .wavefront_size: 32
  - .args:
      - .offset:         0
        .size:           1
        .value_kind:     by_value
      - .offset:         1
        .size:           1
        .value_kind:     by_value
      - .offset:         4
        .size:           4
        .value_kind:     by_value
      - .offset:         8
        .size:           8
        .value_kind:     by_value
      - .address_space:  global
        .offset:         16
        .size:           8
        .value_kind:     global_buffer
      - .address_space:  global
        .offset:         24
        .size:           8
        .value_kind:     global_buffer
      - .actual_access:  read_only
        .address_space:  global
        .offset:         32
        .size:           8
        .value_kind:     global_buffer
      - .actual_access:  read_only
        .address_space:  global
        .offset:         40
        .size:           8
        .value_kind:     global_buffer
      - .actual_access:  read_only
        .address_space:  global
        .offset:         48
        .size:           8
        .value_kind:     global_buffer
      - .address_space:  global
        .offset:         56
        .size:           8
        .value_kind:     global_buffer
      - .offset:         64
        .size:           4
        .value_kind:     by_value
      - .offset:         68
        .size:           1
        .value_kind:     by_value
      - .offset:         72
        .size:           4
        .value_kind:     hidden_block_count_x
      - .offset:         76
        .size:           4
        .value_kind:     hidden_block_count_y
      - .offset:         80
        .size:           4
        .value_kind:     hidden_block_count_z
      - .offset:         84
        .size:           2
        .value_kind:     hidden_group_size_x
      - .offset:         86
        .size:           2
        .value_kind:     hidden_group_size_y
      - .offset:         88
        .size:           2
        .value_kind:     hidden_group_size_z
      - .offset:         90
        .size:           2
        .value_kind:     hidden_remainder_x
      - .offset:         92
        .size:           2
        .value_kind:     hidden_remainder_y
      - .offset:         94
        .size:           2
        .value_kind:     hidden_remainder_z
      - .offset:         112
        .size:           8
        .value_kind:     hidden_global_offset_x
      - .offset:         120
        .size:           8
        .value_kind:     hidden_global_offset_y
      - .offset:         128
        .size:           8
        .value_kind:     hidden_global_offset_z
      - .offset:         136
        .size:           2
        .value_kind:     hidden_grid_dims
    .group_segment_fixed_size: 0
    .kernarg_segment_align: 8
    .kernarg_segment_size: 328
    .language:       OpenCL C
    .language_version:
      - 2
      - 0
    .max_flat_workgroup_size: 256
    .name:           _ZN9rocsparseL21csrmvt_general_kernelILj256ELj32EliddddEEvbbT2_NS_24const_host_device_scalarIT6_EEPKT1_S7_PKS1_PKT3_PKT4_PT5_21rocsparse_index_base_b
    .private_segment_fixed_size: 0
    .sgpr_count:     23
    .sgpr_spill_count: 0
    .symbol:         _ZN9rocsparseL21csrmvt_general_kernelILj256ELj32EliddddEEvbbT2_NS_24const_host_device_scalarIT6_EEPKT1_S7_PKS1_PKT3_PKT4_PT5_21rocsparse_index_base_b.kd
    .uniform_work_group_size: 1
    .uses_dynamic_stack: false
    .vgpr_count:     22
    .vgpr_spill_count: 0
    .wavefront_size: 32
  - .args:
      - .offset:         0
        .size:           1
        .value_kind:     by_value
      - .offset:         1
        .size:           1
        .value_kind:     by_value
      - .offset:         4
        .size:           4
        .value_kind:     by_value
      - .offset:         8
        .size:           8
        .value_kind:     by_value
      - .address_space:  global
        .offset:         16
        .size:           8
        .value_kind:     global_buffer
      - .address_space:  global
        .offset:         24
        .size:           8
        .value_kind:     global_buffer
      - .actual_access:  read_only
        .address_space:  global
        .offset:         32
        .size:           8
        .value_kind:     global_buffer
      - .actual_access:  read_only
        .address_space:  global
        .offset:         40
        .size:           8
        .value_kind:     global_buffer
      - .actual_access:  read_only
        .address_space:  global
        .offset:         48
        .size:           8
        .value_kind:     global_buffer
      - .address_space:  global
        .offset:         56
        .size:           8
        .value_kind:     global_buffer
      - .offset:         64
        .size:           4
        .value_kind:     by_value
      - .offset:         68
        .size:           1
        .value_kind:     by_value
      - .offset:         72
        .size:           4
        .value_kind:     hidden_block_count_x
      - .offset:         76
        .size:           4
        .value_kind:     hidden_block_count_y
      - .offset:         80
        .size:           4
        .value_kind:     hidden_block_count_z
      - .offset:         84
        .size:           2
        .value_kind:     hidden_group_size_x
      - .offset:         86
        .size:           2
        .value_kind:     hidden_group_size_y
      - .offset:         88
        .size:           2
        .value_kind:     hidden_group_size_z
      - .offset:         90
        .size:           2
        .value_kind:     hidden_remainder_x
      - .offset:         92
        .size:           2
        .value_kind:     hidden_remainder_y
      - .offset:         94
        .size:           2
        .value_kind:     hidden_remainder_z
      - .offset:         112
        .size:           8
        .value_kind:     hidden_global_offset_x
      - .offset:         120
        .size:           8
        .value_kind:     hidden_global_offset_y
      - .offset:         128
        .size:           8
        .value_kind:     hidden_global_offset_z
      - .offset:         136
        .size:           2
        .value_kind:     hidden_grid_dims
    .group_segment_fixed_size: 0
    .kernarg_segment_align: 8
    .kernarg_segment_size: 328
    .language:       OpenCL C
    .language_version:
      - 2
      - 0
    .max_flat_workgroup_size: 256
    .name:           _ZN9rocsparseL21csrmvt_general_kernelILj256ELj64EliddddEEvbbT2_NS_24const_host_device_scalarIT6_EEPKT1_S7_PKS1_PKT3_PKT4_PT5_21rocsparse_index_base_b
    .private_segment_fixed_size: 0
    .sgpr_count:     23
    .sgpr_spill_count: 0
    .symbol:         _ZN9rocsparseL21csrmvt_general_kernelILj256ELj64EliddddEEvbbT2_NS_24const_host_device_scalarIT6_EEPKT1_S7_PKS1_PKT3_PKT4_PT5_21rocsparse_index_base_b.kd
    .uniform_work_group_size: 1
    .uses_dynamic_stack: false
    .vgpr_count:     22
    .vgpr_spill_count: 0
    .wavefront_size: 32
  - .args:
      - .offset:         0
        .size:           1
        .value_kind:     by_value
      - .offset:         8
        .size:           8
        .value_kind:     by_value
      - .offset:         16
        .size:           8
        .value_kind:     by_value
      - .address_space:  global
        .offset:         24
        .size:           8
        .value_kind:     global_buffer
      - .address_space:  global
        .offset:         32
        .size:           8
        .value_kind:     global_buffer
      - .actual_access:  read_only
        .address_space:  global
        .offset:         40
        .size:           8
        .value_kind:     global_buffer
      - .actual_access:  read_only
        .address_space:  global
        .offset:         48
        .size:           8
        .value_kind:     global_buffer
      - .actual_access:  read_only
        .address_space:  global
        .offset:         56
        .size:           8
        .value_kind:     global_buffer
      - .offset:         64
        .size:           8
        .value_kind:     by_value
      - .address_space:  global
        .offset:         72
        .size:           8
        .value_kind:     global_buffer
      - .offset:         80
        .size:           4
        .value_kind:     by_value
      - .offset:         84
        .size:           1
        .value_kind:     by_value
      - .offset:         88
        .size:           4
        .value_kind:     hidden_block_count_x
      - .offset:         92
        .size:           4
        .value_kind:     hidden_block_count_y
      - .offset:         96
        .size:           4
        .value_kind:     hidden_block_count_z
      - .offset:         100
        .size:           2
        .value_kind:     hidden_group_size_x
      - .offset:         102
        .size:           2
        .value_kind:     hidden_group_size_y
      - .offset:         104
        .size:           2
        .value_kind:     hidden_group_size_z
      - .offset:         106
        .size:           2
        .value_kind:     hidden_remainder_x
      - .offset:         108
        .size:           2
        .value_kind:     hidden_remainder_y
      - .offset:         110
        .size:           2
        .value_kind:     hidden_remainder_z
      - .offset:         128
        .size:           8
        .value_kind:     hidden_global_offset_x
      - .offset:         136
        .size:           8
        .value_kind:     hidden_global_offset_y
      - .offset:         144
        .size:           8
        .value_kind:     hidden_global_offset_z
      - .offset:         152
        .size:           2
        .value_kind:     hidden_grid_dims
    .group_segment_fixed_size: 0
    .kernarg_segment_align: 8
    .kernarg_segment_size: 344
    .language:       OpenCL C
    .language_version:
      - 2
      - 0
    .max_flat_workgroup_size: 256
    .name:           _ZN9rocsparseL21csrmvn_general_kernelILj256ELj2EllddddEEvbT2_NS_24const_host_device_scalarIT6_EEPKT1_S7_PKS1_PKT3_PKT4_S4_PT5_21rocsparse_index_base_b
    .private_segment_fixed_size: 0
    .sgpr_count:     25
    .sgpr_spill_count: 0
    .symbol:         _ZN9rocsparseL21csrmvn_general_kernelILj256ELj2EllddddEEvbT2_NS_24const_host_device_scalarIT6_EEPKT1_S7_PKS1_PKT3_PKT4_S4_PT5_21rocsparse_index_base_b.kd
    .uniform_work_group_size: 1
    .uses_dynamic_stack: false
    .vgpr_count:     24
    .vgpr_spill_count: 0
    .wavefront_size: 32
  - .args:
      - .offset:         0
        .size:           1
        .value_kind:     by_value
      - .offset:         8
        .size:           8
        .value_kind:     by_value
      - .offset:         16
        .size:           8
        .value_kind:     by_value
      - .address_space:  global
        .offset:         24
        .size:           8
        .value_kind:     global_buffer
      - .address_space:  global
        .offset:         32
        .size:           8
        .value_kind:     global_buffer
      - .actual_access:  read_only
        .address_space:  global
        .offset:         40
        .size:           8
        .value_kind:     global_buffer
      - .actual_access:  read_only
        .address_space:  global
        .offset:         48
        .size:           8
        .value_kind:     global_buffer
      - .actual_access:  read_only
        .address_space:  global
        .offset:         56
        .size:           8
        .value_kind:     global_buffer
      - .offset:         64
        .size:           8
        .value_kind:     by_value
      - .address_space:  global
        .offset:         72
        .size:           8
        .value_kind:     global_buffer
      - .offset:         80
        .size:           4
        .value_kind:     by_value
      - .offset:         84
        .size:           1
        .value_kind:     by_value
      - .offset:         88
        .size:           4
        .value_kind:     hidden_block_count_x
      - .offset:         92
        .size:           4
        .value_kind:     hidden_block_count_y
      - .offset:         96
        .size:           4
        .value_kind:     hidden_block_count_z
      - .offset:         100
        .size:           2
        .value_kind:     hidden_group_size_x
      - .offset:         102
        .size:           2
        .value_kind:     hidden_group_size_y
      - .offset:         104
        .size:           2
        .value_kind:     hidden_group_size_z
      - .offset:         106
        .size:           2
        .value_kind:     hidden_remainder_x
      - .offset:         108
        .size:           2
        .value_kind:     hidden_remainder_y
      - .offset:         110
        .size:           2
        .value_kind:     hidden_remainder_z
      - .offset:         128
        .size:           8
        .value_kind:     hidden_global_offset_x
      - .offset:         136
        .size:           8
        .value_kind:     hidden_global_offset_y
      - .offset:         144
        .size:           8
        .value_kind:     hidden_global_offset_z
      - .offset:         152
        .size:           2
        .value_kind:     hidden_grid_dims
    .group_segment_fixed_size: 0
    .kernarg_segment_align: 8
    .kernarg_segment_size: 344
    .language:       OpenCL C
    .language_version:
      - 2
      - 0
    .max_flat_workgroup_size: 256
    .name:           _ZN9rocsparseL21csrmvn_general_kernelILj256ELj4EllddddEEvbT2_NS_24const_host_device_scalarIT6_EEPKT1_S7_PKS1_PKT3_PKT4_S4_PT5_21rocsparse_index_base_b
    .private_segment_fixed_size: 0
    .sgpr_count:     25
    .sgpr_spill_count: 0
    .symbol:         _ZN9rocsparseL21csrmvn_general_kernelILj256ELj4EllddddEEvbT2_NS_24const_host_device_scalarIT6_EEPKT1_S7_PKS1_PKT3_PKT4_S4_PT5_21rocsparse_index_base_b.kd
    .uniform_work_group_size: 1
    .uses_dynamic_stack: false
    .vgpr_count:     24
    .vgpr_spill_count: 0
    .wavefront_size: 32
  - .args:
      - .offset:         0
        .size:           1
        .value_kind:     by_value
      - .offset:         8
        .size:           8
        .value_kind:     by_value
      - .offset:         16
        .size:           8
        .value_kind:     by_value
      - .address_space:  global
        .offset:         24
        .size:           8
        .value_kind:     global_buffer
      - .address_space:  global
        .offset:         32
        .size:           8
        .value_kind:     global_buffer
      - .actual_access:  read_only
        .address_space:  global
        .offset:         40
        .size:           8
        .value_kind:     global_buffer
      - .actual_access:  read_only
        .address_space:  global
        .offset:         48
        .size:           8
        .value_kind:     global_buffer
      - .actual_access:  read_only
        .address_space:  global
        .offset:         56
        .size:           8
        .value_kind:     global_buffer
      - .offset:         64
        .size:           8
        .value_kind:     by_value
      - .address_space:  global
        .offset:         72
        .size:           8
        .value_kind:     global_buffer
      - .offset:         80
        .size:           4
        .value_kind:     by_value
      - .offset:         84
        .size:           1
        .value_kind:     by_value
      - .offset:         88
        .size:           4
        .value_kind:     hidden_block_count_x
      - .offset:         92
        .size:           4
        .value_kind:     hidden_block_count_y
      - .offset:         96
        .size:           4
        .value_kind:     hidden_block_count_z
      - .offset:         100
        .size:           2
        .value_kind:     hidden_group_size_x
      - .offset:         102
        .size:           2
        .value_kind:     hidden_group_size_y
      - .offset:         104
        .size:           2
        .value_kind:     hidden_group_size_z
      - .offset:         106
        .size:           2
        .value_kind:     hidden_remainder_x
      - .offset:         108
        .size:           2
        .value_kind:     hidden_remainder_y
      - .offset:         110
        .size:           2
        .value_kind:     hidden_remainder_z
      - .offset:         128
        .size:           8
        .value_kind:     hidden_global_offset_x
      - .offset:         136
        .size:           8
        .value_kind:     hidden_global_offset_y
      - .offset:         144
        .size:           8
        .value_kind:     hidden_global_offset_z
      - .offset:         152
        .size:           2
        .value_kind:     hidden_grid_dims
    .group_segment_fixed_size: 0
    .kernarg_segment_align: 8
    .kernarg_segment_size: 344
    .language:       OpenCL C
    .language_version:
      - 2
      - 0
    .max_flat_workgroup_size: 256
    .name:           _ZN9rocsparseL21csrmvn_general_kernelILj256ELj8EllddddEEvbT2_NS_24const_host_device_scalarIT6_EEPKT1_S7_PKS1_PKT3_PKT4_S4_PT5_21rocsparse_index_base_b
    .private_segment_fixed_size: 0
    .sgpr_count:     25
    .sgpr_spill_count: 0
    .symbol:         _ZN9rocsparseL21csrmvn_general_kernelILj256ELj8EllddddEEvbT2_NS_24const_host_device_scalarIT6_EEPKT1_S7_PKS1_PKT3_PKT4_S4_PT5_21rocsparse_index_base_b.kd
    .uniform_work_group_size: 1
    .uses_dynamic_stack: false
    .vgpr_count:     26
    .vgpr_spill_count: 0
    .wavefront_size: 32
  - .args:
      - .offset:         0
        .size:           1
        .value_kind:     by_value
      - .offset:         8
        .size:           8
        .value_kind:     by_value
      - .offset:         16
        .size:           8
        .value_kind:     by_value
      - .address_space:  global
        .offset:         24
        .size:           8
        .value_kind:     global_buffer
      - .address_space:  global
        .offset:         32
        .size:           8
        .value_kind:     global_buffer
      - .actual_access:  read_only
        .address_space:  global
        .offset:         40
        .size:           8
        .value_kind:     global_buffer
      - .actual_access:  read_only
        .address_space:  global
        .offset:         48
        .size:           8
        .value_kind:     global_buffer
      - .actual_access:  read_only
        .address_space:  global
        .offset:         56
        .size:           8
        .value_kind:     global_buffer
      - .offset:         64
        .size:           8
        .value_kind:     by_value
      - .address_space:  global
        .offset:         72
        .size:           8
        .value_kind:     global_buffer
      - .offset:         80
        .size:           4
        .value_kind:     by_value
      - .offset:         84
        .size:           1
        .value_kind:     by_value
      - .offset:         88
        .size:           4
        .value_kind:     hidden_block_count_x
      - .offset:         92
        .size:           4
        .value_kind:     hidden_block_count_y
      - .offset:         96
        .size:           4
        .value_kind:     hidden_block_count_z
      - .offset:         100
        .size:           2
        .value_kind:     hidden_group_size_x
      - .offset:         102
        .size:           2
        .value_kind:     hidden_group_size_y
      - .offset:         104
        .size:           2
        .value_kind:     hidden_group_size_z
      - .offset:         106
        .size:           2
        .value_kind:     hidden_remainder_x
      - .offset:         108
        .size:           2
        .value_kind:     hidden_remainder_y
      - .offset:         110
        .size:           2
        .value_kind:     hidden_remainder_z
      - .offset:         128
        .size:           8
        .value_kind:     hidden_global_offset_x
      - .offset:         136
        .size:           8
        .value_kind:     hidden_global_offset_y
      - .offset:         144
        .size:           8
        .value_kind:     hidden_global_offset_z
      - .offset:         152
        .size:           2
        .value_kind:     hidden_grid_dims
    .group_segment_fixed_size: 0
    .kernarg_segment_align: 8
    .kernarg_segment_size: 344
    .language:       OpenCL C
    .language_version:
      - 2
      - 0
    .max_flat_workgroup_size: 256
    .name:           _ZN9rocsparseL21csrmvn_general_kernelILj256ELj16EllddddEEvbT2_NS_24const_host_device_scalarIT6_EEPKT1_S7_PKS1_PKT3_PKT4_S4_PT5_21rocsparse_index_base_b
    .private_segment_fixed_size: 0
    .sgpr_count:     25
    .sgpr_spill_count: 0
    .symbol:         _ZN9rocsparseL21csrmvn_general_kernelILj256ELj16EllddddEEvbT2_NS_24const_host_device_scalarIT6_EEPKT1_S7_PKS1_PKT3_PKT4_S4_PT5_21rocsparse_index_base_b.kd
    .uniform_work_group_size: 1
    .uses_dynamic_stack: false
    .vgpr_count:     26
    .vgpr_spill_count: 0
    .wavefront_size: 32
  - .args:
      - .offset:         0
        .size:           1
        .value_kind:     by_value
      - .offset:         8
        .size:           8
        .value_kind:     by_value
      - .offset:         16
        .size:           8
        .value_kind:     by_value
      - .address_space:  global
        .offset:         24
        .size:           8
        .value_kind:     global_buffer
      - .address_space:  global
        .offset:         32
        .size:           8
        .value_kind:     global_buffer
      - .actual_access:  read_only
        .address_space:  global
        .offset:         40
        .size:           8
        .value_kind:     global_buffer
      - .actual_access:  read_only
        .address_space:  global
        .offset:         48
        .size:           8
        .value_kind:     global_buffer
      - .actual_access:  read_only
        .address_space:  global
        .offset:         56
        .size:           8
        .value_kind:     global_buffer
      - .offset:         64
        .size:           8
        .value_kind:     by_value
      - .address_space:  global
        .offset:         72
        .size:           8
        .value_kind:     global_buffer
      - .offset:         80
        .size:           4
        .value_kind:     by_value
      - .offset:         84
        .size:           1
        .value_kind:     by_value
      - .offset:         88
        .size:           4
        .value_kind:     hidden_block_count_x
      - .offset:         92
        .size:           4
        .value_kind:     hidden_block_count_y
      - .offset:         96
        .size:           4
        .value_kind:     hidden_block_count_z
      - .offset:         100
        .size:           2
        .value_kind:     hidden_group_size_x
      - .offset:         102
        .size:           2
        .value_kind:     hidden_group_size_y
      - .offset:         104
        .size:           2
        .value_kind:     hidden_group_size_z
      - .offset:         106
        .size:           2
        .value_kind:     hidden_remainder_x
      - .offset:         108
        .size:           2
        .value_kind:     hidden_remainder_y
      - .offset:         110
        .size:           2
        .value_kind:     hidden_remainder_z
      - .offset:         128
        .size:           8
        .value_kind:     hidden_global_offset_x
      - .offset:         136
        .size:           8
        .value_kind:     hidden_global_offset_y
      - .offset:         144
        .size:           8
        .value_kind:     hidden_global_offset_z
      - .offset:         152
        .size:           2
        .value_kind:     hidden_grid_dims
    .group_segment_fixed_size: 0
    .kernarg_segment_align: 8
    .kernarg_segment_size: 344
    .language:       OpenCL C
    .language_version:
      - 2
      - 0
    .max_flat_workgroup_size: 256
    .name:           _ZN9rocsparseL21csrmvn_general_kernelILj256ELj32EllddddEEvbT2_NS_24const_host_device_scalarIT6_EEPKT1_S7_PKS1_PKT3_PKT4_S4_PT5_21rocsparse_index_base_b
    .private_segment_fixed_size: 0
    .sgpr_count:     25
    .sgpr_spill_count: 0
    .symbol:         _ZN9rocsparseL21csrmvn_general_kernelILj256ELj32EllddddEEvbT2_NS_24const_host_device_scalarIT6_EEPKT1_S7_PKS1_PKT3_PKT4_S4_PT5_21rocsparse_index_base_b.kd
    .uniform_work_group_size: 1
    .uses_dynamic_stack: false
    .vgpr_count:     28
    .vgpr_spill_count: 0
    .wavefront_size: 32
  - .args:
      - .offset:         0
        .size:           1
        .value_kind:     by_value
      - .offset:         8
        .size:           8
        .value_kind:     by_value
      - .offset:         16
        .size:           8
        .value_kind:     by_value
      - .address_space:  global
        .offset:         24
        .size:           8
        .value_kind:     global_buffer
      - .address_space:  global
        .offset:         32
        .size:           8
        .value_kind:     global_buffer
      - .actual_access:  read_only
        .address_space:  global
        .offset:         40
        .size:           8
        .value_kind:     global_buffer
      - .actual_access:  read_only
        .address_space:  global
        .offset:         48
        .size:           8
        .value_kind:     global_buffer
      - .actual_access:  read_only
        .address_space:  global
        .offset:         56
        .size:           8
        .value_kind:     global_buffer
      - .offset:         64
        .size:           8
        .value_kind:     by_value
      - .address_space:  global
        .offset:         72
        .size:           8
        .value_kind:     global_buffer
      - .offset:         80
        .size:           4
        .value_kind:     by_value
      - .offset:         84
        .size:           1
        .value_kind:     by_value
      - .offset:         88
        .size:           4
        .value_kind:     hidden_block_count_x
      - .offset:         92
        .size:           4
        .value_kind:     hidden_block_count_y
      - .offset:         96
        .size:           4
        .value_kind:     hidden_block_count_z
      - .offset:         100
        .size:           2
        .value_kind:     hidden_group_size_x
      - .offset:         102
        .size:           2
        .value_kind:     hidden_group_size_y
      - .offset:         104
        .size:           2
        .value_kind:     hidden_group_size_z
      - .offset:         106
        .size:           2
        .value_kind:     hidden_remainder_x
      - .offset:         108
        .size:           2
        .value_kind:     hidden_remainder_y
      - .offset:         110
        .size:           2
        .value_kind:     hidden_remainder_z
      - .offset:         128
        .size:           8
        .value_kind:     hidden_global_offset_x
      - .offset:         136
        .size:           8
        .value_kind:     hidden_global_offset_y
      - .offset:         144
        .size:           8
        .value_kind:     hidden_global_offset_z
      - .offset:         152
        .size:           2
        .value_kind:     hidden_grid_dims
    .group_segment_fixed_size: 0
    .kernarg_segment_align: 8
    .kernarg_segment_size: 344
    .language:       OpenCL C
    .language_version:
      - 2
      - 0
    .max_flat_workgroup_size: 256
    .name:           _ZN9rocsparseL21csrmvn_general_kernelILj256ELj64EllddddEEvbT2_NS_24const_host_device_scalarIT6_EEPKT1_S7_PKS1_PKT3_PKT4_S4_PT5_21rocsparse_index_base_b
    .private_segment_fixed_size: 0
    .sgpr_count:     25
    .sgpr_spill_count: 0
    .symbol:         _ZN9rocsparseL21csrmvn_general_kernelILj256ELj64EllddddEEvbT2_NS_24const_host_device_scalarIT6_EEPKT1_S7_PKS1_PKT3_PKT4_S4_PT5_21rocsparse_index_base_b.kd
    .uniform_work_group_size: 1
    .uses_dynamic_stack: false
    .vgpr_count:     28
    .vgpr_spill_count: 0
    .wavefront_size: 32
  - .args:
      - .offset:         0
        .size:           1
        .value_kind:     by_value
      - .offset:         1
        .size:           1
        .value_kind:     by_value
      - .offset:         8
        .size:           8
        .value_kind:     by_value
      - .offset:         16
        .size:           8
        .value_kind:     by_value
      - .address_space:  global
        .offset:         24
        .size:           8
        .value_kind:     global_buffer
      - .address_space:  global
        .offset:         32
        .size:           8
        .value_kind:     global_buffer
      - .actual_access:  read_only
        .address_space:  global
        .offset:         40
        .size:           8
        .value_kind:     global_buffer
      - .actual_access:  read_only
        .address_space:  global
        .offset:         48
        .size:           8
        .value_kind:     global_buffer
      - .actual_access:  read_only
        .address_space:  global
        .offset:         56
        .size:           8
        .value_kind:     global_buffer
      - .address_space:  global
        .offset:         64
        .size:           8
        .value_kind:     global_buffer
      - .offset:         72
        .size:           4
        .value_kind:     by_value
      - .offset:         76
        .size:           1
        .value_kind:     by_value
      - .offset:         80
        .size:           4
        .value_kind:     hidden_block_count_x
      - .offset:         84
        .size:           4
        .value_kind:     hidden_block_count_y
      - .offset:         88
        .size:           4
        .value_kind:     hidden_block_count_z
      - .offset:         92
        .size:           2
        .value_kind:     hidden_group_size_x
      - .offset:         94
        .size:           2
        .value_kind:     hidden_group_size_y
      - .offset:         96
        .size:           2
        .value_kind:     hidden_group_size_z
      - .offset:         98
        .size:           2
        .value_kind:     hidden_remainder_x
      - .offset:         100
        .size:           2
        .value_kind:     hidden_remainder_y
      - .offset:         102
        .size:           2
        .value_kind:     hidden_remainder_z
      - .offset:         120
        .size:           8
        .value_kind:     hidden_global_offset_x
      - .offset:         128
        .size:           8
        .value_kind:     hidden_global_offset_y
      - .offset:         136
        .size:           8
        .value_kind:     hidden_global_offset_z
      - .offset:         144
        .size:           2
        .value_kind:     hidden_grid_dims
    .group_segment_fixed_size: 0
    .kernarg_segment_align: 8
    .kernarg_segment_size: 336
    .language:       OpenCL C
    .language_version:
      - 2
      - 0
    .max_flat_workgroup_size: 256
    .name:           _ZN9rocsparseL21csrmvt_general_kernelILj256ELj4EllddddEEvbbT2_NS_24const_host_device_scalarIT6_EEPKT1_S7_PKS1_PKT3_PKT4_PT5_21rocsparse_index_base_b
    .private_segment_fixed_size: 0
    .sgpr_count:     25
    .sgpr_spill_count: 0
    .symbol:         _ZN9rocsparseL21csrmvt_general_kernelILj256ELj4EllddddEEvbbT2_NS_24const_host_device_scalarIT6_EEPKT1_S7_PKS1_PKT3_PKT4_PT5_21rocsparse_index_base_b.kd
    .uniform_work_group_size: 1
    .uses_dynamic_stack: false
    .vgpr_count:     24
    .vgpr_spill_count: 0
    .wavefront_size: 32
  - .args:
      - .offset:         0
        .size:           1
        .value_kind:     by_value
      - .offset:         1
        .size:           1
        .value_kind:     by_value
      - .offset:         8
        .size:           8
        .value_kind:     by_value
      - .offset:         16
        .size:           8
        .value_kind:     by_value
      - .address_space:  global
        .offset:         24
        .size:           8
        .value_kind:     global_buffer
      - .address_space:  global
        .offset:         32
        .size:           8
        .value_kind:     global_buffer
      - .actual_access:  read_only
        .address_space:  global
        .offset:         40
        .size:           8
        .value_kind:     global_buffer
      - .actual_access:  read_only
        .address_space:  global
        .offset:         48
        .size:           8
        .value_kind:     global_buffer
      - .actual_access:  read_only
        .address_space:  global
        .offset:         56
        .size:           8
        .value_kind:     global_buffer
      - .address_space:  global
        .offset:         64
        .size:           8
        .value_kind:     global_buffer
      - .offset:         72
        .size:           4
        .value_kind:     by_value
      - .offset:         76
        .size:           1
        .value_kind:     by_value
      - .offset:         80
        .size:           4
        .value_kind:     hidden_block_count_x
      - .offset:         84
        .size:           4
        .value_kind:     hidden_block_count_y
      - .offset:         88
        .size:           4
        .value_kind:     hidden_block_count_z
      - .offset:         92
        .size:           2
        .value_kind:     hidden_group_size_x
      - .offset:         94
        .size:           2
        .value_kind:     hidden_group_size_y
      - .offset:         96
        .size:           2
        .value_kind:     hidden_group_size_z
      - .offset:         98
        .size:           2
        .value_kind:     hidden_remainder_x
      - .offset:         100
        .size:           2
        .value_kind:     hidden_remainder_y
      - .offset:         102
        .size:           2
        .value_kind:     hidden_remainder_z
      - .offset:         120
        .size:           8
        .value_kind:     hidden_global_offset_x
      - .offset:         128
        .size:           8
        .value_kind:     hidden_global_offset_y
      - .offset:         136
        .size:           8
        .value_kind:     hidden_global_offset_z
      - .offset:         144
        .size:           2
        .value_kind:     hidden_grid_dims
    .group_segment_fixed_size: 0
    .kernarg_segment_align: 8
    .kernarg_segment_size: 336
    .language:       OpenCL C
    .language_version:
      - 2
      - 0
    .max_flat_workgroup_size: 256
    .name:           _ZN9rocsparseL21csrmvt_general_kernelILj256ELj8EllddddEEvbbT2_NS_24const_host_device_scalarIT6_EEPKT1_S7_PKS1_PKT3_PKT4_PT5_21rocsparse_index_base_b
    .private_segment_fixed_size: 0
    .sgpr_count:     25
    .sgpr_spill_count: 0
    .symbol:         _ZN9rocsparseL21csrmvt_general_kernelILj256ELj8EllddddEEvbbT2_NS_24const_host_device_scalarIT6_EEPKT1_S7_PKS1_PKT3_PKT4_PT5_21rocsparse_index_base_b.kd
    .uniform_work_group_size: 1
    .uses_dynamic_stack: false
    .vgpr_count:     24
    .vgpr_spill_count: 0
    .wavefront_size: 32
  - .args:
      - .offset:         0
        .size:           1
        .value_kind:     by_value
      - .offset:         1
        .size:           1
        .value_kind:     by_value
      - .offset:         8
        .size:           8
        .value_kind:     by_value
      - .offset:         16
        .size:           8
        .value_kind:     by_value
      - .address_space:  global
        .offset:         24
        .size:           8
        .value_kind:     global_buffer
      - .address_space:  global
        .offset:         32
        .size:           8
        .value_kind:     global_buffer
      - .actual_access:  read_only
        .address_space:  global
        .offset:         40
        .size:           8
        .value_kind:     global_buffer
      - .actual_access:  read_only
        .address_space:  global
        .offset:         48
        .size:           8
        .value_kind:     global_buffer
      - .actual_access:  read_only
        .address_space:  global
        .offset:         56
        .size:           8
        .value_kind:     global_buffer
      - .address_space:  global
        .offset:         64
        .size:           8
        .value_kind:     global_buffer
      - .offset:         72
        .size:           4
        .value_kind:     by_value
      - .offset:         76
        .size:           1
        .value_kind:     by_value
      - .offset:         80
        .size:           4
        .value_kind:     hidden_block_count_x
      - .offset:         84
        .size:           4
        .value_kind:     hidden_block_count_y
      - .offset:         88
        .size:           4
        .value_kind:     hidden_block_count_z
      - .offset:         92
        .size:           2
        .value_kind:     hidden_group_size_x
      - .offset:         94
        .size:           2
        .value_kind:     hidden_group_size_y
      - .offset:         96
        .size:           2
        .value_kind:     hidden_group_size_z
      - .offset:         98
        .size:           2
        .value_kind:     hidden_remainder_x
      - .offset:         100
        .size:           2
        .value_kind:     hidden_remainder_y
      - .offset:         102
        .size:           2
        .value_kind:     hidden_remainder_z
      - .offset:         120
        .size:           8
        .value_kind:     hidden_global_offset_x
      - .offset:         128
        .size:           8
        .value_kind:     hidden_global_offset_y
      - .offset:         136
        .size:           8
        .value_kind:     hidden_global_offset_z
      - .offset:         144
        .size:           2
        .value_kind:     hidden_grid_dims
    .group_segment_fixed_size: 0
    .kernarg_segment_align: 8
    .kernarg_segment_size: 336
    .language:       OpenCL C
    .language_version:
      - 2
      - 0
    .max_flat_workgroup_size: 256
    .name:           _ZN9rocsparseL21csrmvt_general_kernelILj256ELj16EllddddEEvbbT2_NS_24const_host_device_scalarIT6_EEPKT1_S7_PKS1_PKT3_PKT4_PT5_21rocsparse_index_base_b
    .private_segment_fixed_size: 0
    .sgpr_count:     25
    .sgpr_spill_count: 0
    .symbol:         _ZN9rocsparseL21csrmvt_general_kernelILj256ELj16EllddddEEvbbT2_NS_24const_host_device_scalarIT6_EEPKT1_S7_PKS1_PKT3_PKT4_PT5_21rocsparse_index_base_b.kd
    .uniform_work_group_size: 1
    .uses_dynamic_stack: false
    .vgpr_count:     24
    .vgpr_spill_count: 0
    .wavefront_size: 32
  - .args:
      - .offset:         0
        .size:           1
        .value_kind:     by_value
      - .offset:         1
        .size:           1
        .value_kind:     by_value
      - .offset:         8
        .size:           8
        .value_kind:     by_value
      - .offset:         16
        .size:           8
        .value_kind:     by_value
      - .address_space:  global
        .offset:         24
        .size:           8
        .value_kind:     global_buffer
      - .address_space:  global
        .offset:         32
        .size:           8
        .value_kind:     global_buffer
      - .actual_access:  read_only
        .address_space:  global
        .offset:         40
        .size:           8
        .value_kind:     global_buffer
      - .actual_access:  read_only
        .address_space:  global
        .offset:         48
        .size:           8
        .value_kind:     global_buffer
      - .actual_access:  read_only
        .address_space:  global
        .offset:         56
        .size:           8
        .value_kind:     global_buffer
      - .address_space:  global
        .offset:         64
        .size:           8
        .value_kind:     global_buffer
      - .offset:         72
        .size:           4
        .value_kind:     by_value
      - .offset:         76
        .size:           1
        .value_kind:     by_value
      - .offset:         80
        .size:           4
        .value_kind:     hidden_block_count_x
      - .offset:         84
        .size:           4
        .value_kind:     hidden_block_count_y
      - .offset:         88
        .size:           4
        .value_kind:     hidden_block_count_z
      - .offset:         92
        .size:           2
        .value_kind:     hidden_group_size_x
      - .offset:         94
        .size:           2
        .value_kind:     hidden_group_size_y
      - .offset:         96
        .size:           2
        .value_kind:     hidden_group_size_z
      - .offset:         98
        .size:           2
        .value_kind:     hidden_remainder_x
      - .offset:         100
        .size:           2
        .value_kind:     hidden_remainder_y
      - .offset:         102
        .size:           2
        .value_kind:     hidden_remainder_z
      - .offset:         120
        .size:           8
        .value_kind:     hidden_global_offset_x
      - .offset:         128
        .size:           8
        .value_kind:     hidden_global_offset_y
      - .offset:         136
        .size:           8
        .value_kind:     hidden_global_offset_z
      - .offset:         144
        .size:           2
        .value_kind:     hidden_grid_dims
    .group_segment_fixed_size: 0
    .kernarg_segment_align: 8
    .kernarg_segment_size: 336
    .language:       OpenCL C
    .language_version:
      - 2
      - 0
    .max_flat_workgroup_size: 256
    .name:           _ZN9rocsparseL21csrmvt_general_kernelILj256ELj32EllddddEEvbbT2_NS_24const_host_device_scalarIT6_EEPKT1_S7_PKS1_PKT3_PKT4_PT5_21rocsparse_index_base_b
    .private_segment_fixed_size: 0
    .sgpr_count:     25
    .sgpr_spill_count: 0
    .symbol:         _ZN9rocsparseL21csrmvt_general_kernelILj256ELj32EllddddEEvbbT2_NS_24const_host_device_scalarIT6_EEPKT1_S7_PKS1_PKT3_PKT4_PT5_21rocsparse_index_base_b.kd
    .uniform_work_group_size: 1
    .uses_dynamic_stack: false
    .vgpr_count:     24
    .vgpr_spill_count: 0
    .wavefront_size: 32
  - .args:
      - .offset:         0
        .size:           1
        .value_kind:     by_value
      - .offset:         1
        .size:           1
        .value_kind:     by_value
      - .offset:         8
        .size:           8
        .value_kind:     by_value
      - .offset:         16
        .size:           8
        .value_kind:     by_value
      - .address_space:  global
        .offset:         24
        .size:           8
        .value_kind:     global_buffer
      - .address_space:  global
        .offset:         32
        .size:           8
        .value_kind:     global_buffer
      - .actual_access:  read_only
        .address_space:  global
        .offset:         40
        .size:           8
        .value_kind:     global_buffer
      - .actual_access:  read_only
        .address_space:  global
        .offset:         48
        .size:           8
        .value_kind:     global_buffer
      - .actual_access:  read_only
        .address_space:  global
        .offset:         56
        .size:           8
        .value_kind:     global_buffer
      - .address_space:  global
        .offset:         64
        .size:           8
        .value_kind:     global_buffer
      - .offset:         72
        .size:           4
        .value_kind:     by_value
      - .offset:         76
        .size:           1
        .value_kind:     by_value
      - .offset:         80
        .size:           4
        .value_kind:     hidden_block_count_x
      - .offset:         84
        .size:           4
        .value_kind:     hidden_block_count_y
      - .offset:         88
        .size:           4
        .value_kind:     hidden_block_count_z
      - .offset:         92
        .size:           2
        .value_kind:     hidden_group_size_x
      - .offset:         94
        .size:           2
        .value_kind:     hidden_group_size_y
      - .offset:         96
        .size:           2
        .value_kind:     hidden_group_size_z
      - .offset:         98
        .size:           2
        .value_kind:     hidden_remainder_x
      - .offset:         100
        .size:           2
        .value_kind:     hidden_remainder_y
      - .offset:         102
        .size:           2
        .value_kind:     hidden_remainder_z
      - .offset:         120
        .size:           8
        .value_kind:     hidden_global_offset_x
      - .offset:         128
        .size:           8
        .value_kind:     hidden_global_offset_y
      - .offset:         136
        .size:           8
        .value_kind:     hidden_global_offset_z
      - .offset:         144
        .size:           2
        .value_kind:     hidden_grid_dims
    .group_segment_fixed_size: 0
    .kernarg_segment_align: 8
    .kernarg_segment_size: 336
    .language:       OpenCL C
    .language_version:
      - 2
      - 0
    .max_flat_workgroup_size: 256
    .name:           _ZN9rocsparseL21csrmvt_general_kernelILj256ELj64EllddddEEvbbT2_NS_24const_host_device_scalarIT6_EEPKT1_S7_PKS1_PKT3_PKT4_PT5_21rocsparse_index_base_b
    .private_segment_fixed_size: 0
    .sgpr_count:     25
    .sgpr_spill_count: 0
    .symbol:         _ZN9rocsparseL21csrmvt_general_kernelILj256ELj64EllddddEEvbbT2_NS_24const_host_device_scalarIT6_EEPKT1_S7_PKS1_PKT3_PKT4_PT5_21rocsparse_index_base_b.kd
    .uniform_work_group_size: 1
    .uses_dynamic_stack: false
    .vgpr_count:     24
    .vgpr_spill_count: 0
    .wavefront_size: 32
  - .args:
      - .offset:         0
        .size:           1
        .value_kind:     by_value
      - .offset:         4
        .size:           4
        .value_kind:     by_value
      - .offset:         8
        .size:           8
        .value_kind:     by_value
      - .address_space:  global
        .offset:         16
        .size:           8
        .value_kind:     global_buffer
      - .address_space:  global
        .offset:         24
        .size:           8
        .value_kind:     global_buffer
      - .actual_access:  read_only
        .address_space:  global
        .offset:         32
        .size:           8
        .value_kind:     global_buffer
      - .actual_access:  read_only
        .address_space:  global
        .offset:         40
        .size:           8
        .value_kind:     global_buffer
      - .actual_access:  read_only
        .address_space:  global
        .offset:         48
        .size:           8
        .value_kind:     global_buffer
      - .offset:         56
        .size:           8
        .value_kind:     by_value
      - .address_space:  global
        .offset:         64
        .size:           8
        .value_kind:     global_buffer
      - .offset:         72
        .size:           4
        .value_kind:     by_value
      - .offset:         76
        .size:           1
        .value_kind:     by_value
      - .offset:         80
        .size:           4
        .value_kind:     hidden_block_count_x
      - .offset:         84
        .size:           4
        .value_kind:     hidden_block_count_y
      - .offset:         88
        .size:           4
        .value_kind:     hidden_block_count_z
      - .offset:         92
        .size:           2
        .value_kind:     hidden_group_size_x
      - .offset:         94
        .size:           2
        .value_kind:     hidden_group_size_y
      - .offset:         96
        .size:           2
        .value_kind:     hidden_group_size_z
      - .offset:         98
        .size:           2
        .value_kind:     hidden_remainder_x
      - .offset:         100
        .size:           2
        .value_kind:     hidden_remainder_y
      - .offset:         102
        .size:           2
        .value_kind:     hidden_remainder_z
      - .offset:         120
        .size:           8
        .value_kind:     hidden_global_offset_x
      - .offset:         128
        .size:           8
        .value_kind:     hidden_global_offset_y
      - .offset:         136
        .size:           8
        .value_kind:     hidden_global_offset_z
      - .offset:         144
        .size:           2
        .value_kind:     hidden_grid_dims
    .group_segment_fixed_size: 0
    .kernarg_segment_align: 8
    .kernarg_segment_size: 336
    .language:       OpenCL C
    .language_version:
      - 2
      - 0
    .max_flat_workgroup_size: 256
    .name:           _ZN9rocsparseL21csrmvn_general_kernelILj256ELj2Eii21rocsparse_complex_numIfES2_S2_S2_EEvbT2_NS_24const_host_device_scalarIT6_EEPKT1_S9_PKS3_PKT3_PKT4_S6_PT5_21rocsparse_index_base_b
    .private_segment_fixed_size: 0
    .sgpr_count:     24
    .sgpr_spill_count: 0
    .symbol:         _ZN9rocsparseL21csrmvn_general_kernelILj256ELj2Eii21rocsparse_complex_numIfES2_S2_S2_EEvbT2_NS_24const_host_device_scalarIT6_EEPKT1_S9_PKS3_PKT3_PKT4_S6_PT5_21rocsparse_index_base_b.kd
    .uniform_work_group_size: 1
    .uses_dynamic_stack: false
    .vgpr_count:     22
    .vgpr_spill_count: 0
    .wavefront_size: 32
  - .args:
      - .offset:         0
        .size:           1
        .value_kind:     by_value
      - .offset:         4
        .size:           4
        .value_kind:     by_value
      - .offset:         8
        .size:           8
        .value_kind:     by_value
      - .address_space:  global
        .offset:         16
        .size:           8
        .value_kind:     global_buffer
      - .address_space:  global
        .offset:         24
        .size:           8
        .value_kind:     global_buffer
      - .actual_access:  read_only
        .address_space:  global
        .offset:         32
        .size:           8
        .value_kind:     global_buffer
      - .actual_access:  read_only
        .address_space:  global
        .offset:         40
        .size:           8
        .value_kind:     global_buffer
      - .actual_access:  read_only
        .address_space:  global
        .offset:         48
        .size:           8
        .value_kind:     global_buffer
      - .offset:         56
        .size:           8
        .value_kind:     by_value
      - .address_space:  global
        .offset:         64
        .size:           8
        .value_kind:     global_buffer
      - .offset:         72
        .size:           4
        .value_kind:     by_value
      - .offset:         76
        .size:           1
        .value_kind:     by_value
      - .offset:         80
        .size:           4
        .value_kind:     hidden_block_count_x
      - .offset:         84
        .size:           4
        .value_kind:     hidden_block_count_y
      - .offset:         88
        .size:           4
        .value_kind:     hidden_block_count_z
      - .offset:         92
        .size:           2
        .value_kind:     hidden_group_size_x
      - .offset:         94
        .size:           2
        .value_kind:     hidden_group_size_y
      - .offset:         96
        .size:           2
        .value_kind:     hidden_group_size_z
      - .offset:         98
        .size:           2
        .value_kind:     hidden_remainder_x
      - .offset:         100
        .size:           2
        .value_kind:     hidden_remainder_y
      - .offset:         102
        .size:           2
        .value_kind:     hidden_remainder_z
      - .offset:         120
        .size:           8
        .value_kind:     hidden_global_offset_x
      - .offset:         128
        .size:           8
        .value_kind:     hidden_global_offset_y
      - .offset:         136
        .size:           8
        .value_kind:     hidden_global_offset_z
      - .offset:         144
        .size:           2
        .value_kind:     hidden_grid_dims
    .group_segment_fixed_size: 0
    .kernarg_segment_align: 8
    .kernarg_segment_size: 336
    .language:       OpenCL C
    .language_version:
      - 2
      - 0
    .max_flat_workgroup_size: 256
    .name:           _ZN9rocsparseL21csrmvn_general_kernelILj256ELj4Eii21rocsparse_complex_numIfES2_S2_S2_EEvbT2_NS_24const_host_device_scalarIT6_EEPKT1_S9_PKS3_PKT3_PKT4_S6_PT5_21rocsparse_index_base_b
    .private_segment_fixed_size: 0
    .sgpr_count:     23
    .sgpr_spill_count: 0
    .symbol:         _ZN9rocsparseL21csrmvn_general_kernelILj256ELj4Eii21rocsparse_complex_numIfES2_S2_S2_EEvbT2_NS_24const_host_device_scalarIT6_EEPKT1_S9_PKS3_PKT3_PKT4_S6_PT5_21rocsparse_index_base_b.kd
    .uniform_work_group_size: 1
    .uses_dynamic_stack: false
    .vgpr_count:     24
    .vgpr_spill_count: 0
    .wavefront_size: 32
  - .args:
      - .offset:         0
        .size:           1
        .value_kind:     by_value
      - .offset:         4
        .size:           4
        .value_kind:     by_value
      - .offset:         8
        .size:           8
        .value_kind:     by_value
      - .address_space:  global
        .offset:         16
        .size:           8
        .value_kind:     global_buffer
      - .address_space:  global
        .offset:         24
        .size:           8
        .value_kind:     global_buffer
      - .actual_access:  read_only
        .address_space:  global
        .offset:         32
        .size:           8
        .value_kind:     global_buffer
      - .actual_access:  read_only
        .address_space:  global
        .offset:         40
        .size:           8
        .value_kind:     global_buffer
      - .actual_access:  read_only
        .address_space:  global
        .offset:         48
        .size:           8
        .value_kind:     global_buffer
      - .offset:         56
        .size:           8
        .value_kind:     by_value
      - .address_space:  global
        .offset:         64
        .size:           8
        .value_kind:     global_buffer
      - .offset:         72
        .size:           4
        .value_kind:     by_value
      - .offset:         76
        .size:           1
        .value_kind:     by_value
      - .offset:         80
        .size:           4
        .value_kind:     hidden_block_count_x
      - .offset:         84
        .size:           4
        .value_kind:     hidden_block_count_y
      - .offset:         88
        .size:           4
        .value_kind:     hidden_block_count_z
      - .offset:         92
        .size:           2
        .value_kind:     hidden_group_size_x
      - .offset:         94
        .size:           2
        .value_kind:     hidden_group_size_y
      - .offset:         96
        .size:           2
        .value_kind:     hidden_group_size_z
      - .offset:         98
        .size:           2
        .value_kind:     hidden_remainder_x
      - .offset:         100
        .size:           2
        .value_kind:     hidden_remainder_y
      - .offset:         102
        .size:           2
        .value_kind:     hidden_remainder_z
      - .offset:         120
        .size:           8
        .value_kind:     hidden_global_offset_x
      - .offset:         128
        .size:           8
        .value_kind:     hidden_global_offset_y
      - .offset:         136
        .size:           8
        .value_kind:     hidden_global_offset_z
      - .offset:         144
        .size:           2
        .value_kind:     hidden_grid_dims
    .group_segment_fixed_size: 0
    .kernarg_segment_align: 8
    .kernarg_segment_size: 336
    .language:       OpenCL C
    .language_version:
      - 2
      - 0
    .max_flat_workgroup_size: 256
    .name:           _ZN9rocsparseL21csrmvn_general_kernelILj256ELj8Eii21rocsparse_complex_numIfES2_S2_S2_EEvbT2_NS_24const_host_device_scalarIT6_EEPKT1_S9_PKS3_PKT3_PKT4_S6_PT5_21rocsparse_index_base_b
    .private_segment_fixed_size: 0
    .sgpr_count:     24
    .sgpr_spill_count: 0
    .symbol:         _ZN9rocsparseL21csrmvn_general_kernelILj256ELj8Eii21rocsparse_complex_numIfES2_S2_S2_EEvbT2_NS_24const_host_device_scalarIT6_EEPKT1_S9_PKS3_PKT3_PKT4_S6_PT5_21rocsparse_index_base_b.kd
    .uniform_work_group_size: 1
    .uses_dynamic_stack: false
    .vgpr_count:     24
    .vgpr_spill_count: 0
    .wavefront_size: 32
  - .args:
      - .offset:         0
        .size:           1
        .value_kind:     by_value
      - .offset:         4
        .size:           4
        .value_kind:     by_value
      - .offset:         8
        .size:           8
        .value_kind:     by_value
      - .address_space:  global
        .offset:         16
        .size:           8
        .value_kind:     global_buffer
      - .address_space:  global
        .offset:         24
        .size:           8
        .value_kind:     global_buffer
      - .actual_access:  read_only
        .address_space:  global
        .offset:         32
        .size:           8
        .value_kind:     global_buffer
      - .actual_access:  read_only
        .address_space:  global
        .offset:         40
        .size:           8
        .value_kind:     global_buffer
      - .actual_access:  read_only
        .address_space:  global
        .offset:         48
        .size:           8
        .value_kind:     global_buffer
      - .offset:         56
        .size:           8
        .value_kind:     by_value
      - .address_space:  global
        .offset:         64
        .size:           8
        .value_kind:     global_buffer
      - .offset:         72
        .size:           4
        .value_kind:     by_value
      - .offset:         76
        .size:           1
        .value_kind:     by_value
      - .offset:         80
        .size:           4
        .value_kind:     hidden_block_count_x
      - .offset:         84
        .size:           4
        .value_kind:     hidden_block_count_y
      - .offset:         88
        .size:           4
        .value_kind:     hidden_block_count_z
      - .offset:         92
        .size:           2
        .value_kind:     hidden_group_size_x
      - .offset:         94
        .size:           2
        .value_kind:     hidden_group_size_y
      - .offset:         96
        .size:           2
        .value_kind:     hidden_group_size_z
      - .offset:         98
        .size:           2
        .value_kind:     hidden_remainder_x
      - .offset:         100
        .size:           2
        .value_kind:     hidden_remainder_y
      - .offset:         102
        .size:           2
        .value_kind:     hidden_remainder_z
      - .offset:         120
        .size:           8
        .value_kind:     hidden_global_offset_x
      - .offset:         128
        .size:           8
        .value_kind:     hidden_global_offset_y
      - .offset:         136
        .size:           8
        .value_kind:     hidden_global_offset_z
      - .offset:         144
        .size:           2
        .value_kind:     hidden_grid_dims
    .group_segment_fixed_size: 0
    .kernarg_segment_align: 8
    .kernarg_segment_size: 336
    .language:       OpenCL C
    .language_version:
      - 2
      - 0
    .max_flat_workgroup_size: 256
    .name:           _ZN9rocsparseL21csrmvn_general_kernelILj256ELj16Eii21rocsparse_complex_numIfES2_S2_S2_EEvbT2_NS_24const_host_device_scalarIT6_EEPKT1_S9_PKS3_PKT3_PKT4_S6_PT5_21rocsparse_index_base_b
    .private_segment_fixed_size: 0
    .sgpr_count:     24
    .sgpr_spill_count: 0
    .symbol:         _ZN9rocsparseL21csrmvn_general_kernelILj256ELj16Eii21rocsparse_complex_numIfES2_S2_S2_EEvbT2_NS_24const_host_device_scalarIT6_EEPKT1_S9_PKS3_PKT3_PKT4_S6_PT5_21rocsparse_index_base_b.kd
    .uniform_work_group_size: 1
    .uses_dynamic_stack: false
    .vgpr_count:     26
    .vgpr_spill_count: 0
    .wavefront_size: 32
  - .args:
      - .offset:         0
        .size:           1
        .value_kind:     by_value
      - .offset:         4
        .size:           4
        .value_kind:     by_value
      - .offset:         8
        .size:           8
        .value_kind:     by_value
      - .address_space:  global
        .offset:         16
        .size:           8
        .value_kind:     global_buffer
      - .address_space:  global
        .offset:         24
        .size:           8
        .value_kind:     global_buffer
      - .actual_access:  read_only
        .address_space:  global
        .offset:         32
        .size:           8
        .value_kind:     global_buffer
      - .actual_access:  read_only
        .address_space:  global
        .offset:         40
        .size:           8
        .value_kind:     global_buffer
      - .actual_access:  read_only
        .address_space:  global
        .offset:         48
        .size:           8
        .value_kind:     global_buffer
      - .offset:         56
        .size:           8
        .value_kind:     by_value
      - .address_space:  global
        .offset:         64
        .size:           8
        .value_kind:     global_buffer
      - .offset:         72
        .size:           4
        .value_kind:     by_value
      - .offset:         76
        .size:           1
        .value_kind:     by_value
      - .offset:         80
        .size:           4
        .value_kind:     hidden_block_count_x
      - .offset:         84
        .size:           4
        .value_kind:     hidden_block_count_y
      - .offset:         88
        .size:           4
        .value_kind:     hidden_block_count_z
      - .offset:         92
        .size:           2
        .value_kind:     hidden_group_size_x
      - .offset:         94
        .size:           2
        .value_kind:     hidden_group_size_y
      - .offset:         96
        .size:           2
        .value_kind:     hidden_group_size_z
      - .offset:         98
        .size:           2
        .value_kind:     hidden_remainder_x
      - .offset:         100
        .size:           2
        .value_kind:     hidden_remainder_y
      - .offset:         102
        .size:           2
        .value_kind:     hidden_remainder_z
      - .offset:         120
        .size:           8
        .value_kind:     hidden_global_offset_x
      - .offset:         128
        .size:           8
        .value_kind:     hidden_global_offset_y
      - .offset:         136
        .size:           8
        .value_kind:     hidden_global_offset_z
      - .offset:         144
        .size:           2
        .value_kind:     hidden_grid_dims
    .group_segment_fixed_size: 0
    .kernarg_segment_align: 8
    .kernarg_segment_size: 336
    .language:       OpenCL C
    .language_version:
      - 2
      - 0
    .max_flat_workgroup_size: 256
    .name:           _ZN9rocsparseL21csrmvn_general_kernelILj256ELj32Eii21rocsparse_complex_numIfES2_S2_S2_EEvbT2_NS_24const_host_device_scalarIT6_EEPKT1_S9_PKS3_PKT3_PKT4_S6_PT5_21rocsparse_index_base_b
    .private_segment_fixed_size: 0
    .sgpr_count:     24
    .sgpr_spill_count: 0
    .symbol:         _ZN9rocsparseL21csrmvn_general_kernelILj256ELj32Eii21rocsparse_complex_numIfES2_S2_S2_EEvbT2_NS_24const_host_device_scalarIT6_EEPKT1_S9_PKS3_PKT3_PKT4_S6_PT5_21rocsparse_index_base_b.kd
    .uniform_work_group_size: 1
    .uses_dynamic_stack: false
    .vgpr_count:     26
    .vgpr_spill_count: 0
    .wavefront_size: 32
  - .args:
      - .offset:         0
        .size:           1
        .value_kind:     by_value
      - .offset:         4
        .size:           4
        .value_kind:     by_value
      - .offset:         8
        .size:           8
        .value_kind:     by_value
      - .address_space:  global
        .offset:         16
        .size:           8
        .value_kind:     global_buffer
      - .address_space:  global
        .offset:         24
        .size:           8
        .value_kind:     global_buffer
      - .actual_access:  read_only
        .address_space:  global
        .offset:         32
        .size:           8
        .value_kind:     global_buffer
      - .actual_access:  read_only
        .address_space:  global
        .offset:         40
        .size:           8
        .value_kind:     global_buffer
      - .actual_access:  read_only
        .address_space:  global
        .offset:         48
        .size:           8
        .value_kind:     global_buffer
      - .offset:         56
        .size:           8
        .value_kind:     by_value
      - .address_space:  global
        .offset:         64
        .size:           8
        .value_kind:     global_buffer
      - .offset:         72
        .size:           4
        .value_kind:     by_value
      - .offset:         76
        .size:           1
        .value_kind:     by_value
      - .offset:         80
        .size:           4
        .value_kind:     hidden_block_count_x
      - .offset:         84
        .size:           4
        .value_kind:     hidden_block_count_y
      - .offset:         88
        .size:           4
        .value_kind:     hidden_block_count_z
      - .offset:         92
        .size:           2
        .value_kind:     hidden_group_size_x
      - .offset:         94
        .size:           2
        .value_kind:     hidden_group_size_y
      - .offset:         96
        .size:           2
        .value_kind:     hidden_group_size_z
      - .offset:         98
        .size:           2
        .value_kind:     hidden_remainder_x
      - .offset:         100
        .size:           2
        .value_kind:     hidden_remainder_y
      - .offset:         102
        .size:           2
        .value_kind:     hidden_remainder_z
      - .offset:         120
        .size:           8
        .value_kind:     hidden_global_offset_x
      - .offset:         128
        .size:           8
        .value_kind:     hidden_global_offset_y
      - .offset:         136
        .size:           8
        .value_kind:     hidden_global_offset_z
      - .offset:         144
        .size:           2
        .value_kind:     hidden_grid_dims
    .group_segment_fixed_size: 0
    .kernarg_segment_align: 8
    .kernarg_segment_size: 336
    .language:       OpenCL C
    .language_version:
      - 2
      - 0
    .max_flat_workgroup_size: 256
    .name:           _ZN9rocsparseL21csrmvn_general_kernelILj256ELj64Eii21rocsparse_complex_numIfES2_S2_S2_EEvbT2_NS_24const_host_device_scalarIT6_EEPKT1_S9_PKS3_PKT3_PKT4_S6_PT5_21rocsparse_index_base_b
    .private_segment_fixed_size: 0
    .sgpr_count:     24
    .sgpr_spill_count: 0
    .symbol:         _ZN9rocsparseL21csrmvn_general_kernelILj256ELj64Eii21rocsparse_complex_numIfES2_S2_S2_EEvbT2_NS_24const_host_device_scalarIT6_EEPKT1_S9_PKS3_PKT3_PKT4_S6_PT5_21rocsparse_index_base_b.kd
    .uniform_work_group_size: 1
    .uses_dynamic_stack: false
    .vgpr_count:     28
    .vgpr_spill_count: 0
    .wavefront_size: 32
  - .args:
      - .offset:         0
        .size:           1
        .value_kind:     by_value
      - .offset:         1
        .size:           1
        .value_kind:     by_value
      - .offset:         4
        .size:           4
        .value_kind:     by_value
      - .offset:         8
        .size:           8
        .value_kind:     by_value
      - .address_space:  global
        .offset:         16
        .size:           8
        .value_kind:     global_buffer
      - .address_space:  global
        .offset:         24
        .size:           8
        .value_kind:     global_buffer
      - .actual_access:  read_only
        .address_space:  global
        .offset:         32
        .size:           8
        .value_kind:     global_buffer
      - .actual_access:  read_only
        .address_space:  global
        .offset:         40
        .size:           8
        .value_kind:     global_buffer
      - .actual_access:  read_only
        .address_space:  global
        .offset:         48
        .size:           8
        .value_kind:     global_buffer
      - .address_space:  global
        .offset:         56
        .size:           8
        .value_kind:     global_buffer
      - .offset:         64
        .size:           4
        .value_kind:     by_value
      - .offset:         68
        .size:           1
        .value_kind:     by_value
      - .offset:         72
        .size:           4
        .value_kind:     hidden_block_count_x
      - .offset:         76
        .size:           4
        .value_kind:     hidden_block_count_y
      - .offset:         80
        .size:           4
        .value_kind:     hidden_block_count_z
      - .offset:         84
        .size:           2
        .value_kind:     hidden_group_size_x
      - .offset:         86
        .size:           2
        .value_kind:     hidden_group_size_y
      - .offset:         88
        .size:           2
        .value_kind:     hidden_group_size_z
      - .offset:         90
        .size:           2
        .value_kind:     hidden_remainder_x
      - .offset:         92
        .size:           2
        .value_kind:     hidden_remainder_y
      - .offset:         94
        .size:           2
        .value_kind:     hidden_remainder_z
      - .offset:         112
        .size:           8
        .value_kind:     hidden_global_offset_x
      - .offset:         120
        .size:           8
        .value_kind:     hidden_global_offset_y
      - .offset:         128
        .size:           8
        .value_kind:     hidden_global_offset_z
      - .offset:         136
        .size:           2
        .value_kind:     hidden_grid_dims
    .group_segment_fixed_size: 0
    .kernarg_segment_align: 8
    .kernarg_segment_size: 328
    .language:       OpenCL C
    .language_version:
      - 2
      - 0
    .max_flat_workgroup_size: 256
    .name:           _ZN9rocsparseL21csrmvt_general_kernelILj256ELj4Eii21rocsparse_complex_numIfES2_S2_S2_EEvbbT2_NS_24const_host_device_scalarIT6_EEPKT1_S9_PKS3_PKT3_PKT4_PT5_21rocsparse_index_base_b
    .private_segment_fixed_size: 0
    .sgpr_count:     23
    .sgpr_spill_count: 0
    .symbol:         _ZN9rocsparseL21csrmvt_general_kernelILj256ELj4Eii21rocsparse_complex_numIfES2_S2_S2_EEvbbT2_NS_24const_host_device_scalarIT6_EEPKT1_S9_PKS3_PKT3_PKT4_PT5_21rocsparse_index_base_b.kd
    .uniform_work_group_size: 1
    .uses_dynamic_stack: false
    .vgpr_count:     15
    .vgpr_spill_count: 0
    .wavefront_size: 32
  - .args:
      - .offset:         0
        .size:           1
        .value_kind:     by_value
      - .offset:         1
        .size:           1
        .value_kind:     by_value
      - .offset:         4
        .size:           4
        .value_kind:     by_value
      - .offset:         8
        .size:           8
        .value_kind:     by_value
      - .address_space:  global
        .offset:         16
        .size:           8
        .value_kind:     global_buffer
      - .address_space:  global
        .offset:         24
        .size:           8
        .value_kind:     global_buffer
      - .actual_access:  read_only
        .address_space:  global
        .offset:         32
        .size:           8
        .value_kind:     global_buffer
      - .actual_access:  read_only
        .address_space:  global
        .offset:         40
        .size:           8
        .value_kind:     global_buffer
      - .actual_access:  read_only
        .address_space:  global
        .offset:         48
        .size:           8
        .value_kind:     global_buffer
      - .address_space:  global
        .offset:         56
        .size:           8
        .value_kind:     global_buffer
      - .offset:         64
        .size:           4
        .value_kind:     by_value
      - .offset:         68
        .size:           1
        .value_kind:     by_value
      - .offset:         72
        .size:           4
        .value_kind:     hidden_block_count_x
      - .offset:         76
        .size:           4
        .value_kind:     hidden_block_count_y
      - .offset:         80
        .size:           4
        .value_kind:     hidden_block_count_z
      - .offset:         84
        .size:           2
        .value_kind:     hidden_group_size_x
      - .offset:         86
        .size:           2
        .value_kind:     hidden_group_size_y
      - .offset:         88
        .size:           2
        .value_kind:     hidden_group_size_z
      - .offset:         90
        .size:           2
        .value_kind:     hidden_remainder_x
      - .offset:         92
        .size:           2
        .value_kind:     hidden_remainder_y
      - .offset:         94
        .size:           2
        .value_kind:     hidden_remainder_z
      - .offset:         112
        .size:           8
        .value_kind:     hidden_global_offset_x
      - .offset:         120
        .size:           8
        .value_kind:     hidden_global_offset_y
      - .offset:         128
        .size:           8
        .value_kind:     hidden_global_offset_z
      - .offset:         136
        .size:           2
        .value_kind:     hidden_grid_dims
    .group_segment_fixed_size: 0
    .kernarg_segment_align: 8
    .kernarg_segment_size: 328
    .language:       OpenCL C
    .language_version:
      - 2
      - 0
    .max_flat_workgroup_size: 256
    .name:           _ZN9rocsparseL21csrmvt_general_kernelILj256ELj8Eii21rocsparse_complex_numIfES2_S2_S2_EEvbbT2_NS_24const_host_device_scalarIT6_EEPKT1_S9_PKS3_PKT3_PKT4_PT5_21rocsparse_index_base_b
    .private_segment_fixed_size: 0
    .sgpr_count:     23
    .sgpr_spill_count: 0
    .symbol:         _ZN9rocsparseL21csrmvt_general_kernelILj256ELj8Eii21rocsparse_complex_numIfES2_S2_S2_EEvbbT2_NS_24const_host_device_scalarIT6_EEPKT1_S9_PKS3_PKT3_PKT4_PT5_21rocsparse_index_base_b.kd
    .uniform_work_group_size: 1
    .uses_dynamic_stack: false
    .vgpr_count:     15
    .vgpr_spill_count: 0
    .wavefront_size: 32
  - .args:
      - .offset:         0
        .size:           1
        .value_kind:     by_value
      - .offset:         1
        .size:           1
        .value_kind:     by_value
      - .offset:         4
        .size:           4
        .value_kind:     by_value
      - .offset:         8
        .size:           8
        .value_kind:     by_value
      - .address_space:  global
        .offset:         16
        .size:           8
        .value_kind:     global_buffer
      - .address_space:  global
        .offset:         24
        .size:           8
        .value_kind:     global_buffer
      - .actual_access:  read_only
        .address_space:  global
        .offset:         32
        .size:           8
        .value_kind:     global_buffer
      - .actual_access:  read_only
        .address_space:  global
        .offset:         40
        .size:           8
        .value_kind:     global_buffer
      - .actual_access:  read_only
        .address_space:  global
        .offset:         48
        .size:           8
        .value_kind:     global_buffer
      - .address_space:  global
        .offset:         56
        .size:           8
        .value_kind:     global_buffer
      - .offset:         64
        .size:           4
        .value_kind:     by_value
      - .offset:         68
        .size:           1
        .value_kind:     by_value
      - .offset:         72
        .size:           4
        .value_kind:     hidden_block_count_x
      - .offset:         76
        .size:           4
        .value_kind:     hidden_block_count_y
      - .offset:         80
        .size:           4
        .value_kind:     hidden_block_count_z
      - .offset:         84
        .size:           2
        .value_kind:     hidden_group_size_x
      - .offset:         86
        .size:           2
        .value_kind:     hidden_group_size_y
      - .offset:         88
        .size:           2
        .value_kind:     hidden_group_size_z
      - .offset:         90
        .size:           2
        .value_kind:     hidden_remainder_x
      - .offset:         92
        .size:           2
        .value_kind:     hidden_remainder_y
      - .offset:         94
        .size:           2
        .value_kind:     hidden_remainder_z
      - .offset:         112
        .size:           8
        .value_kind:     hidden_global_offset_x
      - .offset:         120
        .size:           8
        .value_kind:     hidden_global_offset_y
      - .offset:         128
        .size:           8
        .value_kind:     hidden_global_offset_z
      - .offset:         136
        .size:           2
        .value_kind:     hidden_grid_dims
    .group_segment_fixed_size: 0
    .kernarg_segment_align: 8
    .kernarg_segment_size: 328
    .language:       OpenCL C
    .language_version:
      - 2
      - 0
    .max_flat_workgroup_size: 256
    .name:           _ZN9rocsparseL21csrmvt_general_kernelILj256ELj16Eii21rocsparse_complex_numIfES2_S2_S2_EEvbbT2_NS_24const_host_device_scalarIT6_EEPKT1_S9_PKS3_PKT3_PKT4_PT5_21rocsparse_index_base_b
    .private_segment_fixed_size: 0
    .sgpr_count:     23
    .sgpr_spill_count: 0
    .symbol:         _ZN9rocsparseL21csrmvt_general_kernelILj256ELj16Eii21rocsparse_complex_numIfES2_S2_S2_EEvbbT2_NS_24const_host_device_scalarIT6_EEPKT1_S9_PKS3_PKT3_PKT4_PT5_21rocsparse_index_base_b.kd
    .uniform_work_group_size: 1
    .uses_dynamic_stack: false
    .vgpr_count:     15
    .vgpr_spill_count: 0
    .wavefront_size: 32
  - .args:
      - .offset:         0
        .size:           1
        .value_kind:     by_value
      - .offset:         1
        .size:           1
        .value_kind:     by_value
      - .offset:         4
        .size:           4
        .value_kind:     by_value
      - .offset:         8
        .size:           8
        .value_kind:     by_value
      - .address_space:  global
        .offset:         16
        .size:           8
        .value_kind:     global_buffer
      - .address_space:  global
        .offset:         24
        .size:           8
        .value_kind:     global_buffer
      - .actual_access:  read_only
        .address_space:  global
        .offset:         32
        .size:           8
        .value_kind:     global_buffer
      - .actual_access:  read_only
        .address_space:  global
        .offset:         40
        .size:           8
        .value_kind:     global_buffer
      - .actual_access:  read_only
        .address_space:  global
        .offset:         48
        .size:           8
        .value_kind:     global_buffer
      - .address_space:  global
        .offset:         56
        .size:           8
        .value_kind:     global_buffer
      - .offset:         64
        .size:           4
        .value_kind:     by_value
      - .offset:         68
        .size:           1
        .value_kind:     by_value
      - .offset:         72
        .size:           4
        .value_kind:     hidden_block_count_x
      - .offset:         76
        .size:           4
        .value_kind:     hidden_block_count_y
      - .offset:         80
        .size:           4
        .value_kind:     hidden_block_count_z
      - .offset:         84
        .size:           2
        .value_kind:     hidden_group_size_x
      - .offset:         86
        .size:           2
        .value_kind:     hidden_group_size_y
      - .offset:         88
        .size:           2
        .value_kind:     hidden_group_size_z
      - .offset:         90
        .size:           2
        .value_kind:     hidden_remainder_x
      - .offset:         92
        .size:           2
        .value_kind:     hidden_remainder_y
      - .offset:         94
        .size:           2
        .value_kind:     hidden_remainder_z
      - .offset:         112
        .size:           8
        .value_kind:     hidden_global_offset_x
      - .offset:         120
        .size:           8
        .value_kind:     hidden_global_offset_y
      - .offset:         128
        .size:           8
        .value_kind:     hidden_global_offset_z
      - .offset:         136
        .size:           2
        .value_kind:     hidden_grid_dims
    .group_segment_fixed_size: 0
    .kernarg_segment_align: 8
    .kernarg_segment_size: 328
    .language:       OpenCL C
    .language_version:
      - 2
      - 0
    .max_flat_workgroup_size: 256
    .name:           _ZN9rocsparseL21csrmvt_general_kernelILj256ELj32Eii21rocsparse_complex_numIfES2_S2_S2_EEvbbT2_NS_24const_host_device_scalarIT6_EEPKT1_S9_PKS3_PKT3_PKT4_PT5_21rocsparse_index_base_b
    .private_segment_fixed_size: 0
    .sgpr_count:     23
    .sgpr_spill_count: 0
    .symbol:         _ZN9rocsparseL21csrmvt_general_kernelILj256ELj32Eii21rocsparse_complex_numIfES2_S2_S2_EEvbbT2_NS_24const_host_device_scalarIT6_EEPKT1_S9_PKS3_PKT3_PKT4_PT5_21rocsparse_index_base_b.kd
    .uniform_work_group_size: 1
    .uses_dynamic_stack: false
    .vgpr_count:     15
    .vgpr_spill_count: 0
    .wavefront_size: 32
  - .args:
      - .offset:         0
        .size:           1
        .value_kind:     by_value
      - .offset:         1
        .size:           1
        .value_kind:     by_value
      - .offset:         4
        .size:           4
        .value_kind:     by_value
      - .offset:         8
        .size:           8
        .value_kind:     by_value
      - .address_space:  global
        .offset:         16
        .size:           8
        .value_kind:     global_buffer
      - .address_space:  global
        .offset:         24
        .size:           8
        .value_kind:     global_buffer
      - .actual_access:  read_only
        .address_space:  global
        .offset:         32
        .size:           8
        .value_kind:     global_buffer
      - .actual_access:  read_only
        .address_space:  global
        .offset:         40
        .size:           8
        .value_kind:     global_buffer
      - .actual_access:  read_only
        .address_space:  global
        .offset:         48
        .size:           8
        .value_kind:     global_buffer
      - .address_space:  global
        .offset:         56
        .size:           8
        .value_kind:     global_buffer
      - .offset:         64
        .size:           4
        .value_kind:     by_value
      - .offset:         68
        .size:           1
        .value_kind:     by_value
      - .offset:         72
        .size:           4
        .value_kind:     hidden_block_count_x
      - .offset:         76
        .size:           4
        .value_kind:     hidden_block_count_y
      - .offset:         80
        .size:           4
        .value_kind:     hidden_block_count_z
      - .offset:         84
        .size:           2
        .value_kind:     hidden_group_size_x
      - .offset:         86
        .size:           2
        .value_kind:     hidden_group_size_y
      - .offset:         88
        .size:           2
        .value_kind:     hidden_group_size_z
      - .offset:         90
        .size:           2
        .value_kind:     hidden_remainder_x
      - .offset:         92
        .size:           2
        .value_kind:     hidden_remainder_y
      - .offset:         94
        .size:           2
        .value_kind:     hidden_remainder_z
      - .offset:         112
        .size:           8
        .value_kind:     hidden_global_offset_x
      - .offset:         120
        .size:           8
        .value_kind:     hidden_global_offset_y
      - .offset:         128
        .size:           8
        .value_kind:     hidden_global_offset_z
      - .offset:         136
        .size:           2
        .value_kind:     hidden_grid_dims
    .group_segment_fixed_size: 0
    .kernarg_segment_align: 8
    .kernarg_segment_size: 328
    .language:       OpenCL C
    .language_version:
      - 2
      - 0
    .max_flat_workgroup_size: 256
    .name:           _ZN9rocsparseL21csrmvt_general_kernelILj256ELj64Eii21rocsparse_complex_numIfES2_S2_S2_EEvbbT2_NS_24const_host_device_scalarIT6_EEPKT1_S9_PKS3_PKT3_PKT4_PT5_21rocsparse_index_base_b
    .private_segment_fixed_size: 0
    .sgpr_count:     23
    .sgpr_spill_count: 0
    .symbol:         _ZN9rocsparseL21csrmvt_general_kernelILj256ELj64Eii21rocsparse_complex_numIfES2_S2_S2_EEvbbT2_NS_24const_host_device_scalarIT6_EEPKT1_S9_PKS3_PKT3_PKT4_PT5_21rocsparse_index_base_b.kd
    .uniform_work_group_size: 1
    .uses_dynamic_stack: false
    .vgpr_count:     15
    .vgpr_spill_count: 0
    .wavefront_size: 32
  - .args:
      - .offset:         0
        .size:           1
        .value_kind:     by_value
      - .offset:         4
        .size:           4
        .value_kind:     by_value
      - .offset:         8
        .size:           8
        .value_kind:     by_value
      - .address_space:  global
        .offset:         16
        .size:           8
        .value_kind:     global_buffer
      - .address_space:  global
        .offset:         24
        .size:           8
        .value_kind:     global_buffer
      - .actual_access:  read_only
        .address_space:  global
        .offset:         32
        .size:           8
        .value_kind:     global_buffer
      - .actual_access:  read_only
        .address_space:  global
        .offset:         40
        .size:           8
        .value_kind:     global_buffer
      - .actual_access:  read_only
        .address_space:  global
        .offset:         48
        .size:           8
        .value_kind:     global_buffer
      - .offset:         56
        .size:           8
        .value_kind:     by_value
      - .address_space:  global
        .offset:         64
        .size:           8
        .value_kind:     global_buffer
      - .offset:         72
        .size:           4
        .value_kind:     by_value
      - .offset:         76
        .size:           1
        .value_kind:     by_value
      - .offset:         80
        .size:           4
        .value_kind:     hidden_block_count_x
      - .offset:         84
        .size:           4
        .value_kind:     hidden_block_count_y
      - .offset:         88
        .size:           4
        .value_kind:     hidden_block_count_z
      - .offset:         92
        .size:           2
        .value_kind:     hidden_group_size_x
      - .offset:         94
        .size:           2
        .value_kind:     hidden_group_size_y
      - .offset:         96
        .size:           2
        .value_kind:     hidden_group_size_z
      - .offset:         98
        .size:           2
        .value_kind:     hidden_remainder_x
      - .offset:         100
        .size:           2
        .value_kind:     hidden_remainder_y
      - .offset:         102
        .size:           2
        .value_kind:     hidden_remainder_z
      - .offset:         120
        .size:           8
        .value_kind:     hidden_global_offset_x
      - .offset:         128
        .size:           8
        .value_kind:     hidden_global_offset_y
      - .offset:         136
        .size:           8
        .value_kind:     hidden_global_offset_z
      - .offset:         144
        .size:           2
        .value_kind:     hidden_grid_dims
    .group_segment_fixed_size: 0
    .kernarg_segment_align: 8
    .kernarg_segment_size: 336
    .language:       OpenCL C
    .language_version:
      - 2
      - 0
    .max_flat_workgroup_size: 256
    .name:           _ZN9rocsparseL21csrmvn_general_kernelILj256ELj2Eli21rocsparse_complex_numIfES2_S2_S2_EEvbT2_NS_24const_host_device_scalarIT6_EEPKT1_S9_PKS3_PKT3_PKT4_S6_PT5_21rocsparse_index_base_b
    .private_segment_fixed_size: 0
    .sgpr_count:     24
    .sgpr_spill_count: 0
    .symbol:         _ZN9rocsparseL21csrmvn_general_kernelILj256ELj2Eli21rocsparse_complex_numIfES2_S2_S2_EEvbT2_NS_24const_host_device_scalarIT6_EEPKT1_S9_PKS3_PKT3_PKT4_S6_PT5_21rocsparse_index_base_b.kd
    .uniform_work_group_size: 1
    .uses_dynamic_stack: false
    .vgpr_count:     30
    .vgpr_spill_count: 0
    .wavefront_size: 32
  - .args:
      - .offset:         0
        .size:           1
        .value_kind:     by_value
      - .offset:         4
        .size:           4
        .value_kind:     by_value
      - .offset:         8
        .size:           8
        .value_kind:     by_value
      - .address_space:  global
        .offset:         16
        .size:           8
        .value_kind:     global_buffer
      - .address_space:  global
        .offset:         24
        .size:           8
        .value_kind:     global_buffer
      - .actual_access:  read_only
        .address_space:  global
        .offset:         32
        .size:           8
        .value_kind:     global_buffer
      - .actual_access:  read_only
        .address_space:  global
        .offset:         40
        .size:           8
        .value_kind:     global_buffer
      - .actual_access:  read_only
        .address_space:  global
        .offset:         48
        .size:           8
        .value_kind:     global_buffer
      - .offset:         56
        .size:           8
        .value_kind:     by_value
      - .address_space:  global
        .offset:         64
        .size:           8
        .value_kind:     global_buffer
      - .offset:         72
        .size:           4
        .value_kind:     by_value
      - .offset:         76
        .size:           1
        .value_kind:     by_value
      - .offset:         80
        .size:           4
        .value_kind:     hidden_block_count_x
      - .offset:         84
        .size:           4
        .value_kind:     hidden_block_count_y
      - .offset:         88
        .size:           4
        .value_kind:     hidden_block_count_z
      - .offset:         92
        .size:           2
        .value_kind:     hidden_group_size_x
      - .offset:         94
        .size:           2
        .value_kind:     hidden_group_size_y
      - .offset:         96
        .size:           2
        .value_kind:     hidden_group_size_z
      - .offset:         98
        .size:           2
        .value_kind:     hidden_remainder_x
      - .offset:         100
        .size:           2
        .value_kind:     hidden_remainder_y
      - .offset:         102
        .size:           2
        .value_kind:     hidden_remainder_z
      - .offset:         120
        .size:           8
        .value_kind:     hidden_global_offset_x
      - .offset:         128
        .size:           8
        .value_kind:     hidden_global_offset_y
      - .offset:         136
        .size:           8
        .value_kind:     hidden_global_offset_z
      - .offset:         144
        .size:           2
        .value_kind:     hidden_grid_dims
    .group_segment_fixed_size: 0
    .kernarg_segment_align: 8
    .kernarg_segment_size: 336
    .language:       OpenCL C
    .language_version:
      - 2
      - 0
    .max_flat_workgroup_size: 256
    .name:           _ZN9rocsparseL21csrmvn_general_kernelILj256ELj4Eli21rocsparse_complex_numIfES2_S2_S2_EEvbT2_NS_24const_host_device_scalarIT6_EEPKT1_S9_PKS3_PKT3_PKT4_S6_PT5_21rocsparse_index_base_b
    .private_segment_fixed_size: 0
    .sgpr_count:     26
    .sgpr_spill_count: 0
    .symbol:         _ZN9rocsparseL21csrmvn_general_kernelILj256ELj4Eli21rocsparse_complex_numIfES2_S2_S2_EEvbT2_NS_24const_host_device_scalarIT6_EEPKT1_S9_PKS3_PKT3_PKT4_S6_PT5_21rocsparse_index_base_b.kd
    .uniform_work_group_size: 1
    .uses_dynamic_stack: false
    .vgpr_count:     30
    .vgpr_spill_count: 0
    .wavefront_size: 32
  - .args:
      - .offset:         0
        .size:           1
        .value_kind:     by_value
      - .offset:         4
        .size:           4
        .value_kind:     by_value
      - .offset:         8
        .size:           8
        .value_kind:     by_value
      - .address_space:  global
        .offset:         16
        .size:           8
        .value_kind:     global_buffer
      - .address_space:  global
        .offset:         24
        .size:           8
        .value_kind:     global_buffer
      - .actual_access:  read_only
        .address_space:  global
        .offset:         32
        .size:           8
        .value_kind:     global_buffer
      - .actual_access:  read_only
        .address_space:  global
        .offset:         40
        .size:           8
        .value_kind:     global_buffer
      - .actual_access:  read_only
        .address_space:  global
        .offset:         48
        .size:           8
        .value_kind:     global_buffer
      - .offset:         56
        .size:           8
        .value_kind:     by_value
      - .address_space:  global
        .offset:         64
        .size:           8
        .value_kind:     global_buffer
      - .offset:         72
        .size:           4
        .value_kind:     by_value
      - .offset:         76
        .size:           1
        .value_kind:     by_value
      - .offset:         80
        .size:           4
        .value_kind:     hidden_block_count_x
      - .offset:         84
        .size:           4
        .value_kind:     hidden_block_count_y
      - .offset:         88
        .size:           4
        .value_kind:     hidden_block_count_z
      - .offset:         92
        .size:           2
        .value_kind:     hidden_group_size_x
      - .offset:         94
        .size:           2
        .value_kind:     hidden_group_size_y
      - .offset:         96
        .size:           2
        .value_kind:     hidden_group_size_z
      - .offset:         98
        .size:           2
        .value_kind:     hidden_remainder_x
      - .offset:         100
        .size:           2
        .value_kind:     hidden_remainder_y
      - .offset:         102
        .size:           2
        .value_kind:     hidden_remainder_z
      - .offset:         120
        .size:           8
        .value_kind:     hidden_global_offset_x
      - .offset:         128
        .size:           8
        .value_kind:     hidden_global_offset_y
      - .offset:         136
        .size:           8
        .value_kind:     hidden_global_offset_z
      - .offset:         144
        .size:           2
        .value_kind:     hidden_grid_dims
    .group_segment_fixed_size: 0
    .kernarg_segment_align: 8
    .kernarg_segment_size: 336
    .language:       OpenCL C
    .language_version:
      - 2
      - 0
    .max_flat_workgroup_size: 256
    .name:           _ZN9rocsparseL21csrmvn_general_kernelILj256ELj8Eli21rocsparse_complex_numIfES2_S2_S2_EEvbT2_NS_24const_host_device_scalarIT6_EEPKT1_S9_PKS3_PKT3_PKT4_S6_PT5_21rocsparse_index_base_b
    .private_segment_fixed_size: 0
    .sgpr_count:     24
    .sgpr_spill_count: 0
    .symbol:         _ZN9rocsparseL21csrmvn_general_kernelILj256ELj8Eli21rocsparse_complex_numIfES2_S2_S2_EEvbT2_NS_24const_host_device_scalarIT6_EEPKT1_S9_PKS3_PKT3_PKT4_S6_PT5_21rocsparse_index_base_b.kd
    .uniform_work_group_size: 1
    .uses_dynamic_stack: false
    .vgpr_count:     32
    .vgpr_spill_count: 0
    .wavefront_size: 32
  - .args:
      - .offset:         0
        .size:           1
        .value_kind:     by_value
      - .offset:         4
        .size:           4
        .value_kind:     by_value
      - .offset:         8
        .size:           8
        .value_kind:     by_value
      - .address_space:  global
        .offset:         16
        .size:           8
        .value_kind:     global_buffer
      - .address_space:  global
        .offset:         24
        .size:           8
        .value_kind:     global_buffer
      - .actual_access:  read_only
        .address_space:  global
        .offset:         32
        .size:           8
        .value_kind:     global_buffer
      - .actual_access:  read_only
        .address_space:  global
        .offset:         40
        .size:           8
        .value_kind:     global_buffer
      - .actual_access:  read_only
        .address_space:  global
        .offset:         48
        .size:           8
        .value_kind:     global_buffer
      - .offset:         56
        .size:           8
        .value_kind:     by_value
      - .address_space:  global
        .offset:         64
        .size:           8
        .value_kind:     global_buffer
      - .offset:         72
        .size:           4
        .value_kind:     by_value
      - .offset:         76
        .size:           1
        .value_kind:     by_value
      - .offset:         80
        .size:           4
        .value_kind:     hidden_block_count_x
      - .offset:         84
        .size:           4
        .value_kind:     hidden_block_count_y
      - .offset:         88
        .size:           4
        .value_kind:     hidden_block_count_z
      - .offset:         92
        .size:           2
        .value_kind:     hidden_group_size_x
      - .offset:         94
        .size:           2
        .value_kind:     hidden_group_size_y
      - .offset:         96
        .size:           2
        .value_kind:     hidden_group_size_z
      - .offset:         98
        .size:           2
        .value_kind:     hidden_remainder_x
      - .offset:         100
        .size:           2
        .value_kind:     hidden_remainder_y
      - .offset:         102
        .size:           2
        .value_kind:     hidden_remainder_z
      - .offset:         120
        .size:           8
        .value_kind:     hidden_global_offset_x
      - .offset:         128
        .size:           8
        .value_kind:     hidden_global_offset_y
      - .offset:         136
        .size:           8
        .value_kind:     hidden_global_offset_z
      - .offset:         144
        .size:           2
        .value_kind:     hidden_grid_dims
    .group_segment_fixed_size: 0
    .kernarg_segment_align: 8
    .kernarg_segment_size: 336
    .language:       OpenCL C
    .language_version:
      - 2
      - 0
    .max_flat_workgroup_size: 256
    .name:           _ZN9rocsparseL21csrmvn_general_kernelILj256ELj16Eli21rocsparse_complex_numIfES2_S2_S2_EEvbT2_NS_24const_host_device_scalarIT6_EEPKT1_S9_PKS3_PKT3_PKT4_S6_PT5_21rocsparse_index_base_b
    .private_segment_fixed_size: 0
    .sgpr_count:     24
    .sgpr_spill_count: 0
    .symbol:         _ZN9rocsparseL21csrmvn_general_kernelILj256ELj16Eli21rocsparse_complex_numIfES2_S2_S2_EEvbT2_NS_24const_host_device_scalarIT6_EEPKT1_S9_PKS3_PKT3_PKT4_S6_PT5_21rocsparse_index_base_b.kd
    .uniform_work_group_size: 1
    .uses_dynamic_stack: false
    .vgpr_count:     32
    .vgpr_spill_count: 0
    .wavefront_size: 32
  - .args:
      - .offset:         0
        .size:           1
        .value_kind:     by_value
      - .offset:         4
        .size:           4
        .value_kind:     by_value
      - .offset:         8
        .size:           8
        .value_kind:     by_value
      - .address_space:  global
        .offset:         16
        .size:           8
        .value_kind:     global_buffer
      - .address_space:  global
        .offset:         24
        .size:           8
        .value_kind:     global_buffer
      - .actual_access:  read_only
        .address_space:  global
        .offset:         32
        .size:           8
        .value_kind:     global_buffer
      - .actual_access:  read_only
        .address_space:  global
        .offset:         40
        .size:           8
        .value_kind:     global_buffer
      - .actual_access:  read_only
        .address_space:  global
        .offset:         48
        .size:           8
        .value_kind:     global_buffer
      - .offset:         56
        .size:           8
        .value_kind:     by_value
      - .address_space:  global
        .offset:         64
        .size:           8
        .value_kind:     global_buffer
      - .offset:         72
        .size:           4
        .value_kind:     by_value
      - .offset:         76
        .size:           1
        .value_kind:     by_value
      - .offset:         80
        .size:           4
        .value_kind:     hidden_block_count_x
      - .offset:         84
        .size:           4
        .value_kind:     hidden_block_count_y
      - .offset:         88
        .size:           4
        .value_kind:     hidden_block_count_z
      - .offset:         92
        .size:           2
        .value_kind:     hidden_group_size_x
      - .offset:         94
        .size:           2
        .value_kind:     hidden_group_size_y
      - .offset:         96
        .size:           2
        .value_kind:     hidden_group_size_z
      - .offset:         98
        .size:           2
        .value_kind:     hidden_remainder_x
      - .offset:         100
        .size:           2
        .value_kind:     hidden_remainder_y
      - .offset:         102
        .size:           2
        .value_kind:     hidden_remainder_z
      - .offset:         120
        .size:           8
        .value_kind:     hidden_global_offset_x
      - .offset:         128
        .size:           8
        .value_kind:     hidden_global_offset_y
      - .offset:         136
        .size:           8
        .value_kind:     hidden_global_offset_z
      - .offset:         144
        .size:           2
        .value_kind:     hidden_grid_dims
    .group_segment_fixed_size: 0
    .kernarg_segment_align: 8
    .kernarg_segment_size: 336
    .language:       OpenCL C
    .language_version:
      - 2
      - 0
    .max_flat_workgroup_size: 256
    .name:           _ZN9rocsparseL21csrmvn_general_kernelILj256ELj32Eli21rocsparse_complex_numIfES2_S2_S2_EEvbT2_NS_24const_host_device_scalarIT6_EEPKT1_S9_PKS3_PKT3_PKT4_S6_PT5_21rocsparse_index_base_b
    .private_segment_fixed_size: 0
    .sgpr_count:     24
    .sgpr_spill_count: 0
    .symbol:         _ZN9rocsparseL21csrmvn_general_kernelILj256ELj32Eli21rocsparse_complex_numIfES2_S2_S2_EEvbT2_NS_24const_host_device_scalarIT6_EEPKT1_S9_PKS3_PKT3_PKT4_S6_PT5_21rocsparse_index_base_b.kd
    .uniform_work_group_size: 1
    .uses_dynamic_stack: false
    .vgpr_count:     34
    .vgpr_spill_count: 0
    .wavefront_size: 32
  - .args:
      - .offset:         0
        .size:           1
        .value_kind:     by_value
      - .offset:         4
        .size:           4
        .value_kind:     by_value
      - .offset:         8
        .size:           8
        .value_kind:     by_value
      - .address_space:  global
        .offset:         16
        .size:           8
        .value_kind:     global_buffer
      - .address_space:  global
        .offset:         24
        .size:           8
        .value_kind:     global_buffer
      - .actual_access:  read_only
        .address_space:  global
        .offset:         32
        .size:           8
        .value_kind:     global_buffer
      - .actual_access:  read_only
        .address_space:  global
        .offset:         40
        .size:           8
        .value_kind:     global_buffer
      - .actual_access:  read_only
        .address_space:  global
        .offset:         48
        .size:           8
        .value_kind:     global_buffer
      - .offset:         56
        .size:           8
        .value_kind:     by_value
      - .address_space:  global
        .offset:         64
        .size:           8
        .value_kind:     global_buffer
      - .offset:         72
        .size:           4
        .value_kind:     by_value
      - .offset:         76
        .size:           1
        .value_kind:     by_value
      - .offset:         80
        .size:           4
        .value_kind:     hidden_block_count_x
      - .offset:         84
        .size:           4
        .value_kind:     hidden_block_count_y
      - .offset:         88
        .size:           4
        .value_kind:     hidden_block_count_z
      - .offset:         92
        .size:           2
        .value_kind:     hidden_group_size_x
      - .offset:         94
        .size:           2
        .value_kind:     hidden_group_size_y
      - .offset:         96
        .size:           2
        .value_kind:     hidden_group_size_z
      - .offset:         98
        .size:           2
        .value_kind:     hidden_remainder_x
      - .offset:         100
        .size:           2
        .value_kind:     hidden_remainder_y
      - .offset:         102
        .size:           2
        .value_kind:     hidden_remainder_z
      - .offset:         120
        .size:           8
        .value_kind:     hidden_global_offset_x
      - .offset:         128
        .size:           8
        .value_kind:     hidden_global_offset_y
      - .offset:         136
        .size:           8
        .value_kind:     hidden_global_offset_z
      - .offset:         144
        .size:           2
        .value_kind:     hidden_grid_dims
    .group_segment_fixed_size: 0
    .kernarg_segment_align: 8
    .kernarg_segment_size: 336
    .language:       OpenCL C
    .language_version:
      - 2
      - 0
    .max_flat_workgroup_size: 256
    .name:           _ZN9rocsparseL21csrmvn_general_kernelILj256ELj64Eli21rocsparse_complex_numIfES2_S2_S2_EEvbT2_NS_24const_host_device_scalarIT6_EEPKT1_S9_PKS3_PKT3_PKT4_S6_PT5_21rocsparse_index_base_b
    .private_segment_fixed_size: 0
    .sgpr_count:     24
    .sgpr_spill_count: 0
    .symbol:         _ZN9rocsparseL21csrmvn_general_kernelILj256ELj64Eli21rocsparse_complex_numIfES2_S2_S2_EEvbT2_NS_24const_host_device_scalarIT6_EEPKT1_S9_PKS3_PKT3_PKT4_S6_PT5_21rocsparse_index_base_b.kd
    .uniform_work_group_size: 1
    .uses_dynamic_stack: false
    .vgpr_count:     34
    .vgpr_spill_count: 0
    .wavefront_size: 32
  - .args:
      - .offset:         0
        .size:           1
        .value_kind:     by_value
      - .offset:         1
        .size:           1
        .value_kind:     by_value
      - .offset:         4
        .size:           4
        .value_kind:     by_value
      - .offset:         8
        .size:           8
        .value_kind:     by_value
      - .address_space:  global
        .offset:         16
        .size:           8
        .value_kind:     global_buffer
      - .address_space:  global
        .offset:         24
        .size:           8
        .value_kind:     global_buffer
      - .actual_access:  read_only
        .address_space:  global
        .offset:         32
        .size:           8
        .value_kind:     global_buffer
      - .actual_access:  read_only
        .address_space:  global
        .offset:         40
        .size:           8
        .value_kind:     global_buffer
      - .actual_access:  read_only
        .address_space:  global
        .offset:         48
        .size:           8
        .value_kind:     global_buffer
      - .address_space:  global
        .offset:         56
        .size:           8
        .value_kind:     global_buffer
      - .offset:         64
        .size:           4
        .value_kind:     by_value
      - .offset:         68
        .size:           1
        .value_kind:     by_value
      - .offset:         72
        .size:           4
        .value_kind:     hidden_block_count_x
      - .offset:         76
        .size:           4
        .value_kind:     hidden_block_count_y
      - .offset:         80
        .size:           4
        .value_kind:     hidden_block_count_z
      - .offset:         84
        .size:           2
        .value_kind:     hidden_group_size_x
      - .offset:         86
        .size:           2
        .value_kind:     hidden_group_size_y
      - .offset:         88
        .size:           2
        .value_kind:     hidden_group_size_z
      - .offset:         90
        .size:           2
        .value_kind:     hidden_remainder_x
      - .offset:         92
        .size:           2
        .value_kind:     hidden_remainder_y
      - .offset:         94
        .size:           2
        .value_kind:     hidden_remainder_z
      - .offset:         112
        .size:           8
        .value_kind:     hidden_global_offset_x
      - .offset:         120
        .size:           8
        .value_kind:     hidden_global_offset_y
      - .offset:         128
        .size:           8
        .value_kind:     hidden_global_offset_z
      - .offset:         136
        .size:           2
        .value_kind:     hidden_grid_dims
    .group_segment_fixed_size: 0
    .kernarg_segment_align: 8
    .kernarg_segment_size: 328
    .language:       OpenCL C
    .language_version:
      - 2
      - 0
    .max_flat_workgroup_size: 256
    .name:           _ZN9rocsparseL21csrmvt_general_kernelILj256ELj4Eli21rocsparse_complex_numIfES2_S2_S2_EEvbbT2_NS_24const_host_device_scalarIT6_EEPKT1_S9_PKS3_PKT3_PKT4_PT5_21rocsparse_index_base_b
    .private_segment_fixed_size: 0
    .sgpr_count:     26
    .sgpr_spill_count: 0
    .symbol:         _ZN9rocsparseL21csrmvt_general_kernelILj256ELj4Eli21rocsparse_complex_numIfES2_S2_S2_EEvbbT2_NS_24const_host_device_scalarIT6_EEPKT1_S9_PKS3_PKT3_PKT4_PT5_21rocsparse_index_base_b.kd
    .uniform_work_group_size: 1
    .uses_dynamic_stack: false
    .vgpr_count:     22
    .vgpr_spill_count: 0
    .wavefront_size: 32
  - .args:
      - .offset:         0
        .size:           1
        .value_kind:     by_value
      - .offset:         1
        .size:           1
        .value_kind:     by_value
      - .offset:         4
        .size:           4
        .value_kind:     by_value
      - .offset:         8
        .size:           8
        .value_kind:     by_value
      - .address_space:  global
        .offset:         16
        .size:           8
        .value_kind:     global_buffer
      - .address_space:  global
        .offset:         24
        .size:           8
        .value_kind:     global_buffer
      - .actual_access:  read_only
        .address_space:  global
        .offset:         32
        .size:           8
        .value_kind:     global_buffer
      - .actual_access:  read_only
        .address_space:  global
        .offset:         40
        .size:           8
        .value_kind:     global_buffer
      - .actual_access:  read_only
        .address_space:  global
        .offset:         48
        .size:           8
        .value_kind:     global_buffer
      - .address_space:  global
        .offset:         56
        .size:           8
        .value_kind:     global_buffer
      - .offset:         64
        .size:           4
        .value_kind:     by_value
      - .offset:         68
        .size:           1
        .value_kind:     by_value
      - .offset:         72
        .size:           4
        .value_kind:     hidden_block_count_x
      - .offset:         76
        .size:           4
        .value_kind:     hidden_block_count_y
      - .offset:         80
        .size:           4
        .value_kind:     hidden_block_count_z
      - .offset:         84
        .size:           2
        .value_kind:     hidden_group_size_x
      - .offset:         86
        .size:           2
        .value_kind:     hidden_group_size_y
      - .offset:         88
        .size:           2
        .value_kind:     hidden_group_size_z
      - .offset:         90
        .size:           2
        .value_kind:     hidden_remainder_x
      - .offset:         92
        .size:           2
        .value_kind:     hidden_remainder_y
      - .offset:         94
        .size:           2
        .value_kind:     hidden_remainder_z
      - .offset:         112
        .size:           8
        .value_kind:     hidden_global_offset_x
      - .offset:         120
        .size:           8
        .value_kind:     hidden_global_offset_y
      - .offset:         128
        .size:           8
        .value_kind:     hidden_global_offset_z
      - .offset:         136
        .size:           2
        .value_kind:     hidden_grid_dims
    .group_segment_fixed_size: 0
    .kernarg_segment_align: 8
    .kernarg_segment_size: 328
    .language:       OpenCL C
    .language_version:
      - 2
      - 0
    .max_flat_workgroup_size: 256
    .name:           _ZN9rocsparseL21csrmvt_general_kernelILj256ELj8Eli21rocsparse_complex_numIfES2_S2_S2_EEvbbT2_NS_24const_host_device_scalarIT6_EEPKT1_S9_PKS3_PKT3_PKT4_PT5_21rocsparse_index_base_b
    .private_segment_fixed_size: 0
    .sgpr_count:     26
    .sgpr_spill_count: 0
    .symbol:         _ZN9rocsparseL21csrmvt_general_kernelILj256ELj8Eli21rocsparse_complex_numIfES2_S2_S2_EEvbbT2_NS_24const_host_device_scalarIT6_EEPKT1_S9_PKS3_PKT3_PKT4_PT5_21rocsparse_index_base_b.kd
    .uniform_work_group_size: 1
    .uses_dynamic_stack: false
    .vgpr_count:     22
    .vgpr_spill_count: 0
    .wavefront_size: 32
  - .args:
      - .offset:         0
        .size:           1
        .value_kind:     by_value
      - .offset:         1
        .size:           1
        .value_kind:     by_value
      - .offset:         4
        .size:           4
        .value_kind:     by_value
      - .offset:         8
        .size:           8
        .value_kind:     by_value
      - .address_space:  global
        .offset:         16
        .size:           8
        .value_kind:     global_buffer
      - .address_space:  global
        .offset:         24
        .size:           8
        .value_kind:     global_buffer
      - .actual_access:  read_only
        .address_space:  global
        .offset:         32
        .size:           8
        .value_kind:     global_buffer
      - .actual_access:  read_only
        .address_space:  global
        .offset:         40
        .size:           8
        .value_kind:     global_buffer
      - .actual_access:  read_only
        .address_space:  global
        .offset:         48
        .size:           8
        .value_kind:     global_buffer
      - .address_space:  global
        .offset:         56
        .size:           8
        .value_kind:     global_buffer
      - .offset:         64
        .size:           4
        .value_kind:     by_value
      - .offset:         68
        .size:           1
        .value_kind:     by_value
      - .offset:         72
        .size:           4
        .value_kind:     hidden_block_count_x
      - .offset:         76
        .size:           4
        .value_kind:     hidden_block_count_y
      - .offset:         80
        .size:           4
        .value_kind:     hidden_block_count_z
      - .offset:         84
        .size:           2
        .value_kind:     hidden_group_size_x
      - .offset:         86
        .size:           2
        .value_kind:     hidden_group_size_y
      - .offset:         88
        .size:           2
        .value_kind:     hidden_group_size_z
      - .offset:         90
        .size:           2
        .value_kind:     hidden_remainder_x
      - .offset:         92
        .size:           2
        .value_kind:     hidden_remainder_y
      - .offset:         94
        .size:           2
        .value_kind:     hidden_remainder_z
      - .offset:         112
        .size:           8
        .value_kind:     hidden_global_offset_x
      - .offset:         120
        .size:           8
        .value_kind:     hidden_global_offset_y
      - .offset:         128
        .size:           8
        .value_kind:     hidden_global_offset_z
      - .offset:         136
        .size:           2
        .value_kind:     hidden_grid_dims
    .group_segment_fixed_size: 0
    .kernarg_segment_align: 8
    .kernarg_segment_size: 328
    .language:       OpenCL C
    .language_version:
      - 2
      - 0
    .max_flat_workgroup_size: 256
    .name:           _ZN9rocsparseL21csrmvt_general_kernelILj256ELj16Eli21rocsparse_complex_numIfES2_S2_S2_EEvbbT2_NS_24const_host_device_scalarIT6_EEPKT1_S9_PKS3_PKT3_PKT4_PT5_21rocsparse_index_base_b
    .private_segment_fixed_size: 0
    .sgpr_count:     26
    .sgpr_spill_count: 0
    .symbol:         _ZN9rocsparseL21csrmvt_general_kernelILj256ELj16Eli21rocsparse_complex_numIfES2_S2_S2_EEvbbT2_NS_24const_host_device_scalarIT6_EEPKT1_S9_PKS3_PKT3_PKT4_PT5_21rocsparse_index_base_b.kd
    .uniform_work_group_size: 1
    .uses_dynamic_stack: false
    .vgpr_count:     22
    .vgpr_spill_count: 0
    .wavefront_size: 32
  - .args:
      - .offset:         0
        .size:           1
        .value_kind:     by_value
      - .offset:         1
        .size:           1
        .value_kind:     by_value
      - .offset:         4
        .size:           4
        .value_kind:     by_value
      - .offset:         8
        .size:           8
        .value_kind:     by_value
      - .address_space:  global
        .offset:         16
        .size:           8
        .value_kind:     global_buffer
      - .address_space:  global
        .offset:         24
        .size:           8
        .value_kind:     global_buffer
      - .actual_access:  read_only
        .address_space:  global
        .offset:         32
        .size:           8
        .value_kind:     global_buffer
      - .actual_access:  read_only
        .address_space:  global
        .offset:         40
        .size:           8
        .value_kind:     global_buffer
      - .actual_access:  read_only
        .address_space:  global
        .offset:         48
        .size:           8
        .value_kind:     global_buffer
      - .address_space:  global
        .offset:         56
        .size:           8
        .value_kind:     global_buffer
      - .offset:         64
        .size:           4
        .value_kind:     by_value
      - .offset:         68
        .size:           1
        .value_kind:     by_value
      - .offset:         72
        .size:           4
        .value_kind:     hidden_block_count_x
      - .offset:         76
        .size:           4
        .value_kind:     hidden_block_count_y
      - .offset:         80
        .size:           4
        .value_kind:     hidden_block_count_z
      - .offset:         84
        .size:           2
        .value_kind:     hidden_group_size_x
      - .offset:         86
        .size:           2
        .value_kind:     hidden_group_size_y
      - .offset:         88
        .size:           2
        .value_kind:     hidden_group_size_z
      - .offset:         90
        .size:           2
        .value_kind:     hidden_remainder_x
      - .offset:         92
        .size:           2
        .value_kind:     hidden_remainder_y
      - .offset:         94
        .size:           2
        .value_kind:     hidden_remainder_z
      - .offset:         112
        .size:           8
        .value_kind:     hidden_global_offset_x
      - .offset:         120
        .size:           8
        .value_kind:     hidden_global_offset_y
      - .offset:         128
        .size:           8
        .value_kind:     hidden_global_offset_z
      - .offset:         136
        .size:           2
        .value_kind:     hidden_grid_dims
    .group_segment_fixed_size: 0
    .kernarg_segment_align: 8
    .kernarg_segment_size: 328
    .language:       OpenCL C
    .language_version:
      - 2
      - 0
    .max_flat_workgroup_size: 256
    .name:           _ZN9rocsparseL21csrmvt_general_kernelILj256ELj32Eli21rocsparse_complex_numIfES2_S2_S2_EEvbbT2_NS_24const_host_device_scalarIT6_EEPKT1_S9_PKS3_PKT3_PKT4_PT5_21rocsparse_index_base_b
    .private_segment_fixed_size: 0
    .sgpr_count:     26
    .sgpr_spill_count: 0
    .symbol:         _ZN9rocsparseL21csrmvt_general_kernelILj256ELj32Eli21rocsparse_complex_numIfES2_S2_S2_EEvbbT2_NS_24const_host_device_scalarIT6_EEPKT1_S9_PKS3_PKT3_PKT4_PT5_21rocsparse_index_base_b.kd
    .uniform_work_group_size: 1
    .uses_dynamic_stack: false
    .vgpr_count:     22
    .vgpr_spill_count: 0
    .wavefront_size: 32
  - .args:
      - .offset:         0
        .size:           1
        .value_kind:     by_value
      - .offset:         1
        .size:           1
        .value_kind:     by_value
      - .offset:         4
        .size:           4
        .value_kind:     by_value
      - .offset:         8
        .size:           8
        .value_kind:     by_value
      - .address_space:  global
        .offset:         16
        .size:           8
        .value_kind:     global_buffer
      - .address_space:  global
        .offset:         24
        .size:           8
        .value_kind:     global_buffer
      - .actual_access:  read_only
        .address_space:  global
        .offset:         32
        .size:           8
        .value_kind:     global_buffer
      - .actual_access:  read_only
        .address_space:  global
        .offset:         40
        .size:           8
        .value_kind:     global_buffer
      - .actual_access:  read_only
        .address_space:  global
        .offset:         48
        .size:           8
        .value_kind:     global_buffer
      - .address_space:  global
        .offset:         56
        .size:           8
        .value_kind:     global_buffer
      - .offset:         64
        .size:           4
        .value_kind:     by_value
      - .offset:         68
        .size:           1
        .value_kind:     by_value
      - .offset:         72
        .size:           4
        .value_kind:     hidden_block_count_x
      - .offset:         76
        .size:           4
        .value_kind:     hidden_block_count_y
      - .offset:         80
        .size:           4
        .value_kind:     hidden_block_count_z
      - .offset:         84
        .size:           2
        .value_kind:     hidden_group_size_x
      - .offset:         86
        .size:           2
        .value_kind:     hidden_group_size_y
      - .offset:         88
        .size:           2
        .value_kind:     hidden_group_size_z
      - .offset:         90
        .size:           2
        .value_kind:     hidden_remainder_x
      - .offset:         92
        .size:           2
        .value_kind:     hidden_remainder_y
      - .offset:         94
        .size:           2
        .value_kind:     hidden_remainder_z
      - .offset:         112
        .size:           8
        .value_kind:     hidden_global_offset_x
      - .offset:         120
        .size:           8
        .value_kind:     hidden_global_offset_y
      - .offset:         128
        .size:           8
        .value_kind:     hidden_global_offset_z
      - .offset:         136
        .size:           2
        .value_kind:     hidden_grid_dims
    .group_segment_fixed_size: 0
    .kernarg_segment_align: 8
    .kernarg_segment_size: 328
    .language:       OpenCL C
    .language_version:
      - 2
      - 0
    .max_flat_workgroup_size: 256
    .name:           _ZN9rocsparseL21csrmvt_general_kernelILj256ELj64Eli21rocsparse_complex_numIfES2_S2_S2_EEvbbT2_NS_24const_host_device_scalarIT6_EEPKT1_S9_PKS3_PKT3_PKT4_PT5_21rocsparse_index_base_b
    .private_segment_fixed_size: 0
    .sgpr_count:     26
    .sgpr_spill_count: 0
    .symbol:         _ZN9rocsparseL21csrmvt_general_kernelILj256ELj64Eli21rocsparse_complex_numIfES2_S2_S2_EEvbbT2_NS_24const_host_device_scalarIT6_EEPKT1_S9_PKS3_PKT3_PKT4_PT5_21rocsparse_index_base_b.kd
    .uniform_work_group_size: 1
    .uses_dynamic_stack: false
    .vgpr_count:     22
    .vgpr_spill_count: 0
    .wavefront_size: 32
  - .args:
      - .offset:         0
        .size:           1
        .value_kind:     by_value
      - .offset:         8
        .size:           8
        .value_kind:     by_value
      - .offset:         16
        .size:           8
        .value_kind:     by_value
      - .address_space:  global
        .offset:         24
        .size:           8
        .value_kind:     global_buffer
      - .address_space:  global
        .offset:         32
        .size:           8
        .value_kind:     global_buffer
      - .actual_access:  read_only
        .address_space:  global
        .offset:         40
        .size:           8
        .value_kind:     global_buffer
      - .actual_access:  read_only
        .address_space:  global
        .offset:         48
        .size:           8
        .value_kind:     global_buffer
      - .actual_access:  read_only
        .address_space:  global
        .offset:         56
        .size:           8
        .value_kind:     global_buffer
      - .offset:         64
        .size:           8
        .value_kind:     by_value
      - .address_space:  global
        .offset:         72
        .size:           8
        .value_kind:     global_buffer
      - .offset:         80
        .size:           4
        .value_kind:     by_value
      - .offset:         84
        .size:           1
        .value_kind:     by_value
      - .offset:         88
        .size:           4
        .value_kind:     hidden_block_count_x
      - .offset:         92
        .size:           4
        .value_kind:     hidden_block_count_y
      - .offset:         96
        .size:           4
        .value_kind:     hidden_block_count_z
      - .offset:         100
        .size:           2
        .value_kind:     hidden_group_size_x
      - .offset:         102
        .size:           2
        .value_kind:     hidden_group_size_y
      - .offset:         104
        .size:           2
        .value_kind:     hidden_group_size_z
      - .offset:         106
        .size:           2
        .value_kind:     hidden_remainder_x
      - .offset:         108
        .size:           2
        .value_kind:     hidden_remainder_y
      - .offset:         110
        .size:           2
        .value_kind:     hidden_remainder_z
      - .offset:         128
        .size:           8
        .value_kind:     hidden_global_offset_x
      - .offset:         136
        .size:           8
        .value_kind:     hidden_global_offset_y
      - .offset:         144
        .size:           8
        .value_kind:     hidden_global_offset_z
      - .offset:         152
        .size:           2
        .value_kind:     hidden_grid_dims
    .group_segment_fixed_size: 0
    .kernarg_segment_align: 8
    .kernarg_segment_size: 344
    .language:       OpenCL C
    .language_version:
      - 2
      - 0
    .max_flat_workgroup_size: 256
    .name:           _ZN9rocsparseL21csrmvn_general_kernelILj256ELj2Ell21rocsparse_complex_numIfES2_S2_S2_EEvbT2_NS_24const_host_device_scalarIT6_EEPKT1_S9_PKS3_PKT3_PKT4_S6_PT5_21rocsparse_index_base_b
    .private_segment_fixed_size: 0
    .sgpr_count:     26
    .sgpr_spill_count: 0
    .symbol:         _ZN9rocsparseL21csrmvn_general_kernelILj256ELj2Ell21rocsparse_complex_numIfES2_S2_S2_EEvbT2_NS_24const_host_device_scalarIT6_EEPKT1_S9_PKS3_PKT3_PKT4_S6_PT5_21rocsparse_index_base_b.kd
    .uniform_work_group_size: 1
    .uses_dynamic_stack: false
    .vgpr_count:     30
    .vgpr_spill_count: 0
    .wavefront_size: 32
  - .args:
      - .offset:         0
        .size:           1
        .value_kind:     by_value
      - .offset:         8
        .size:           8
        .value_kind:     by_value
      - .offset:         16
        .size:           8
        .value_kind:     by_value
      - .address_space:  global
        .offset:         24
        .size:           8
        .value_kind:     global_buffer
      - .address_space:  global
        .offset:         32
        .size:           8
        .value_kind:     global_buffer
      - .actual_access:  read_only
        .address_space:  global
        .offset:         40
        .size:           8
        .value_kind:     global_buffer
      - .actual_access:  read_only
        .address_space:  global
        .offset:         48
        .size:           8
        .value_kind:     global_buffer
      - .actual_access:  read_only
        .address_space:  global
        .offset:         56
        .size:           8
        .value_kind:     global_buffer
      - .offset:         64
        .size:           8
        .value_kind:     by_value
      - .address_space:  global
        .offset:         72
        .size:           8
        .value_kind:     global_buffer
      - .offset:         80
        .size:           4
        .value_kind:     by_value
      - .offset:         84
        .size:           1
        .value_kind:     by_value
      - .offset:         88
        .size:           4
        .value_kind:     hidden_block_count_x
      - .offset:         92
        .size:           4
        .value_kind:     hidden_block_count_y
      - .offset:         96
        .size:           4
        .value_kind:     hidden_block_count_z
      - .offset:         100
        .size:           2
        .value_kind:     hidden_group_size_x
      - .offset:         102
        .size:           2
        .value_kind:     hidden_group_size_y
      - .offset:         104
        .size:           2
        .value_kind:     hidden_group_size_z
      - .offset:         106
        .size:           2
        .value_kind:     hidden_remainder_x
      - .offset:         108
        .size:           2
        .value_kind:     hidden_remainder_y
      - .offset:         110
        .size:           2
        .value_kind:     hidden_remainder_z
      - .offset:         128
        .size:           8
        .value_kind:     hidden_global_offset_x
      - .offset:         136
        .size:           8
        .value_kind:     hidden_global_offset_y
      - .offset:         144
        .size:           8
        .value_kind:     hidden_global_offset_z
      - .offset:         152
        .size:           2
        .value_kind:     hidden_grid_dims
    .group_segment_fixed_size: 0
    .kernarg_segment_align: 8
    .kernarg_segment_size: 344
    .language:       OpenCL C
    .language_version:
      - 2
      - 0
    .max_flat_workgroup_size: 256
    .name:           _ZN9rocsparseL21csrmvn_general_kernelILj256ELj4Ell21rocsparse_complex_numIfES2_S2_S2_EEvbT2_NS_24const_host_device_scalarIT6_EEPKT1_S9_PKS3_PKT3_PKT4_S6_PT5_21rocsparse_index_base_b
    .private_segment_fixed_size: 0
    .sgpr_count:     26
    .sgpr_spill_count: 0
    .symbol:         _ZN9rocsparseL21csrmvn_general_kernelILj256ELj4Ell21rocsparse_complex_numIfES2_S2_S2_EEvbT2_NS_24const_host_device_scalarIT6_EEPKT1_S9_PKS3_PKT3_PKT4_S6_PT5_21rocsparse_index_base_b.kd
    .uniform_work_group_size: 1
    .uses_dynamic_stack: false
    .vgpr_count:     30
    .vgpr_spill_count: 0
    .wavefront_size: 32
  - .args:
      - .offset:         0
        .size:           1
        .value_kind:     by_value
      - .offset:         8
        .size:           8
        .value_kind:     by_value
      - .offset:         16
        .size:           8
        .value_kind:     by_value
      - .address_space:  global
        .offset:         24
        .size:           8
        .value_kind:     global_buffer
      - .address_space:  global
        .offset:         32
        .size:           8
        .value_kind:     global_buffer
      - .actual_access:  read_only
        .address_space:  global
        .offset:         40
        .size:           8
        .value_kind:     global_buffer
      - .actual_access:  read_only
        .address_space:  global
        .offset:         48
        .size:           8
        .value_kind:     global_buffer
      - .actual_access:  read_only
        .address_space:  global
        .offset:         56
        .size:           8
        .value_kind:     global_buffer
      - .offset:         64
        .size:           8
        .value_kind:     by_value
      - .address_space:  global
        .offset:         72
        .size:           8
        .value_kind:     global_buffer
      - .offset:         80
        .size:           4
        .value_kind:     by_value
      - .offset:         84
        .size:           1
        .value_kind:     by_value
      - .offset:         88
        .size:           4
        .value_kind:     hidden_block_count_x
      - .offset:         92
        .size:           4
        .value_kind:     hidden_block_count_y
      - .offset:         96
        .size:           4
        .value_kind:     hidden_block_count_z
      - .offset:         100
        .size:           2
        .value_kind:     hidden_group_size_x
      - .offset:         102
        .size:           2
        .value_kind:     hidden_group_size_y
      - .offset:         104
        .size:           2
        .value_kind:     hidden_group_size_z
      - .offset:         106
        .size:           2
        .value_kind:     hidden_remainder_x
      - .offset:         108
        .size:           2
        .value_kind:     hidden_remainder_y
      - .offset:         110
        .size:           2
        .value_kind:     hidden_remainder_z
      - .offset:         128
        .size:           8
        .value_kind:     hidden_global_offset_x
      - .offset:         136
        .size:           8
        .value_kind:     hidden_global_offset_y
      - .offset:         144
        .size:           8
        .value_kind:     hidden_global_offset_z
      - .offset:         152
        .size:           2
        .value_kind:     hidden_grid_dims
    .group_segment_fixed_size: 0
    .kernarg_segment_align: 8
    .kernarg_segment_size: 344
    .language:       OpenCL C
    .language_version:
      - 2
      - 0
    .max_flat_workgroup_size: 256
    .name:           _ZN9rocsparseL21csrmvn_general_kernelILj256ELj8Ell21rocsparse_complex_numIfES2_S2_S2_EEvbT2_NS_24const_host_device_scalarIT6_EEPKT1_S9_PKS3_PKT3_PKT4_S6_PT5_21rocsparse_index_base_b
    .private_segment_fixed_size: 0
    .sgpr_count:     26
    .sgpr_spill_count: 0
    .symbol:         _ZN9rocsparseL21csrmvn_general_kernelILj256ELj8Ell21rocsparse_complex_numIfES2_S2_S2_EEvbT2_NS_24const_host_device_scalarIT6_EEPKT1_S9_PKS3_PKT3_PKT4_S6_PT5_21rocsparse_index_base_b.kd
    .uniform_work_group_size: 1
    .uses_dynamic_stack: false
    .vgpr_count:     32
    .vgpr_spill_count: 0
    .wavefront_size: 32
  - .args:
      - .offset:         0
        .size:           1
        .value_kind:     by_value
      - .offset:         8
        .size:           8
        .value_kind:     by_value
      - .offset:         16
        .size:           8
        .value_kind:     by_value
      - .address_space:  global
        .offset:         24
        .size:           8
        .value_kind:     global_buffer
      - .address_space:  global
        .offset:         32
        .size:           8
        .value_kind:     global_buffer
      - .actual_access:  read_only
        .address_space:  global
        .offset:         40
        .size:           8
        .value_kind:     global_buffer
      - .actual_access:  read_only
        .address_space:  global
        .offset:         48
        .size:           8
        .value_kind:     global_buffer
      - .actual_access:  read_only
        .address_space:  global
        .offset:         56
        .size:           8
        .value_kind:     global_buffer
      - .offset:         64
        .size:           8
        .value_kind:     by_value
      - .address_space:  global
        .offset:         72
        .size:           8
        .value_kind:     global_buffer
      - .offset:         80
        .size:           4
        .value_kind:     by_value
      - .offset:         84
        .size:           1
        .value_kind:     by_value
      - .offset:         88
        .size:           4
        .value_kind:     hidden_block_count_x
      - .offset:         92
        .size:           4
        .value_kind:     hidden_block_count_y
      - .offset:         96
        .size:           4
        .value_kind:     hidden_block_count_z
      - .offset:         100
        .size:           2
        .value_kind:     hidden_group_size_x
      - .offset:         102
        .size:           2
        .value_kind:     hidden_group_size_y
      - .offset:         104
        .size:           2
        .value_kind:     hidden_group_size_z
      - .offset:         106
        .size:           2
        .value_kind:     hidden_remainder_x
      - .offset:         108
        .size:           2
        .value_kind:     hidden_remainder_y
      - .offset:         110
        .size:           2
        .value_kind:     hidden_remainder_z
      - .offset:         128
        .size:           8
        .value_kind:     hidden_global_offset_x
      - .offset:         136
        .size:           8
        .value_kind:     hidden_global_offset_y
      - .offset:         144
        .size:           8
        .value_kind:     hidden_global_offset_z
      - .offset:         152
        .size:           2
        .value_kind:     hidden_grid_dims
    .group_segment_fixed_size: 0
    .kernarg_segment_align: 8
    .kernarg_segment_size: 344
    .language:       OpenCL C
    .language_version:
      - 2
      - 0
    .max_flat_workgroup_size: 256
    .name:           _ZN9rocsparseL21csrmvn_general_kernelILj256ELj16Ell21rocsparse_complex_numIfES2_S2_S2_EEvbT2_NS_24const_host_device_scalarIT6_EEPKT1_S9_PKS3_PKT3_PKT4_S6_PT5_21rocsparse_index_base_b
    .private_segment_fixed_size: 0
    .sgpr_count:     26
    .sgpr_spill_count: 0
    .symbol:         _ZN9rocsparseL21csrmvn_general_kernelILj256ELj16Ell21rocsparse_complex_numIfES2_S2_S2_EEvbT2_NS_24const_host_device_scalarIT6_EEPKT1_S9_PKS3_PKT3_PKT4_S6_PT5_21rocsparse_index_base_b.kd
    .uniform_work_group_size: 1
    .uses_dynamic_stack: false
    .vgpr_count:     32
    .vgpr_spill_count: 0
    .wavefront_size: 32
  - .args:
      - .offset:         0
        .size:           1
        .value_kind:     by_value
      - .offset:         8
        .size:           8
        .value_kind:     by_value
      - .offset:         16
        .size:           8
        .value_kind:     by_value
      - .address_space:  global
        .offset:         24
        .size:           8
        .value_kind:     global_buffer
      - .address_space:  global
        .offset:         32
        .size:           8
        .value_kind:     global_buffer
      - .actual_access:  read_only
        .address_space:  global
        .offset:         40
        .size:           8
        .value_kind:     global_buffer
      - .actual_access:  read_only
        .address_space:  global
        .offset:         48
        .size:           8
        .value_kind:     global_buffer
      - .actual_access:  read_only
        .address_space:  global
        .offset:         56
        .size:           8
        .value_kind:     global_buffer
      - .offset:         64
        .size:           8
        .value_kind:     by_value
      - .address_space:  global
        .offset:         72
        .size:           8
        .value_kind:     global_buffer
      - .offset:         80
        .size:           4
        .value_kind:     by_value
      - .offset:         84
        .size:           1
        .value_kind:     by_value
      - .offset:         88
        .size:           4
        .value_kind:     hidden_block_count_x
      - .offset:         92
        .size:           4
        .value_kind:     hidden_block_count_y
      - .offset:         96
        .size:           4
        .value_kind:     hidden_block_count_z
      - .offset:         100
        .size:           2
        .value_kind:     hidden_group_size_x
      - .offset:         102
        .size:           2
        .value_kind:     hidden_group_size_y
      - .offset:         104
        .size:           2
        .value_kind:     hidden_group_size_z
      - .offset:         106
        .size:           2
        .value_kind:     hidden_remainder_x
      - .offset:         108
        .size:           2
        .value_kind:     hidden_remainder_y
      - .offset:         110
        .size:           2
        .value_kind:     hidden_remainder_z
      - .offset:         128
        .size:           8
        .value_kind:     hidden_global_offset_x
      - .offset:         136
        .size:           8
        .value_kind:     hidden_global_offset_y
      - .offset:         144
        .size:           8
        .value_kind:     hidden_global_offset_z
      - .offset:         152
        .size:           2
        .value_kind:     hidden_grid_dims
    .group_segment_fixed_size: 0
    .kernarg_segment_align: 8
    .kernarg_segment_size: 344
    .language:       OpenCL C
    .language_version:
      - 2
      - 0
    .max_flat_workgroup_size: 256
    .name:           _ZN9rocsparseL21csrmvn_general_kernelILj256ELj32Ell21rocsparse_complex_numIfES2_S2_S2_EEvbT2_NS_24const_host_device_scalarIT6_EEPKT1_S9_PKS3_PKT3_PKT4_S6_PT5_21rocsparse_index_base_b
    .private_segment_fixed_size: 0
    .sgpr_count:     26
    .sgpr_spill_count: 0
    .symbol:         _ZN9rocsparseL21csrmvn_general_kernelILj256ELj32Ell21rocsparse_complex_numIfES2_S2_S2_EEvbT2_NS_24const_host_device_scalarIT6_EEPKT1_S9_PKS3_PKT3_PKT4_S6_PT5_21rocsparse_index_base_b.kd
    .uniform_work_group_size: 1
    .uses_dynamic_stack: false
    .vgpr_count:     34
    .vgpr_spill_count: 0
    .wavefront_size: 32
  - .args:
      - .offset:         0
        .size:           1
        .value_kind:     by_value
      - .offset:         8
        .size:           8
        .value_kind:     by_value
      - .offset:         16
        .size:           8
        .value_kind:     by_value
      - .address_space:  global
        .offset:         24
        .size:           8
        .value_kind:     global_buffer
      - .address_space:  global
        .offset:         32
        .size:           8
        .value_kind:     global_buffer
      - .actual_access:  read_only
        .address_space:  global
        .offset:         40
        .size:           8
        .value_kind:     global_buffer
      - .actual_access:  read_only
        .address_space:  global
        .offset:         48
        .size:           8
        .value_kind:     global_buffer
      - .actual_access:  read_only
        .address_space:  global
        .offset:         56
        .size:           8
        .value_kind:     global_buffer
      - .offset:         64
        .size:           8
        .value_kind:     by_value
      - .address_space:  global
        .offset:         72
        .size:           8
        .value_kind:     global_buffer
      - .offset:         80
        .size:           4
        .value_kind:     by_value
      - .offset:         84
        .size:           1
        .value_kind:     by_value
      - .offset:         88
        .size:           4
        .value_kind:     hidden_block_count_x
      - .offset:         92
        .size:           4
        .value_kind:     hidden_block_count_y
      - .offset:         96
        .size:           4
        .value_kind:     hidden_block_count_z
      - .offset:         100
        .size:           2
        .value_kind:     hidden_group_size_x
      - .offset:         102
        .size:           2
        .value_kind:     hidden_group_size_y
      - .offset:         104
        .size:           2
        .value_kind:     hidden_group_size_z
      - .offset:         106
        .size:           2
        .value_kind:     hidden_remainder_x
      - .offset:         108
        .size:           2
        .value_kind:     hidden_remainder_y
      - .offset:         110
        .size:           2
        .value_kind:     hidden_remainder_z
      - .offset:         128
        .size:           8
        .value_kind:     hidden_global_offset_x
      - .offset:         136
        .size:           8
        .value_kind:     hidden_global_offset_y
      - .offset:         144
        .size:           8
        .value_kind:     hidden_global_offset_z
      - .offset:         152
        .size:           2
        .value_kind:     hidden_grid_dims
    .group_segment_fixed_size: 0
    .kernarg_segment_align: 8
    .kernarg_segment_size: 344
    .language:       OpenCL C
    .language_version:
      - 2
      - 0
    .max_flat_workgroup_size: 256
    .name:           _ZN9rocsparseL21csrmvn_general_kernelILj256ELj64Ell21rocsparse_complex_numIfES2_S2_S2_EEvbT2_NS_24const_host_device_scalarIT6_EEPKT1_S9_PKS3_PKT3_PKT4_S6_PT5_21rocsparse_index_base_b
    .private_segment_fixed_size: 0
    .sgpr_count:     26
    .sgpr_spill_count: 0
    .symbol:         _ZN9rocsparseL21csrmvn_general_kernelILj256ELj64Ell21rocsparse_complex_numIfES2_S2_S2_EEvbT2_NS_24const_host_device_scalarIT6_EEPKT1_S9_PKS3_PKT3_PKT4_S6_PT5_21rocsparse_index_base_b.kd
    .uniform_work_group_size: 1
    .uses_dynamic_stack: false
    .vgpr_count:     34
    .vgpr_spill_count: 0
    .wavefront_size: 32
  - .args:
      - .offset:         0
        .size:           1
        .value_kind:     by_value
      - .offset:         1
        .size:           1
        .value_kind:     by_value
      - .offset:         8
        .size:           8
        .value_kind:     by_value
      - .offset:         16
        .size:           8
        .value_kind:     by_value
      - .address_space:  global
        .offset:         24
        .size:           8
        .value_kind:     global_buffer
      - .address_space:  global
        .offset:         32
        .size:           8
        .value_kind:     global_buffer
      - .actual_access:  read_only
        .address_space:  global
        .offset:         40
        .size:           8
        .value_kind:     global_buffer
      - .actual_access:  read_only
        .address_space:  global
        .offset:         48
        .size:           8
        .value_kind:     global_buffer
      - .actual_access:  read_only
        .address_space:  global
        .offset:         56
        .size:           8
        .value_kind:     global_buffer
      - .address_space:  global
        .offset:         64
        .size:           8
        .value_kind:     global_buffer
      - .offset:         72
        .size:           4
        .value_kind:     by_value
      - .offset:         76
        .size:           1
        .value_kind:     by_value
      - .offset:         80
        .size:           4
        .value_kind:     hidden_block_count_x
      - .offset:         84
        .size:           4
        .value_kind:     hidden_block_count_y
      - .offset:         88
        .size:           4
        .value_kind:     hidden_block_count_z
      - .offset:         92
        .size:           2
        .value_kind:     hidden_group_size_x
      - .offset:         94
        .size:           2
        .value_kind:     hidden_group_size_y
      - .offset:         96
        .size:           2
        .value_kind:     hidden_group_size_z
      - .offset:         98
        .size:           2
        .value_kind:     hidden_remainder_x
      - .offset:         100
        .size:           2
        .value_kind:     hidden_remainder_y
      - .offset:         102
        .size:           2
        .value_kind:     hidden_remainder_z
      - .offset:         120
        .size:           8
        .value_kind:     hidden_global_offset_x
      - .offset:         128
        .size:           8
        .value_kind:     hidden_global_offset_y
      - .offset:         136
        .size:           8
        .value_kind:     hidden_global_offset_z
      - .offset:         144
        .size:           2
        .value_kind:     hidden_grid_dims
    .group_segment_fixed_size: 0
    .kernarg_segment_align: 8
    .kernarg_segment_size: 336
    .language:       OpenCL C
    .language_version:
      - 2
      - 0
    .max_flat_workgroup_size: 256
    .name:           _ZN9rocsparseL21csrmvt_general_kernelILj256ELj4Ell21rocsparse_complex_numIfES2_S2_S2_EEvbbT2_NS_24const_host_device_scalarIT6_EEPKT1_S9_PKS3_PKT3_PKT4_PT5_21rocsparse_index_base_b
    .private_segment_fixed_size: 0
    .sgpr_count:     28
    .sgpr_spill_count: 0
    .symbol:         _ZN9rocsparseL21csrmvt_general_kernelILj256ELj4Ell21rocsparse_complex_numIfES2_S2_S2_EEvbbT2_NS_24const_host_device_scalarIT6_EEPKT1_S9_PKS3_PKT3_PKT4_PT5_21rocsparse_index_base_b.kd
    .uniform_work_group_size: 1
    .uses_dynamic_stack: false
    .vgpr_count:     24
    .vgpr_spill_count: 0
    .wavefront_size: 32
  - .args:
      - .offset:         0
        .size:           1
        .value_kind:     by_value
      - .offset:         1
        .size:           1
        .value_kind:     by_value
      - .offset:         8
        .size:           8
        .value_kind:     by_value
      - .offset:         16
        .size:           8
        .value_kind:     by_value
      - .address_space:  global
        .offset:         24
        .size:           8
        .value_kind:     global_buffer
      - .address_space:  global
        .offset:         32
        .size:           8
        .value_kind:     global_buffer
      - .actual_access:  read_only
        .address_space:  global
        .offset:         40
        .size:           8
        .value_kind:     global_buffer
      - .actual_access:  read_only
        .address_space:  global
        .offset:         48
        .size:           8
        .value_kind:     global_buffer
      - .actual_access:  read_only
        .address_space:  global
        .offset:         56
        .size:           8
        .value_kind:     global_buffer
      - .address_space:  global
        .offset:         64
        .size:           8
        .value_kind:     global_buffer
      - .offset:         72
        .size:           4
        .value_kind:     by_value
      - .offset:         76
        .size:           1
        .value_kind:     by_value
      - .offset:         80
        .size:           4
        .value_kind:     hidden_block_count_x
      - .offset:         84
        .size:           4
        .value_kind:     hidden_block_count_y
      - .offset:         88
        .size:           4
        .value_kind:     hidden_block_count_z
      - .offset:         92
        .size:           2
        .value_kind:     hidden_group_size_x
      - .offset:         94
        .size:           2
        .value_kind:     hidden_group_size_y
      - .offset:         96
        .size:           2
        .value_kind:     hidden_group_size_z
      - .offset:         98
        .size:           2
        .value_kind:     hidden_remainder_x
      - .offset:         100
        .size:           2
        .value_kind:     hidden_remainder_y
      - .offset:         102
        .size:           2
        .value_kind:     hidden_remainder_z
      - .offset:         120
        .size:           8
        .value_kind:     hidden_global_offset_x
      - .offset:         128
        .size:           8
        .value_kind:     hidden_global_offset_y
      - .offset:         136
        .size:           8
        .value_kind:     hidden_global_offset_z
      - .offset:         144
        .size:           2
        .value_kind:     hidden_grid_dims
    .group_segment_fixed_size: 0
    .kernarg_segment_align: 8
    .kernarg_segment_size: 336
    .language:       OpenCL C
    .language_version:
      - 2
      - 0
    .max_flat_workgroup_size: 256
    .name:           _ZN9rocsparseL21csrmvt_general_kernelILj256ELj8Ell21rocsparse_complex_numIfES2_S2_S2_EEvbbT2_NS_24const_host_device_scalarIT6_EEPKT1_S9_PKS3_PKT3_PKT4_PT5_21rocsparse_index_base_b
    .private_segment_fixed_size: 0
    .sgpr_count:     28
    .sgpr_spill_count: 0
    .symbol:         _ZN9rocsparseL21csrmvt_general_kernelILj256ELj8Ell21rocsparse_complex_numIfES2_S2_S2_EEvbbT2_NS_24const_host_device_scalarIT6_EEPKT1_S9_PKS3_PKT3_PKT4_PT5_21rocsparse_index_base_b.kd
    .uniform_work_group_size: 1
    .uses_dynamic_stack: false
    .vgpr_count:     24
    .vgpr_spill_count: 0
    .wavefront_size: 32
  - .args:
      - .offset:         0
        .size:           1
        .value_kind:     by_value
      - .offset:         1
        .size:           1
        .value_kind:     by_value
      - .offset:         8
        .size:           8
        .value_kind:     by_value
      - .offset:         16
        .size:           8
        .value_kind:     by_value
      - .address_space:  global
        .offset:         24
        .size:           8
        .value_kind:     global_buffer
      - .address_space:  global
        .offset:         32
        .size:           8
        .value_kind:     global_buffer
      - .actual_access:  read_only
        .address_space:  global
        .offset:         40
        .size:           8
        .value_kind:     global_buffer
      - .actual_access:  read_only
        .address_space:  global
        .offset:         48
        .size:           8
        .value_kind:     global_buffer
      - .actual_access:  read_only
        .address_space:  global
        .offset:         56
        .size:           8
        .value_kind:     global_buffer
      - .address_space:  global
        .offset:         64
        .size:           8
        .value_kind:     global_buffer
      - .offset:         72
        .size:           4
        .value_kind:     by_value
      - .offset:         76
        .size:           1
        .value_kind:     by_value
      - .offset:         80
        .size:           4
        .value_kind:     hidden_block_count_x
      - .offset:         84
        .size:           4
        .value_kind:     hidden_block_count_y
      - .offset:         88
        .size:           4
        .value_kind:     hidden_block_count_z
      - .offset:         92
        .size:           2
        .value_kind:     hidden_group_size_x
      - .offset:         94
        .size:           2
        .value_kind:     hidden_group_size_y
      - .offset:         96
        .size:           2
        .value_kind:     hidden_group_size_z
      - .offset:         98
        .size:           2
        .value_kind:     hidden_remainder_x
      - .offset:         100
        .size:           2
        .value_kind:     hidden_remainder_y
      - .offset:         102
        .size:           2
        .value_kind:     hidden_remainder_z
      - .offset:         120
        .size:           8
        .value_kind:     hidden_global_offset_x
      - .offset:         128
        .size:           8
        .value_kind:     hidden_global_offset_y
      - .offset:         136
        .size:           8
        .value_kind:     hidden_global_offset_z
      - .offset:         144
        .size:           2
        .value_kind:     hidden_grid_dims
    .group_segment_fixed_size: 0
    .kernarg_segment_align: 8
    .kernarg_segment_size: 336
    .language:       OpenCL C
    .language_version:
      - 2
      - 0
    .max_flat_workgroup_size: 256
    .name:           _ZN9rocsparseL21csrmvt_general_kernelILj256ELj16Ell21rocsparse_complex_numIfES2_S2_S2_EEvbbT2_NS_24const_host_device_scalarIT6_EEPKT1_S9_PKS3_PKT3_PKT4_PT5_21rocsparse_index_base_b
    .private_segment_fixed_size: 0
    .sgpr_count:     28
    .sgpr_spill_count: 0
    .symbol:         _ZN9rocsparseL21csrmvt_general_kernelILj256ELj16Ell21rocsparse_complex_numIfES2_S2_S2_EEvbbT2_NS_24const_host_device_scalarIT6_EEPKT1_S9_PKS3_PKT3_PKT4_PT5_21rocsparse_index_base_b.kd
    .uniform_work_group_size: 1
    .uses_dynamic_stack: false
    .vgpr_count:     24
    .vgpr_spill_count: 0
    .wavefront_size: 32
  - .args:
      - .offset:         0
        .size:           1
        .value_kind:     by_value
      - .offset:         1
        .size:           1
        .value_kind:     by_value
      - .offset:         8
        .size:           8
        .value_kind:     by_value
      - .offset:         16
        .size:           8
        .value_kind:     by_value
      - .address_space:  global
        .offset:         24
        .size:           8
        .value_kind:     global_buffer
      - .address_space:  global
        .offset:         32
        .size:           8
        .value_kind:     global_buffer
      - .actual_access:  read_only
        .address_space:  global
        .offset:         40
        .size:           8
        .value_kind:     global_buffer
      - .actual_access:  read_only
        .address_space:  global
        .offset:         48
        .size:           8
        .value_kind:     global_buffer
      - .actual_access:  read_only
        .address_space:  global
        .offset:         56
        .size:           8
        .value_kind:     global_buffer
      - .address_space:  global
        .offset:         64
        .size:           8
        .value_kind:     global_buffer
      - .offset:         72
        .size:           4
        .value_kind:     by_value
      - .offset:         76
        .size:           1
        .value_kind:     by_value
      - .offset:         80
        .size:           4
        .value_kind:     hidden_block_count_x
      - .offset:         84
        .size:           4
        .value_kind:     hidden_block_count_y
      - .offset:         88
        .size:           4
        .value_kind:     hidden_block_count_z
      - .offset:         92
        .size:           2
        .value_kind:     hidden_group_size_x
      - .offset:         94
        .size:           2
        .value_kind:     hidden_group_size_y
      - .offset:         96
        .size:           2
        .value_kind:     hidden_group_size_z
      - .offset:         98
        .size:           2
        .value_kind:     hidden_remainder_x
      - .offset:         100
        .size:           2
        .value_kind:     hidden_remainder_y
      - .offset:         102
        .size:           2
        .value_kind:     hidden_remainder_z
      - .offset:         120
        .size:           8
        .value_kind:     hidden_global_offset_x
      - .offset:         128
        .size:           8
        .value_kind:     hidden_global_offset_y
      - .offset:         136
        .size:           8
        .value_kind:     hidden_global_offset_z
      - .offset:         144
        .size:           2
        .value_kind:     hidden_grid_dims
    .group_segment_fixed_size: 0
    .kernarg_segment_align: 8
    .kernarg_segment_size: 336
    .language:       OpenCL C
    .language_version:
      - 2
      - 0
    .max_flat_workgroup_size: 256
    .name:           _ZN9rocsparseL21csrmvt_general_kernelILj256ELj32Ell21rocsparse_complex_numIfES2_S2_S2_EEvbbT2_NS_24const_host_device_scalarIT6_EEPKT1_S9_PKS3_PKT3_PKT4_PT5_21rocsparse_index_base_b
    .private_segment_fixed_size: 0
    .sgpr_count:     28
    .sgpr_spill_count: 0
    .symbol:         _ZN9rocsparseL21csrmvt_general_kernelILj256ELj32Ell21rocsparse_complex_numIfES2_S2_S2_EEvbbT2_NS_24const_host_device_scalarIT6_EEPKT1_S9_PKS3_PKT3_PKT4_PT5_21rocsparse_index_base_b.kd
    .uniform_work_group_size: 1
    .uses_dynamic_stack: false
    .vgpr_count:     24
    .vgpr_spill_count: 0
    .wavefront_size: 32
  - .args:
      - .offset:         0
        .size:           1
        .value_kind:     by_value
      - .offset:         1
        .size:           1
        .value_kind:     by_value
      - .offset:         8
        .size:           8
        .value_kind:     by_value
      - .offset:         16
        .size:           8
        .value_kind:     by_value
      - .address_space:  global
        .offset:         24
        .size:           8
        .value_kind:     global_buffer
      - .address_space:  global
        .offset:         32
        .size:           8
        .value_kind:     global_buffer
      - .actual_access:  read_only
        .address_space:  global
        .offset:         40
        .size:           8
        .value_kind:     global_buffer
      - .actual_access:  read_only
        .address_space:  global
        .offset:         48
        .size:           8
        .value_kind:     global_buffer
      - .actual_access:  read_only
        .address_space:  global
        .offset:         56
        .size:           8
        .value_kind:     global_buffer
      - .address_space:  global
        .offset:         64
        .size:           8
        .value_kind:     global_buffer
      - .offset:         72
        .size:           4
        .value_kind:     by_value
      - .offset:         76
        .size:           1
        .value_kind:     by_value
      - .offset:         80
        .size:           4
        .value_kind:     hidden_block_count_x
      - .offset:         84
        .size:           4
        .value_kind:     hidden_block_count_y
      - .offset:         88
        .size:           4
        .value_kind:     hidden_block_count_z
      - .offset:         92
        .size:           2
        .value_kind:     hidden_group_size_x
      - .offset:         94
        .size:           2
        .value_kind:     hidden_group_size_y
      - .offset:         96
        .size:           2
        .value_kind:     hidden_group_size_z
      - .offset:         98
        .size:           2
        .value_kind:     hidden_remainder_x
      - .offset:         100
        .size:           2
        .value_kind:     hidden_remainder_y
      - .offset:         102
        .size:           2
        .value_kind:     hidden_remainder_z
      - .offset:         120
        .size:           8
        .value_kind:     hidden_global_offset_x
      - .offset:         128
        .size:           8
        .value_kind:     hidden_global_offset_y
      - .offset:         136
        .size:           8
        .value_kind:     hidden_global_offset_z
      - .offset:         144
        .size:           2
        .value_kind:     hidden_grid_dims
    .group_segment_fixed_size: 0
    .kernarg_segment_align: 8
    .kernarg_segment_size: 336
    .language:       OpenCL C
    .language_version:
      - 2
      - 0
    .max_flat_workgroup_size: 256
    .name:           _ZN9rocsparseL21csrmvt_general_kernelILj256ELj64Ell21rocsparse_complex_numIfES2_S2_S2_EEvbbT2_NS_24const_host_device_scalarIT6_EEPKT1_S9_PKS3_PKT3_PKT4_PT5_21rocsparse_index_base_b
    .private_segment_fixed_size: 0
    .sgpr_count:     28
    .sgpr_spill_count: 0
    .symbol:         _ZN9rocsparseL21csrmvt_general_kernelILj256ELj64Ell21rocsparse_complex_numIfES2_S2_S2_EEvbbT2_NS_24const_host_device_scalarIT6_EEPKT1_S9_PKS3_PKT3_PKT4_PT5_21rocsparse_index_base_b.kd
    .uniform_work_group_size: 1
    .uses_dynamic_stack: false
    .vgpr_count:     24
    .vgpr_spill_count: 0
    .wavefront_size: 32
  - .args:
      - .offset:         0
        .size:           1
        .value_kind:     by_value
      - .offset:         4
        .size:           4
        .value_kind:     by_value
      - .offset:         8
        .size:           16
        .value_kind:     by_value
      - .address_space:  global
        .offset:         24
        .size:           8
        .value_kind:     global_buffer
      - .address_space:  global
        .offset:         32
        .size:           8
        .value_kind:     global_buffer
      - .actual_access:  read_only
        .address_space:  global
        .offset:         40
        .size:           8
        .value_kind:     global_buffer
      - .actual_access:  read_only
        .address_space:  global
        .offset:         48
        .size:           8
        .value_kind:     global_buffer
      - .actual_access:  read_only
        .address_space:  global
        .offset:         56
        .size:           8
        .value_kind:     global_buffer
      - .offset:         64
        .size:           16
        .value_kind:     by_value
      - .address_space:  global
        .offset:         80
        .size:           8
        .value_kind:     global_buffer
      - .offset:         88
        .size:           4
        .value_kind:     by_value
      - .offset:         92
        .size:           1
        .value_kind:     by_value
      - .offset:         96
        .size:           4
        .value_kind:     hidden_block_count_x
      - .offset:         100
        .size:           4
        .value_kind:     hidden_block_count_y
      - .offset:         104
        .size:           4
        .value_kind:     hidden_block_count_z
      - .offset:         108
        .size:           2
        .value_kind:     hidden_group_size_x
      - .offset:         110
        .size:           2
        .value_kind:     hidden_group_size_y
      - .offset:         112
        .size:           2
        .value_kind:     hidden_group_size_z
      - .offset:         114
        .size:           2
        .value_kind:     hidden_remainder_x
      - .offset:         116
        .size:           2
        .value_kind:     hidden_remainder_y
      - .offset:         118
        .size:           2
        .value_kind:     hidden_remainder_z
      - .offset:         136
        .size:           8
        .value_kind:     hidden_global_offset_x
      - .offset:         144
        .size:           8
        .value_kind:     hidden_global_offset_y
      - .offset:         152
        .size:           8
        .value_kind:     hidden_global_offset_z
      - .offset:         160
        .size:           2
        .value_kind:     hidden_grid_dims
    .group_segment_fixed_size: 0
    .kernarg_segment_align: 8
    .kernarg_segment_size: 352
    .language:       OpenCL C
    .language_version:
      - 2
      - 0
    .max_flat_workgroup_size: 256
    .name:           _ZN9rocsparseL21csrmvn_general_kernelILj256ELj2Eii21rocsparse_complex_numIdES2_S2_S2_EEvbT2_NS_24const_host_device_scalarIT6_EEPKT1_S9_PKS3_PKT3_PKT4_S6_PT5_21rocsparse_index_base_b
    .private_segment_fixed_size: 0
    .sgpr_count:     26
    .sgpr_spill_count: 0
    .symbol:         _ZN9rocsparseL21csrmvn_general_kernelILj256ELj2Eii21rocsparse_complex_numIdES2_S2_S2_EEvbT2_NS_24const_host_device_scalarIT6_EEPKT1_S9_PKS3_PKT3_PKT4_S6_PT5_21rocsparse_index_base_b.kd
    .uniform_work_group_size: 1
    .uses_dynamic_stack: false
    .vgpr_count:     28
    .vgpr_spill_count: 0
    .wavefront_size: 32
  - .args:
      - .offset:         0
        .size:           1
        .value_kind:     by_value
      - .offset:         4
        .size:           4
        .value_kind:     by_value
      - .offset:         8
        .size:           16
        .value_kind:     by_value
      - .address_space:  global
        .offset:         24
        .size:           8
        .value_kind:     global_buffer
      - .address_space:  global
        .offset:         32
        .size:           8
        .value_kind:     global_buffer
      - .actual_access:  read_only
        .address_space:  global
        .offset:         40
        .size:           8
        .value_kind:     global_buffer
      - .actual_access:  read_only
        .address_space:  global
        .offset:         48
        .size:           8
        .value_kind:     global_buffer
      - .actual_access:  read_only
        .address_space:  global
        .offset:         56
        .size:           8
        .value_kind:     global_buffer
      - .offset:         64
        .size:           16
        .value_kind:     by_value
      - .address_space:  global
        .offset:         80
        .size:           8
        .value_kind:     global_buffer
      - .offset:         88
        .size:           4
        .value_kind:     by_value
      - .offset:         92
        .size:           1
        .value_kind:     by_value
      - .offset:         96
        .size:           4
        .value_kind:     hidden_block_count_x
      - .offset:         100
        .size:           4
        .value_kind:     hidden_block_count_y
      - .offset:         104
        .size:           4
        .value_kind:     hidden_block_count_z
      - .offset:         108
        .size:           2
        .value_kind:     hidden_group_size_x
      - .offset:         110
        .size:           2
        .value_kind:     hidden_group_size_y
      - .offset:         112
        .size:           2
        .value_kind:     hidden_group_size_z
      - .offset:         114
        .size:           2
        .value_kind:     hidden_remainder_x
      - .offset:         116
        .size:           2
        .value_kind:     hidden_remainder_y
      - .offset:         118
        .size:           2
        .value_kind:     hidden_remainder_z
      - .offset:         136
        .size:           8
        .value_kind:     hidden_global_offset_x
      - .offset:         144
        .size:           8
        .value_kind:     hidden_global_offset_y
      - .offset:         152
        .size:           8
        .value_kind:     hidden_global_offset_z
      - .offset:         160
        .size:           2
        .value_kind:     hidden_grid_dims
    .group_segment_fixed_size: 0
    .kernarg_segment_align: 8
    .kernarg_segment_size: 352
    .language:       OpenCL C
    .language_version:
      - 2
      - 0
    .max_flat_workgroup_size: 256
    .name:           _ZN9rocsparseL21csrmvn_general_kernelILj256ELj4Eii21rocsparse_complex_numIdES2_S2_S2_EEvbT2_NS_24const_host_device_scalarIT6_EEPKT1_S9_PKS3_PKT3_PKT4_S6_PT5_21rocsparse_index_base_b
    .private_segment_fixed_size: 0
    .sgpr_count:     26
    .sgpr_spill_count: 0
    .symbol:         _ZN9rocsparseL21csrmvn_general_kernelILj256ELj4Eii21rocsparse_complex_numIdES2_S2_S2_EEvbT2_NS_24const_host_device_scalarIT6_EEPKT1_S9_PKS3_PKT3_PKT4_S6_PT5_21rocsparse_index_base_b.kd
    .uniform_work_group_size: 1
    .uses_dynamic_stack: false
    .vgpr_count:     30
    .vgpr_spill_count: 0
    .wavefront_size: 32
  - .args:
      - .offset:         0
        .size:           1
        .value_kind:     by_value
      - .offset:         4
        .size:           4
        .value_kind:     by_value
      - .offset:         8
        .size:           16
        .value_kind:     by_value
      - .address_space:  global
        .offset:         24
        .size:           8
        .value_kind:     global_buffer
      - .address_space:  global
        .offset:         32
        .size:           8
        .value_kind:     global_buffer
      - .actual_access:  read_only
        .address_space:  global
        .offset:         40
        .size:           8
        .value_kind:     global_buffer
      - .actual_access:  read_only
        .address_space:  global
        .offset:         48
        .size:           8
        .value_kind:     global_buffer
      - .actual_access:  read_only
        .address_space:  global
        .offset:         56
        .size:           8
        .value_kind:     global_buffer
      - .offset:         64
        .size:           16
        .value_kind:     by_value
      - .address_space:  global
        .offset:         80
        .size:           8
        .value_kind:     global_buffer
      - .offset:         88
        .size:           4
        .value_kind:     by_value
      - .offset:         92
        .size:           1
        .value_kind:     by_value
      - .offset:         96
        .size:           4
        .value_kind:     hidden_block_count_x
      - .offset:         100
        .size:           4
        .value_kind:     hidden_block_count_y
      - .offset:         104
        .size:           4
        .value_kind:     hidden_block_count_z
      - .offset:         108
        .size:           2
        .value_kind:     hidden_group_size_x
      - .offset:         110
        .size:           2
        .value_kind:     hidden_group_size_y
      - .offset:         112
        .size:           2
        .value_kind:     hidden_group_size_z
      - .offset:         114
        .size:           2
        .value_kind:     hidden_remainder_x
      - .offset:         116
        .size:           2
        .value_kind:     hidden_remainder_y
      - .offset:         118
        .size:           2
        .value_kind:     hidden_remainder_z
      - .offset:         136
        .size:           8
        .value_kind:     hidden_global_offset_x
      - .offset:         144
        .size:           8
        .value_kind:     hidden_global_offset_y
      - .offset:         152
        .size:           8
        .value_kind:     hidden_global_offset_z
      - .offset:         160
        .size:           2
        .value_kind:     hidden_grid_dims
    .group_segment_fixed_size: 0
    .kernarg_segment_align: 8
    .kernarg_segment_size: 352
    .language:       OpenCL C
    .language_version:
      - 2
      - 0
    .max_flat_workgroup_size: 256
    .name:           _ZN9rocsparseL21csrmvn_general_kernelILj256ELj8Eii21rocsparse_complex_numIdES2_S2_S2_EEvbT2_NS_24const_host_device_scalarIT6_EEPKT1_S9_PKS3_PKT3_PKT4_S6_PT5_21rocsparse_index_base_b
    .private_segment_fixed_size: 0
    .sgpr_count:     26
    .sgpr_spill_count: 0
    .symbol:         _ZN9rocsparseL21csrmvn_general_kernelILj256ELj8Eii21rocsparse_complex_numIdES2_S2_S2_EEvbT2_NS_24const_host_device_scalarIT6_EEPKT1_S9_PKS3_PKT3_PKT4_S6_PT5_21rocsparse_index_base_b.kd
    .uniform_work_group_size: 1
    .uses_dynamic_stack: false
    .vgpr_count:     30
    .vgpr_spill_count: 0
    .wavefront_size: 32
  - .args:
      - .offset:         0
        .size:           1
        .value_kind:     by_value
      - .offset:         4
        .size:           4
        .value_kind:     by_value
      - .offset:         8
        .size:           16
        .value_kind:     by_value
      - .address_space:  global
        .offset:         24
        .size:           8
        .value_kind:     global_buffer
      - .address_space:  global
        .offset:         32
        .size:           8
        .value_kind:     global_buffer
      - .actual_access:  read_only
        .address_space:  global
        .offset:         40
        .size:           8
        .value_kind:     global_buffer
      - .actual_access:  read_only
        .address_space:  global
        .offset:         48
        .size:           8
        .value_kind:     global_buffer
      - .actual_access:  read_only
        .address_space:  global
        .offset:         56
        .size:           8
        .value_kind:     global_buffer
      - .offset:         64
        .size:           16
        .value_kind:     by_value
      - .address_space:  global
        .offset:         80
        .size:           8
        .value_kind:     global_buffer
      - .offset:         88
        .size:           4
        .value_kind:     by_value
      - .offset:         92
        .size:           1
        .value_kind:     by_value
      - .offset:         96
        .size:           4
        .value_kind:     hidden_block_count_x
      - .offset:         100
        .size:           4
        .value_kind:     hidden_block_count_y
      - .offset:         104
        .size:           4
        .value_kind:     hidden_block_count_z
      - .offset:         108
        .size:           2
        .value_kind:     hidden_group_size_x
      - .offset:         110
        .size:           2
        .value_kind:     hidden_group_size_y
      - .offset:         112
        .size:           2
        .value_kind:     hidden_group_size_z
      - .offset:         114
        .size:           2
        .value_kind:     hidden_remainder_x
      - .offset:         116
        .size:           2
        .value_kind:     hidden_remainder_y
      - .offset:         118
        .size:           2
        .value_kind:     hidden_remainder_z
      - .offset:         136
        .size:           8
        .value_kind:     hidden_global_offset_x
      - .offset:         144
        .size:           8
        .value_kind:     hidden_global_offset_y
      - .offset:         152
        .size:           8
        .value_kind:     hidden_global_offset_z
      - .offset:         160
        .size:           2
        .value_kind:     hidden_grid_dims
    .group_segment_fixed_size: 0
    .kernarg_segment_align: 8
    .kernarg_segment_size: 352
    .language:       OpenCL C
    .language_version:
      - 2
      - 0
    .max_flat_workgroup_size: 256
    .name:           _ZN9rocsparseL21csrmvn_general_kernelILj256ELj16Eii21rocsparse_complex_numIdES2_S2_S2_EEvbT2_NS_24const_host_device_scalarIT6_EEPKT1_S9_PKS3_PKT3_PKT4_S6_PT5_21rocsparse_index_base_b
    .private_segment_fixed_size: 0
    .sgpr_count:     26
    .sgpr_spill_count: 0
    .symbol:         _ZN9rocsparseL21csrmvn_general_kernelILj256ELj16Eii21rocsparse_complex_numIdES2_S2_S2_EEvbT2_NS_24const_host_device_scalarIT6_EEPKT1_S9_PKS3_PKT3_PKT4_S6_PT5_21rocsparse_index_base_b.kd
    .uniform_work_group_size: 1
    .uses_dynamic_stack: false
    .vgpr_count:     32
    .vgpr_spill_count: 0
    .wavefront_size: 32
  - .args:
      - .offset:         0
        .size:           1
        .value_kind:     by_value
      - .offset:         4
        .size:           4
        .value_kind:     by_value
      - .offset:         8
        .size:           16
        .value_kind:     by_value
      - .address_space:  global
        .offset:         24
        .size:           8
        .value_kind:     global_buffer
      - .address_space:  global
        .offset:         32
        .size:           8
        .value_kind:     global_buffer
      - .actual_access:  read_only
        .address_space:  global
        .offset:         40
        .size:           8
        .value_kind:     global_buffer
      - .actual_access:  read_only
        .address_space:  global
        .offset:         48
        .size:           8
        .value_kind:     global_buffer
      - .actual_access:  read_only
        .address_space:  global
        .offset:         56
        .size:           8
        .value_kind:     global_buffer
      - .offset:         64
        .size:           16
        .value_kind:     by_value
      - .address_space:  global
        .offset:         80
        .size:           8
        .value_kind:     global_buffer
      - .offset:         88
        .size:           4
        .value_kind:     by_value
      - .offset:         92
        .size:           1
        .value_kind:     by_value
      - .offset:         96
        .size:           4
        .value_kind:     hidden_block_count_x
      - .offset:         100
        .size:           4
        .value_kind:     hidden_block_count_y
      - .offset:         104
        .size:           4
        .value_kind:     hidden_block_count_z
      - .offset:         108
        .size:           2
        .value_kind:     hidden_group_size_x
      - .offset:         110
        .size:           2
        .value_kind:     hidden_group_size_y
      - .offset:         112
        .size:           2
        .value_kind:     hidden_group_size_z
      - .offset:         114
        .size:           2
        .value_kind:     hidden_remainder_x
      - .offset:         116
        .size:           2
        .value_kind:     hidden_remainder_y
      - .offset:         118
        .size:           2
        .value_kind:     hidden_remainder_z
      - .offset:         136
        .size:           8
        .value_kind:     hidden_global_offset_x
      - .offset:         144
        .size:           8
        .value_kind:     hidden_global_offset_y
      - .offset:         152
        .size:           8
        .value_kind:     hidden_global_offset_z
      - .offset:         160
        .size:           2
        .value_kind:     hidden_grid_dims
    .group_segment_fixed_size: 0
    .kernarg_segment_align: 8
    .kernarg_segment_size: 352
    .language:       OpenCL C
    .language_version:
      - 2
      - 0
    .max_flat_workgroup_size: 256
    .name:           _ZN9rocsparseL21csrmvn_general_kernelILj256ELj32Eii21rocsparse_complex_numIdES2_S2_S2_EEvbT2_NS_24const_host_device_scalarIT6_EEPKT1_S9_PKS3_PKT3_PKT4_S6_PT5_21rocsparse_index_base_b
    .private_segment_fixed_size: 0
    .sgpr_count:     26
    .sgpr_spill_count: 0
    .symbol:         _ZN9rocsparseL21csrmvn_general_kernelILj256ELj32Eii21rocsparse_complex_numIdES2_S2_S2_EEvbT2_NS_24const_host_device_scalarIT6_EEPKT1_S9_PKS3_PKT3_PKT4_S6_PT5_21rocsparse_index_base_b.kd
    .uniform_work_group_size: 1
    .uses_dynamic_stack: false
    .vgpr_count:     32
    .vgpr_spill_count: 0
    .wavefront_size: 32
  - .args:
      - .offset:         0
        .size:           1
        .value_kind:     by_value
      - .offset:         4
        .size:           4
        .value_kind:     by_value
      - .offset:         8
        .size:           16
        .value_kind:     by_value
      - .address_space:  global
        .offset:         24
        .size:           8
        .value_kind:     global_buffer
      - .address_space:  global
        .offset:         32
        .size:           8
        .value_kind:     global_buffer
      - .actual_access:  read_only
        .address_space:  global
        .offset:         40
        .size:           8
        .value_kind:     global_buffer
      - .actual_access:  read_only
        .address_space:  global
        .offset:         48
        .size:           8
        .value_kind:     global_buffer
      - .actual_access:  read_only
        .address_space:  global
        .offset:         56
        .size:           8
        .value_kind:     global_buffer
      - .offset:         64
        .size:           16
        .value_kind:     by_value
      - .address_space:  global
        .offset:         80
        .size:           8
        .value_kind:     global_buffer
      - .offset:         88
        .size:           4
        .value_kind:     by_value
      - .offset:         92
        .size:           1
        .value_kind:     by_value
      - .offset:         96
        .size:           4
        .value_kind:     hidden_block_count_x
      - .offset:         100
        .size:           4
        .value_kind:     hidden_block_count_y
      - .offset:         104
        .size:           4
        .value_kind:     hidden_block_count_z
      - .offset:         108
        .size:           2
        .value_kind:     hidden_group_size_x
      - .offset:         110
        .size:           2
        .value_kind:     hidden_group_size_y
      - .offset:         112
        .size:           2
        .value_kind:     hidden_group_size_z
      - .offset:         114
        .size:           2
        .value_kind:     hidden_remainder_x
      - .offset:         116
        .size:           2
        .value_kind:     hidden_remainder_y
      - .offset:         118
        .size:           2
        .value_kind:     hidden_remainder_z
      - .offset:         136
        .size:           8
        .value_kind:     hidden_global_offset_x
      - .offset:         144
        .size:           8
        .value_kind:     hidden_global_offset_y
      - .offset:         152
        .size:           8
        .value_kind:     hidden_global_offset_z
      - .offset:         160
        .size:           2
        .value_kind:     hidden_grid_dims
    .group_segment_fixed_size: 0
    .kernarg_segment_align: 8
    .kernarg_segment_size: 352
    .language:       OpenCL C
    .language_version:
      - 2
      - 0
    .max_flat_workgroup_size: 256
    .name:           _ZN9rocsparseL21csrmvn_general_kernelILj256ELj64Eii21rocsparse_complex_numIdES2_S2_S2_EEvbT2_NS_24const_host_device_scalarIT6_EEPKT1_S9_PKS3_PKT3_PKT4_S6_PT5_21rocsparse_index_base_b
    .private_segment_fixed_size: 0
    .sgpr_count:     26
    .sgpr_spill_count: 0
    .symbol:         _ZN9rocsparseL21csrmvn_general_kernelILj256ELj64Eii21rocsparse_complex_numIdES2_S2_S2_EEvbT2_NS_24const_host_device_scalarIT6_EEPKT1_S9_PKS3_PKT3_PKT4_S6_PT5_21rocsparse_index_base_b.kd
    .uniform_work_group_size: 1
    .uses_dynamic_stack: false
    .vgpr_count:     34
    .vgpr_spill_count: 0
    .wavefront_size: 32
  - .args:
      - .offset:         0
        .size:           1
        .value_kind:     by_value
      - .offset:         1
        .size:           1
        .value_kind:     by_value
      - .offset:         4
        .size:           4
        .value_kind:     by_value
      - .offset:         8
        .size:           16
        .value_kind:     by_value
      - .address_space:  global
        .offset:         24
        .size:           8
        .value_kind:     global_buffer
      - .address_space:  global
        .offset:         32
        .size:           8
        .value_kind:     global_buffer
      - .actual_access:  read_only
        .address_space:  global
        .offset:         40
        .size:           8
        .value_kind:     global_buffer
      - .actual_access:  read_only
        .address_space:  global
        .offset:         48
        .size:           8
        .value_kind:     global_buffer
      - .actual_access:  read_only
        .address_space:  global
        .offset:         56
        .size:           8
        .value_kind:     global_buffer
      - .address_space:  global
        .offset:         64
        .size:           8
        .value_kind:     global_buffer
      - .offset:         72
        .size:           4
        .value_kind:     by_value
      - .offset:         76
        .size:           1
        .value_kind:     by_value
      - .offset:         80
        .size:           4
        .value_kind:     hidden_block_count_x
      - .offset:         84
        .size:           4
        .value_kind:     hidden_block_count_y
      - .offset:         88
        .size:           4
        .value_kind:     hidden_block_count_z
      - .offset:         92
        .size:           2
        .value_kind:     hidden_group_size_x
      - .offset:         94
        .size:           2
        .value_kind:     hidden_group_size_y
      - .offset:         96
        .size:           2
        .value_kind:     hidden_group_size_z
      - .offset:         98
        .size:           2
        .value_kind:     hidden_remainder_x
      - .offset:         100
        .size:           2
        .value_kind:     hidden_remainder_y
      - .offset:         102
        .size:           2
        .value_kind:     hidden_remainder_z
      - .offset:         120
        .size:           8
        .value_kind:     hidden_global_offset_x
      - .offset:         128
        .size:           8
        .value_kind:     hidden_global_offset_y
      - .offset:         136
        .size:           8
        .value_kind:     hidden_global_offset_z
      - .offset:         144
        .size:           2
        .value_kind:     hidden_grid_dims
    .group_segment_fixed_size: 0
    .kernarg_segment_align: 8
    .kernarg_segment_size: 336
    .language:       OpenCL C
    .language_version:
      - 2
      - 0
    .max_flat_workgroup_size: 256
    .name:           _ZN9rocsparseL21csrmvt_general_kernelILj256ELj4Eii21rocsparse_complex_numIdES2_S2_S2_EEvbbT2_NS_24const_host_device_scalarIT6_EEPKT1_S9_PKS3_PKT3_PKT4_PT5_21rocsparse_index_base_b
    .private_segment_fixed_size: 0
    .sgpr_count:     23
    .sgpr_spill_count: 0
    .symbol:         _ZN9rocsparseL21csrmvt_general_kernelILj256ELj4Eii21rocsparse_complex_numIdES2_S2_S2_EEvbbT2_NS_24const_host_device_scalarIT6_EEPKT1_S9_PKS3_PKT3_PKT4_PT5_21rocsparse_index_base_b.kd
    .uniform_work_group_size: 1
    .uses_dynamic_stack: false
    .vgpr_count:     22
    .vgpr_spill_count: 0
    .wavefront_size: 32
  - .args:
      - .offset:         0
        .size:           1
        .value_kind:     by_value
      - .offset:         1
        .size:           1
        .value_kind:     by_value
      - .offset:         4
        .size:           4
        .value_kind:     by_value
      - .offset:         8
        .size:           16
        .value_kind:     by_value
      - .address_space:  global
        .offset:         24
        .size:           8
        .value_kind:     global_buffer
      - .address_space:  global
        .offset:         32
        .size:           8
        .value_kind:     global_buffer
      - .actual_access:  read_only
        .address_space:  global
        .offset:         40
        .size:           8
        .value_kind:     global_buffer
      - .actual_access:  read_only
        .address_space:  global
        .offset:         48
        .size:           8
        .value_kind:     global_buffer
      - .actual_access:  read_only
        .address_space:  global
        .offset:         56
        .size:           8
        .value_kind:     global_buffer
      - .address_space:  global
        .offset:         64
        .size:           8
        .value_kind:     global_buffer
      - .offset:         72
        .size:           4
        .value_kind:     by_value
      - .offset:         76
        .size:           1
        .value_kind:     by_value
      - .offset:         80
        .size:           4
        .value_kind:     hidden_block_count_x
      - .offset:         84
        .size:           4
        .value_kind:     hidden_block_count_y
      - .offset:         88
        .size:           4
        .value_kind:     hidden_block_count_z
      - .offset:         92
        .size:           2
        .value_kind:     hidden_group_size_x
      - .offset:         94
        .size:           2
        .value_kind:     hidden_group_size_y
      - .offset:         96
        .size:           2
        .value_kind:     hidden_group_size_z
      - .offset:         98
        .size:           2
        .value_kind:     hidden_remainder_x
      - .offset:         100
        .size:           2
        .value_kind:     hidden_remainder_y
      - .offset:         102
        .size:           2
        .value_kind:     hidden_remainder_z
      - .offset:         120
        .size:           8
        .value_kind:     hidden_global_offset_x
      - .offset:         128
        .size:           8
        .value_kind:     hidden_global_offset_y
      - .offset:         136
        .size:           8
        .value_kind:     hidden_global_offset_z
      - .offset:         144
        .size:           2
        .value_kind:     hidden_grid_dims
    .group_segment_fixed_size: 0
    .kernarg_segment_align: 8
    .kernarg_segment_size: 336
    .language:       OpenCL C
    .language_version:
      - 2
      - 0
    .max_flat_workgroup_size: 256
    .name:           _ZN9rocsparseL21csrmvt_general_kernelILj256ELj8Eii21rocsparse_complex_numIdES2_S2_S2_EEvbbT2_NS_24const_host_device_scalarIT6_EEPKT1_S9_PKS3_PKT3_PKT4_PT5_21rocsparse_index_base_b
    .private_segment_fixed_size: 0
    .sgpr_count:     23
    .sgpr_spill_count: 0
    .symbol:         _ZN9rocsparseL21csrmvt_general_kernelILj256ELj8Eii21rocsparse_complex_numIdES2_S2_S2_EEvbbT2_NS_24const_host_device_scalarIT6_EEPKT1_S9_PKS3_PKT3_PKT4_PT5_21rocsparse_index_base_b.kd
    .uniform_work_group_size: 1
    .uses_dynamic_stack: false
    .vgpr_count:     22
    .vgpr_spill_count: 0
    .wavefront_size: 32
  - .args:
      - .offset:         0
        .size:           1
        .value_kind:     by_value
      - .offset:         1
        .size:           1
        .value_kind:     by_value
      - .offset:         4
        .size:           4
        .value_kind:     by_value
      - .offset:         8
        .size:           16
        .value_kind:     by_value
      - .address_space:  global
        .offset:         24
        .size:           8
        .value_kind:     global_buffer
      - .address_space:  global
        .offset:         32
        .size:           8
        .value_kind:     global_buffer
      - .actual_access:  read_only
        .address_space:  global
        .offset:         40
        .size:           8
        .value_kind:     global_buffer
      - .actual_access:  read_only
        .address_space:  global
        .offset:         48
        .size:           8
        .value_kind:     global_buffer
      - .actual_access:  read_only
        .address_space:  global
        .offset:         56
        .size:           8
        .value_kind:     global_buffer
      - .address_space:  global
        .offset:         64
        .size:           8
        .value_kind:     global_buffer
      - .offset:         72
        .size:           4
        .value_kind:     by_value
      - .offset:         76
        .size:           1
        .value_kind:     by_value
      - .offset:         80
        .size:           4
        .value_kind:     hidden_block_count_x
      - .offset:         84
        .size:           4
        .value_kind:     hidden_block_count_y
      - .offset:         88
        .size:           4
        .value_kind:     hidden_block_count_z
      - .offset:         92
        .size:           2
        .value_kind:     hidden_group_size_x
      - .offset:         94
        .size:           2
        .value_kind:     hidden_group_size_y
      - .offset:         96
        .size:           2
        .value_kind:     hidden_group_size_z
      - .offset:         98
        .size:           2
        .value_kind:     hidden_remainder_x
      - .offset:         100
        .size:           2
        .value_kind:     hidden_remainder_y
      - .offset:         102
        .size:           2
        .value_kind:     hidden_remainder_z
      - .offset:         120
        .size:           8
        .value_kind:     hidden_global_offset_x
      - .offset:         128
        .size:           8
        .value_kind:     hidden_global_offset_y
      - .offset:         136
        .size:           8
        .value_kind:     hidden_global_offset_z
      - .offset:         144
        .size:           2
        .value_kind:     hidden_grid_dims
    .group_segment_fixed_size: 0
    .kernarg_segment_align: 8
    .kernarg_segment_size: 336
    .language:       OpenCL C
    .language_version:
      - 2
      - 0
    .max_flat_workgroup_size: 256
    .name:           _ZN9rocsparseL21csrmvt_general_kernelILj256ELj16Eii21rocsparse_complex_numIdES2_S2_S2_EEvbbT2_NS_24const_host_device_scalarIT6_EEPKT1_S9_PKS3_PKT3_PKT4_PT5_21rocsparse_index_base_b
    .private_segment_fixed_size: 0
    .sgpr_count:     23
    .sgpr_spill_count: 0
    .symbol:         _ZN9rocsparseL21csrmvt_general_kernelILj256ELj16Eii21rocsparse_complex_numIdES2_S2_S2_EEvbbT2_NS_24const_host_device_scalarIT6_EEPKT1_S9_PKS3_PKT3_PKT4_PT5_21rocsparse_index_base_b.kd
    .uniform_work_group_size: 1
    .uses_dynamic_stack: false
    .vgpr_count:     22
    .vgpr_spill_count: 0
    .wavefront_size: 32
  - .args:
      - .offset:         0
        .size:           1
        .value_kind:     by_value
      - .offset:         1
        .size:           1
        .value_kind:     by_value
      - .offset:         4
        .size:           4
        .value_kind:     by_value
      - .offset:         8
        .size:           16
        .value_kind:     by_value
      - .address_space:  global
        .offset:         24
        .size:           8
        .value_kind:     global_buffer
      - .address_space:  global
        .offset:         32
        .size:           8
        .value_kind:     global_buffer
      - .actual_access:  read_only
        .address_space:  global
        .offset:         40
        .size:           8
        .value_kind:     global_buffer
      - .actual_access:  read_only
        .address_space:  global
        .offset:         48
        .size:           8
        .value_kind:     global_buffer
      - .actual_access:  read_only
        .address_space:  global
        .offset:         56
        .size:           8
        .value_kind:     global_buffer
      - .address_space:  global
        .offset:         64
        .size:           8
        .value_kind:     global_buffer
      - .offset:         72
        .size:           4
        .value_kind:     by_value
      - .offset:         76
        .size:           1
        .value_kind:     by_value
      - .offset:         80
        .size:           4
        .value_kind:     hidden_block_count_x
      - .offset:         84
        .size:           4
        .value_kind:     hidden_block_count_y
      - .offset:         88
        .size:           4
        .value_kind:     hidden_block_count_z
      - .offset:         92
        .size:           2
        .value_kind:     hidden_group_size_x
      - .offset:         94
        .size:           2
        .value_kind:     hidden_group_size_y
      - .offset:         96
        .size:           2
        .value_kind:     hidden_group_size_z
      - .offset:         98
        .size:           2
        .value_kind:     hidden_remainder_x
      - .offset:         100
        .size:           2
        .value_kind:     hidden_remainder_y
      - .offset:         102
        .size:           2
        .value_kind:     hidden_remainder_z
      - .offset:         120
        .size:           8
        .value_kind:     hidden_global_offset_x
      - .offset:         128
        .size:           8
        .value_kind:     hidden_global_offset_y
      - .offset:         136
        .size:           8
        .value_kind:     hidden_global_offset_z
      - .offset:         144
        .size:           2
        .value_kind:     hidden_grid_dims
    .group_segment_fixed_size: 0
    .kernarg_segment_align: 8
    .kernarg_segment_size: 336
    .language:       OpenCL C
    .language_version:
      - 2
      - 0
    .max_flat_workgroup_size: 256
    .name:           _ZN9rocsparseL21csrmvt_general_kernelILj256ELj32Eii21rocsparse_complex_numIdES2_S2_S2_EEvbbT2_NS_24const_host_device_scalarIT6_EEPKT1_S9_PKS3_PKT3_PKT4_PT5_21rocsparse_index_base_b
    .private_segment_fixed_size: 0
    .sgpr_count:     23
    .sgpr_spill_count: 0
    .symbol:         _ZN9rocsparseL21csrmvt_general_kernelILj256ELj32Eii21rocsparse_complex_numIdES2_S2_S2_EEvbbT2_NS_24const_host_device_scalarIT6_EEPKT1_S9_PKS3_PKT3_PKT4_PT5_21rocsparse_index_base_b.kd
    .uniform_work_group_size: 1
    .uses_dynamic_stack: false
    .vgpr_count:     22
    .vgpr_spill_count: 0
    .wavefront_size: 32
  - .args:
      - .offset:         0
        .size:           1
        .value_kind:     by_value
      - .offset:         1
        .size:           1
        .value_kind:     by_value
      - .offset:         4
        .size:           4
        .value_kind:     by_value
      - .offset:         8
        .size:           16
        .value_kind:     by_value
      - .address_space:  global
        .offset:         24
        .size:           8
        .value_kind:     global_buffer
      - .address_space:  global
        .offset:         32
        .size:           8
        .value_kind:     global_buffer
      - .actual_access:  read_only
        .address_space:  global
        .offset:         40
        .size:           8
        .value_kind:     global_buffer
      - .actual_access:  read_only
        .address_space:  global
        .offset:         48
        .size:           8
        .value_kind:     global_buffer
      - .actual_access:  read_only
        .address_space:  global
        .offset:         56
        .size:           8
        .value_kind:     global_buffer
      - .address_space:  global
        .offset:         64
        .size:           8
        .value_kind:     global_buffer
      - .offset:         72
        .size:           4
        .value_kind:     by_value
      - .offset:         76
        .size:           1
        .value_kind:     by_value
      - .offset:         80
        .size:           4
        .value_kind:     hidden_block_count_x
      - .offset:         84
        .size:           4
        .value_kind:     hidden_block_count_y
      - .offset:         88
        .size:           4
        .value_kind:     hidden_block_count_z
      - .offset:         92
        .size:           2
        .value_kind:     hidden_group_size_x
      - .offset:         94
        .size:           2
        .value_kind:     hidden_group_size_y
      - .offset:         96
        .size:           2
        .value_kind:     hidden_group_size_z
      - .offset:         98
        .size:           2
        .value_kind:     hidden_remainder_x
      - .offset:         100
        .size:           2
        .value_kind:     hidden_remainder_y
      - .offset:         102
        .size:           2
        .value_kind:     hidden_remainder_z
      - .offset:         120
        .size:           8
        .value_kind:     hidden_global_offset_x
      - .offset:         128
        .size:           8
        .value_kind:     hidden_global_offset_y
      - .offset:         136
        .size:           8
        .value_kind:     hidden_global_offset_z
      - .offset:         144
        .size:           2
        .value_kind:     hidden_grid_dims
    .group_segment_fixed_size: 0
    .kernarg_segment_align: 8
    .kernarg_segment_size: 336
    .language:       OpenCL C
    .language_version:
      - 2
      - 0
    .max_flat_workgroup_size: 256
    .name:           _ZN9rocsparseL21csrmvt_general_kernelILj256ELj64Eii21rocsparse_complex_numIdES2_S2_S2_EEvbbT2_NS_24const_host_device_scalarIT6_EEPKT1_S9_PKS3_PKT3_PKT4_PT5_21rocsparse_index_base_b
    .private_segment_fixed_size: 0
    .sgpr_count:     23
    .sgpr_spill_count: 0
    .symbol:         _ZN9rocsparseL21csrmvt_general_kernelILj256ELj64Eii21rocsparse_complex_numIdES2_S2_S2_EEvbbT2_NS_24const_host_device_scalarIT6_EEPKT1_S9_PKS3_PKT3_PKT4_PT5_21rocsparse_index_base_b.kd
    .uniform_work_group_size: 1
    .uses_dynamic_stack: false
    .vgpr_count:     22
    .vgpr_spill_count: 0
    .wavefront_size: 32
  - .args:
      - .offset:         0
        .size:           1
        .value_kind:     by_value
      - .offset:         4
        .size:           4
        .value_kind:     by_value
      - .offset:         8
        .size:           16
        .value_kind:     by_value
      - .address_space:  global
        .offset:         24
        .size:           8
        .value_kind:     global_buffer
      - .address_space:  global
        .offset:         32
        .size:           8
        .value_kind:     global_buffer
      - .actual_access:  read_only
        .address_space:  global
        .offset:         40
        .size:           8
        .value_kind:     global_buffer
      - .actual_access:  read_only
        .address_space:  global
        .offset:         48
        .size:           8
        .value_kind:     global_buffer
      - .actual_access:  read_only
        .address_space:  global
        .offset:         56
        .size:           8
        .value_kind:     global_buffer
      - .offset:         64
        .size:           16
        .value_kind:     by_value
      - .address_space:  global
        .offset:         80
        .size:           8
        .value_kind:     global_buffer
      - .offset:         88
        .size:           4
        .value_kind:     by_value
      - .offset:         92
        .size:           1
        .value_kind:     by_value
      - .offset:         96
        .size:           4
        .value_kind:     hidden_block_count_x
      - .offset:         100
        .size:           4
        .value_kind:     hidden_block_count_y
      - .offset:         104
        .size:           4
        .value_kind:     hidden_block_count_z
      - .offset:         108
        .size:           2
        .value_kind:     hidden_group_size_x
      - .offset:         110
        .size:           2
        .value_kind:     hidden_group_size_y
      - .offset:         112
        .size:           2
        .value_kind:     hidden_group_size_z
      - .offset:         114
        .size:           2
        .value_kind:     hidden_remainder_x
      - .offset:         116
        .size:           2
        .value_kind:     hidden_remainder_y
      - .offset:         118
        .size:           2
        .value_kind:     hidden_remainder_z
      - .offset:         136
        .size:           8
        .value_kind:     hidden_global_offset_x
      - .offset:         144
        .size:           8
        .value_kind:     hidden_global_offset_y
      - .offset:         152
        .size:           8
        .value_kind:     hidden_global_offset_z
      - .offset:         160
        .size:           2
        .value_kind:     hidden_grid_dims
    .group_segment_fixed_size: 0
    .kernarg_segment_align: 8
    .kernarg_segment_size: 352
    .language:       OpenCL C
    .language_version:
      - 2
      - 0
    .max_flat_workgroup_size: 256
    .name:           _ZN9rocsparseL21csrmvn_general_kernelILj256ELj2Eli21rocsparse_complex_numIdES2_S2_S2_EEvbT2_NS_24const_host_device_scalarIT6_EEPKT1_S9_PKS3_PKT3_PKT4_S6_PT5_21rocsparse_index_base_b
    .private_segment_fixed_size: 0
    .sgpr_count:     26
    .sgpr_spill_count: 0
    .symbol:         _ZN9rocsparseL21csrmvn_general_kernelILj256ELj2Eli21rocsparse_complex_numIdES2_S2_S2_EEvbT2_NS_24const_host_device_scalarIT6_EEPKT1_S9_PKS3_PKT3_PKT4_S6_PT5_21rocsparse_index_base_b.kd
    .uniform_work_group_size: 1
    .uses_dynamic_stack: false
    .vgpr_count:     36
    .vgpr_spill_count: 0
    .wavefront_size: 32
  - .args:
      - .offset:         0
        .size:           1
        .value_kind:     by_value
      - .offset:         4
        .size:           4
        .value_kind:     by_value
      - .offset:         8
        .size:           16
        .value_kind:     by_value
      - .address_space:  global
        .offset:         24
        .size:           8
        .value_kind:     global_buffer
      - .address_space:  global
        .offset:         32
        .size:           8
        .value_kind:     global_buffer
      - .actual_access:  read_only
        .address_space:  global
        .offset:         40
        .size:           8
        .value_kind:     global_buffer
      - .actual_access:  read_only
        .address_space:  global
        .offset:         48
        .size:           8
        .value_kind:     global_buffer
      - .actual_access:  read_only
        .address_space:  global
        .offset:         56
        .size:           8
        .value_kind:     global_buffer
      - .offset:         64
        .size:           16
        .value_kind:     by_value
      - .address_space:  global
        .offset:         80
        .size:           8
        .value_kind:     global_buffer
      - .offset:         88
        .size:           4
        .value_kind:     by_value
      - .offset:         92
        .size:           1
        .value_kind:     by_value
      - .offset:         96
        .size:           4
        .value_kind:     hidden_block_count_x
      - .offset:         100
        .size:           4
        .value_kind:     hidden_block_count_y
      - .offset:         104
        .size:           4
        .value_kind:     hidden_block_count_z
      - .offset:         108
        .size:           2
        .value_kind:     hidden_group_size_x
      - .offset:         110
        .size:           2
        .value_kind:     hidden_group_size_y
      - .offset:         112
        .size:           2
        .value_kind:     hidden_group_size_z
      - .offset:         114
        .size:           2
        .value_kind:     hidden_remainder_x
      - .offset:         116
        .size:           2
        .value_kind:     hidden_remainder_y
      - .offset:         118
        .size:           2
        .value_kind:     hidden_remainder_z
      - .offset:         136
        .size:           8
        .value_kind:     hidden_global_offset_x
      - .offset:         144
        .size:           8
        .value_kind:     hidden_global_offset_y
      - .offset:         152
        .size:           8
        .value_kind:     hidden_global_offset_z
      - .offset:         160
        .size:           2
        .value_kind:     hidden_grid_dims
    .group_segment_fixed_size: 0
    .kernarg_segment_align: 8
    .kernarg_segment_size: 352
    .language:       OpenCL C
    .language_version:
      - 2
      - 0
    .max_flat_workgroup_size: 256
    .name:           _ZN9rocsparseL21csrmvn_general_kernelILj256ELj4Eli21rocsparse_complex_numIdES2_S2_S2_EEvbT2_NS_24const_host_device_scalarIT6_EEPKT1_S9_PKS3_PKT3_PKT4_S6_PT5_21rocsparse_index_base_b
    .private_segment_fixed_size: 0
    .sgpr_count:     26
    .sgpr_spill_count: 0
    .symbol:         _ZN9rocsparseL21csrmvn_general_kernelILj256ELj4Eli21rocsparse_complex_numIdES2_S2_S2_EEvbT2_NS_24const_host_device_scalarIT6_EEPKT1_S9_PKS3_PKT3_PKT4_S6_PT5_21rocsparse_index_base_b.kd
    .uniform_work_group_size: 1
    .uses_dynamic_stack: false
    .vgpr_count:     36
    .vgpr_spill_count: 0
    .wavefront_size: 32
  - .args:
      - .offset:         0
        .size:           1
        .value_kind:     by_value
      - .offset:         4
        .size:           4
        .value_kind:     by_value
      - .offset:         8
        .size:           16
        .value_kind:     by_value
      - .address_space:  global
        .offset:         24
        .size:           8
        .value_kind:     global_buffer
      - .address_space:  global
        .offset:         32
        .size:           8
        .value_kind:     global_buffer
      - .actual_access:  read_only
        .address_space:  global
        .offset:         40
        .size:           8
        .value_kind:     global_buffer
      - .actual_access:  read_only
        .address_space:  global
        .offset:         48
        .size:           8
        .value_kind:     global_buffer
      - .actual_access:  read_only
        .address_space:  global
        .offset:         56
        .size:           8
        .value_kind:     global_buffer
      - .offset:         64
        .size:           16
        .value_kind:     by_value
      - .address_space:  global
        .offset:         80
        .size:           8
        .value_kind:     global_buffer
      - .offset:         88
        .size:           4
        .value_kind:     by_value
      - .offset:         92
        .size:           1
        .value_kind:     by_value
      - .offset:         96
        .size:           4
        .value_kind:     hidden_block_count_x
      - .offset:         100
        .size:           4
        .value_kind:     hidden_block_count_y
      - .offset:         104
        .size:           4
        .value_kind:     hidden_block_count_z
      - .offset:         108
        .size:           2
        .value_kind:     hidden_group_size_x
      - .offset:         110
        .size:           2
        .value_kind:     hidden_group_size_y
      - .offset:         112
        .size:           2
        .value_kind:     hidden_group_size_z
      - .offset:         114
        .size:           2
        .value_kind:     hidden_remainder_x
      - .offset:         116
        .size:           2
        .value_kind:     hidden_remainder_y
      - .offset:         118
        .size:           2
        .value_kind:     hidden_remainder_z
      - .offset:         136
        .size:           8
        .value_kind:     hidden_global_offset_x
      - .offset:         144
        .size:           8
        .value_kind:     hidden_global_offset_y
      - .offset:         152
        .size:           8
        .value_kind:     hidden_global_offset_z
      - .offset:         160
        .size:           2
        .value_kind:     hidden_grid_dims
    .group_segment_fixed_size: 0
    .kernarg_segment_align: 8
    .kernarg_segment_size: 352
    .language:       OpenCL C
    .language_version:
      - 2
      - 0
    .max_flat_workgroup_size: 256
    .name:           _ZN9rocsparseL21csrmvn_general_kernelILj256ELj8Eli21rocsparse_complex_numIdES2_S2_S2_EEvbT2_NS_24const_host_device_scalarIT6_EEPKT1_S9_PKS3_PKT3_PKT4_S6_PT5_21rocsparse_index_base_b
    .private_segment_fixed_size: 0
    .sgpr_count:     26
    .sgpr_spill_count: 0
    .symbol:         _ZN9rocsparseL21csrmvn_general_kernelILj256ELj8Eli21rocsparse_complex_numIdES2_S2_S2_EEvbT2_NS_24const_host_device_scalarIT6_EEPKT1_S9_PKS3_PKT3_PKT4_S6_PT5_21rocsparse_index_base_b.kd
    .uniform_work_group_size: 1
    .uses_dynamic_stack: false
    .vgpr_count:     38
    .vgpr_spill_count: 0
    .wavefront_size: 32
  - .args:
      - .offset:         0
        .size:           1
        .value_kind:     by_value
      - .offset:         4
        .size:           4
        .value_kind:     by_value
      - .offset:         8
        .size:           16
        .value_kind:     by_value
      - .address_space:  global
        .offset:         24
        .size:           8
        .value_kind:     global_buffer
      - .address_space:  global
        .offset:         32
        .size:           8
        .value_kind:     global_buffer
      - .actual_access:  read_only
        .address_space:  global
        .offset:         40
        .size:           8
        .value_kind:     global_buffer
      - .actual_access:  read_only
        .address_space:  global
        .offset:         48
        .size:           8
        .value_kind:     global_buffer
      - .actual_access:  read_only
        .address_space:  global
        .offset:         56
        .size:           8
        .value_kind:     global_buffer
      - .offset:         64
        .size:           16
        .value_kind:     by_value
      - .address_space:  global
        .offset:         80
        .size:           8
        .value_kind:     global_buffer
      - .offset:         88
        .size:           4
        .value_kind:     by_value
      - .offset:         92
        .size:           1
        .value_kind:     by_value
      - .offset:         96
        .size:           4
        .value_kind:     hidden_block_count_x
      - .offset:         100
        .size:           4
        .value_kind:     hidden_block_count_y
      - .offset:         104
        .size:           4
        .value_kind:     hidden_block_count_z
      - .offset:         108
        .size:           2
        .value_kind:     hidden_group_size_x
      - .offset:         110
        .size:           2
        .value_kind:     hidden_group_size_y
      - .offset:         112
        .size:           2
        .value_kind:     hidden_group_size_z
      - .offset:         114
        .size:           2
        .value_kind:     hidden_remainder_x
      - .offset:         116
        .size:           2
        .value_kind:     hidden_remainder_y
      - .offset:         118
        .size:           2
        .value_kind:     hidden_remainder_z
      - .offset:         136
        .size:           8
        .value_kind:     hidden_global_offset_x
      - .offset:         144
        .size:           8
        .value_kind:     hidden_global_offset_y
      - .offset:         152
        .size:           8
        .value_kind:     hidden_global_offset_z
      - .offset:         160
        .size:           2
        .value_kind:     hidden_grid_dims
    .group_segment_fixed_size: 0
    .kernarg_segment_align: 8
    .kernarg_segment_size: 352
    .language:       OpenCL C
    .language_version:
      - 2
      - 0
    .max_flat_workgroup_size: 256
    .name:           _ZN9rocsparseL21csrmvn_general_kernelILj256ELj16Eli21rocsparse_complex_numIdES2_S2_S2_EEvbT2_NS_24const_host_device_scalarIT6_EEPKT1_S9_PKS3_PKT3_PKT4_S6_PT5_21rocsparse_index_base_b
    .private_segment_fixed_size: 0
    .sgpr_count:     26
    .sgpr_spill_count: 0
    .symbol:         _ZN9rocsparseL21csrmvn_general_kernelILj256ELj16Eli21rocsparse_complex_numIdES2_S2_S2_EEvbT2_NS_24const_host_device_scalarIT6_EEPKT1_S9_PKS3_PKT3_PKT4_S6_PT5_21rocsparse_index_base_b.kd
    .uniform_work_group_size: 1
    .uses_dynamic_stack: false
    .vgpr_count:     38
    .vgpr_spill_count: 0
    .wavefront_size: 32
  - .args:
      - .offset:         0
        .size:           1
        .value_kind:     by_value
      - .offset:         4
        .size:           4
        .value_kind:     by_value
      - .offset:         8
        .size:           16
        .value_kind:     by_value
      - .address_space:  global
        .offset:         24
        .size:           8
        .value_kind:     global_buffer
      - .address_space:  global
        .offset:         32
        .size:           8
        .value_kind:     global_buffer
      - .actual_access:  read_only
        .address_space:  global
        .offset:         40
        .size:           8
        .value_kind:     global_buffer
      - .actual_access:  read_only
        .address_space:  global
        .offset:         48
        .size:           8
        .value_kind:     global_buffer
      - .actual_access:  read_only
        .address_space:  global
        .offset:         56
        .size:           8
        .value_kind:     global_buffer
      - .offset:         64
        .size:           16
        .value_kind:     by_value
      - .address_space:  global
        .offset:         80
        .size:           8
        .value_kind:     global_buffer
      - .offset:         88
        .size:           4
        .value_kind:     by_value
      - .offset:         92
        .size:           1
        .value_kind:     by_value
      - .offset:         96
        .size:           4
        .value_kind:     hidden_block_count_x
      - .offset:         100
        .size:           4
        .value_kind:     hidden_block_count_y
      - .offset:         104
        .size:           4
        .value_kind:     hidden_block_count_z
      - .offset:         108
        .size:           2
        .value_kind:     hidden_group_size_x
      - .offset:         110
        .size:           2
        .value_kind:     hidden_group_size_y
      - .offset:         112
        .size:           2
        .value_kind:     hidden_group_size_z
      - .offset:         114
        .size:           2
        .value_kind:     hidden_remainder_x
      - .offset:         116
        .size:           2
        .value_kind:     hidden_remainder_y
      - .offset:         118
        .size:           2
        .value_kind:     hidden_remainder_z
      - .offset:         136
        .size:           8
        .value_kind:     hidden_global_offset_x
      - .offset:         144
        .size:           8
        .value_kind:     hidden_global_offset_y
      - .offset:         152
        .size:           8
        .value_kind:     hidden_global_offset_z
      - .offset:         160
        .size:           2
        .value_kind:     hidden_grid_dims
    .group_segment_fixed_size: 0
    .kernarg_segment_align: 8
    .kernarg_segment_size: 352
    .language:       OpenCL C
    .language_version:
      - 2
      - 0
    .max_flat_workgroup_size: 256
    .name:           _ZN9rocsparseL21csrmvn_general_kernelILj256ELj32Eli21rocsparse_complex_numIdES2_S2_S2_EEvbT2_NS_24const_host_device_scalarIT6_EEPKT1_S9_PKS3_PKT3_PKT4_S6_PT5_21rocsparse_index_base_b
    .private_segment_fixed_size: 0
    .sgpr_count:     26
    .sgpr_spill_count: 0
    .symbol:         _ZN9rocsparseL21csrmvn_general_kernelILj256ELj32Eli21rocsparse_complex_numIdES2_S2_S2_EEvbT2_NS_24const_host_device_scalarIT6_EEPKT1_S9_PKS3_PKT3_PKT4_S6_PT5_21rocsparse_index_base_b.kd
    .uniform_work_group_size: 1
    .uses_dynamic_stack: false
    .vgpr_count:     40
    .vgpr_spill_count: 0
    .wavefront_size: 32
  - .args:
      - .offset:         0
        .size:           1
        .value_kind:     by_value
      - .offset:         4
        .size:           4
        .value_kind:     by_value
      - .offset:         8
        .size:           16
        .value_kind:     by_value
      - .address_space:  global
        .offset:         24
        .size:           8
        .value_kind:     global_buffer
      - .address_space:  global
        .offset:         32
        .size:           8
        .value_kind:     global_buffer
      - .actual_access:  read_only
        .address_space:  global
        .offset:         40
        .size:           8
        .value_kind:     global_buffer
      - .actual_access:  read_only
        .address_space:  global
        .offset:         48
        .size:           8
        .value_kind:     global_buffer
      - .actual_access:  read_only
        .address_space:  global
        .offset:         56
        .size:           8
        .value_kind:     global_buffer
      - .offset:         64
        .size:           16
        .value_kind:     by_value
      - .address_space:  global
        .offset:         80
        .size:           8
        .value_kind:     global_buffer
      - .offset:         88
        .size:           4
        .value_kind:     by_value
      - .offset:         92
        .size:           1
        .value_kind:     by_value
      - .offset:         96
        .size:           4
        .value_kind:     hidden_block_count_x
      - .offset:         100
        .size:           4
        .value_kind:     hidden_block_count_y
      - .offset:         104
        .size:           4
        .value_kind:     hidden_block_count_z
      - .offset:         108
        .size:           2
        .value_kind:     hidden_group_size_x
      - .offset:         110
        .size:           2
        .value_kind:     hidden_group_size_y
      - .offset:         112
        .size:           2
        .value_kind:     hidden_group_size_z
      - .offset:         114
        .size:           2
        .value_kind:     hidden_remainder_x
      - .offset:         116
        .size:           2
        .value_kind:     hidden_remainder_y
      - .offset:         118
        .size:           2
        .value_kind:     hidden_remainder_z
      - .offset:         136
        .size:           8
        .value_kind:     hidden_global_offset_x
      - .offset:         144
        .size:           8
        .value_kind:     hidden_global_offset_y
      - .offset:         152
        .size:           8
        .value_kind:     hidden_global_offset_z
      - .offset:         160
        .size:           2
        .value_kind:     hidden_grid_dims
    .group_segment_fixed_size: 0
    .kernarg_segment_align: 8
    .kernarg_segment_size: 352
    .language:       OpenCL C
    .language_version:
      - 2
      - 0
    .max_flat_workgroup_size: 256
    .name:           _ZN9rocsparseL21csrmvn_general_kernelILj256ELj64Eli21rocsparse_complex_numIdES2_S2_S2_EEvbT2_NS_24const_host_device_scalarIT6_EEPKT1_S9_PKS3_PKT3_PKT4_S6_PT5_21rocsparse_index_base_b
    .private_segment_fixed_size: 0
    .sgpr_count:     26
    .sgpr_spill_count: 0
    .symbol:         _ZN9rocsparseL21csrmvn_general_kernelILj256ELj64Eli21rocsparse_complex_numIdES2_S2_S2_EEvbT2_NS_24const_host_device_scalarIT6_EEPKT1_S9_PKS3_PKT3_PKT4_S6_PT5_21rocsparse_index_base_b.kd
    .uniform_work_group_size: 1
    .uses_dynamic_stack: false
    .vgpr_count:     40
    .vgpr_spill_count: 0
    .wavefront_size: 32
  - .args:
      - .offset:         0
        .size:           1
        .value_kind:     by_value
      - .offset:         1
        .size:           1
        .value_kind:     by_value
      - .offset:         4
        .size:           4
        .value_kind:     by_value
      - .offset:         8
        .size:           16
        .value_kind:     by_value
      - .address_space:  global
        .offset:         24
        .size:           8
        .value_kind:     global_buffer
      - .address_space:  global
        .offset:         32
        .size:           8
        .value_kind:     global_buffer
      - .actual_access:  read_only
        .address_space:  global
        .offset:         40
        .size:           8
        .value_kind:     global_buffer
      - .actual_access:  read_only
        .address_space:  global
        .offset:         48
        .size:           8
        .value_kind:     global_buffer
      - .actual_access:  read_only
        .address_space:  global
        .offset:         56
        .size:           8
        .value_kind:     global_buffer
      - .address_space:  global
        .offset:         64
        .size:           8
        .value_kind:     global_buffer
      - .offset:         72
        .size:           4
        .value_kind:     by_value
      - .offset:         76
        .size:           1
        .value_kind:     by_value
      - .offset:         80
        .size:           4
        .value_kind:     hidden_block_count_x
      - .offset:         84
        .size:           4
        .value_kind:     hidden_block_count_y
      - .offset:         88
        .size:           4
        .value_kind:     hidden_block_count_z
      - .offset:         92
        .size:           2
        .value_kind:     hidden_group_size_x
      - .offset:         94
        .size:           2
        .value_kind:     hidden_group_size_y
      - .offset:         96
        .size:           2
        .value_kind:     hidden_group_size_z
      - .offset:         98
        .size:           2
        .value_kind:     hidden_remainder_x
      - .offset:         100
        .size:           2
        .value_kind:     hidden_remainder_y
      - .offset:         102
        .size:           2
        .value_kind:     hidden_remainder_z
      - .offset:         120
        .size:           8
        .value_kind:     hidden_global_offset_x
      - .offset:         128
        .size:           8
        .value_kind:     hidden_global_offset_y
      - .offset:         136
        .size:           8
        .value_kind:     hidden_global_offset_z
      - .offset:         144
        .size:           2
        .value_kind:     hidden_grid_dims
    .group_segment_fixed_size: 0
    .kernarg_segment_align: 8
    .kernarg_segment_size: 336
    .language:       OpenCL C
    .language_version:
      - 2
      - 0
    .max_flat_workgroup_size: 256
    .name:           _ZN9rocsparseL21csrmvt_general_kernelILj256ELj4Eli21rocsparse_complex_numIdES2_S2_S2_EEvbbT2_NS_24const_host_device_scalarIT6_EEPKT1_S9_PKS3_PKT3_PKT4_PT5_21rocsparse_index_base_b
    .private_segment_fixed_size: 0
    .sgpr_count:     26
    .sgpr_spill_count: 0
    .symbol:         _ZN9rocsparseL21csrmvt_general_kernelILj256ELj4Eli21rocsparse_complex_numIdES2_S2_S2_EEvbbT2_NS_24const_host_device_scalarIT6_EEPKT1_S9_PKS3_PKT3_PKT4_PT5_21rocsparse_index_base_b.kd
    .uniform_work_group_size: 1
    .uses_dynamic_stack: false
    .vgpr_count:     30
    .vgpr_spill_count: 0
    .wavefront_size: 32
  - .args:
      - .offset:         0
        .size:           1
        .value_kind:     by_value
      - .offset:         1
        .size:           1
        .value_kind:     by_value
      - .offset:         4
        .size:           4
        .value_kind:     by_value
      - .offset:         8
        .size:           16
        .value_kind:     by_value
      - .address_space:  global
        .offset:         24
        .size:           8
        .value_kind:     global_buffer
      - .address_space:  global
        .offset:         32
        .size:           8
        .value_kind:     global_buffer
      - .actual_access:  read_only
        .address_space:  global
        .offset:         40
        .size:           8
        .value_kind:     global_buffer
      - .actual_access:  read_only
        .address_space:  global
        .offset:         48
        .size:           8
        .value_kind:     global_buffer
      - .actual_access:  read_only
        .address_space:  global
        .offset:         56
        .size:           8
        .value_kind:     global_buffer
      - .address_space:  global
        .offset:         64
        .size:           8
        .value_kind:     global_buffer
      - .offset:         72
        .size:           4
        .value_kind:     by_value
      - .offset:         76
        .size:           1
        .value_kind:     by_value
      - .offset:         80
        .size:           4
        .value_kind:     hidden_block_count_x
      - .offset:         84
        .size:           4
        .value_kind:     hidden_block_count_y
      - .offset:         88
        .size:           4
        .value_kind:     hidden_block_count_z
      - .offset:         92
        .size:           2
        .value_kind:     hidden_group_size_x
      - .offset:         94
        .size:           2
        .value_kind:     hidden_group_size_y
      - .offset:         96
        .size:           2
        .value_kind:     hidden_group_size_z
      - .offset:         98
        .size:           2
        .value_kind:     hidden_remainder_x
      - .offset:         100
        .size:           2
        .value_kind:     hidden_remainder_y
      - .offset:         102
        .size:           2
        .value_kind:     hidden_remainder_z
      - .offset:         120
        .size:           8
        .value_kind:     hidden_global_offset_x
      - .offset:         128
        .size:           8
        .value_kind:     hidden_global_offset_y
      - .offset:         136
        .size:           8
        .value_kind:     hidden_global_offset_z
      - .offset:         144
        .size:           2
        .value_kind:     hidden_grid_dims
    .group_segment_fixed_size: 0
    .kernarg_segment_align: 8
    .kernarg_segment_size: 336
    .language:       OpenCL C
    .language_version:
      - 2
      - 0
    .max_flat_workgroup_size: 256
    .name:           _ZN9rocsparseL21csrmvt_general_kernelILj256ELj8Eli21rocsparse_complex_numIdES2_S2_S2_EEvbbT2_NS_24const_host_device_scalarIT6_EEPKT1_S9_PKS3_PKT3_PKT4_PT5_21rocsparse_index_base_b
    .private_segment_fixed_size: 0
    .sgpr_count:     26
    .sgpr_spill_count: 0
    .symbol:         _ZN9rocsparseL21csrmvt_general_kernelILj256ELj8Eli21rocsparse_complex_numIdES2_S2_S2_EEvbbT2_NS_24const_host_device_scalarIT6_EEPKT1_S9_PKS3_PKT3_PKT4_PT5_21rocsparse_index_base_b.kd
    .uniform_work_group_size: 1
    .uses_dynamic_stack: false
    .vgpr_count:     30
    .vgpr_spill_count: 0
    .wavefront_size: 32
  - .args:
      - .offset:         0
        .size:           1
        .value_kind:     by_value
      - .offset:         1
        .size:           1
        .value_kind:     by_value
      - .offset:         4
        .size:           4
        .value_kind:     by_value
      - .offset:         8
        .size:           16
        .value_kind:     by_value
      - .address_space:  global
        .offset:         24
        .size:           8
        .value_kind:     global_buffer
      - .address_space:  global
        .offset:         32
        .size:           8
        .value_kind:     global_buffer
      - .actual_access:  read_only
        .address_space:  global
        .offset:         40
        .size:           8
        .value_kind:     global_buffer
      - .actual_access:  read_only
        .address_space:  global
        .offset:         48
        .size:           8
        .value_kind:     global_buffer
      - .actual_access:  read_only
        .address_space:  global
        .offset:         56
        .size:           8
        .value_kind:     global_buffer
      - .address_space:  global
        .offset:         64
        .size:           8
        .value_kind:     global_buffer
      - .offset:         72
        .size:           4
        .value_kind:     by_value
      - .offset:         76
        .size:           1
        .value_kind:     by_value
      - .offset:         80
        .size:           4
        .value_kind:     hidden_block_count_x
      - .offset:         84
        .size:           4
        .value_kind:     hidden_block_count_y
      - .offset:         88
        .size:           4
        .value_kind:     hidden_block_count_z
      - .offset:         92
        .size:           2
        .value_kind:     hidden_group_size_x
      - .offset:         94
        .size:           2
        .value_kind:     hidden_group_size_y
      - .offset:         96
        .size:           2
        .value_kind:     hidden_group_size_z
      - .offset:         98
        .size:           2
        .value_kind:     hidden_remainder_x
      - .offset:         100
        .size:           2
        .value_kind:     hidden_remainder_y
      - .offset:         102
        .size:           2
        .value_kind:     hidden_remainder_z
      - .offset:         120
        .size:           8
        .value_kind:     hidden_global_offset_x
      - .offset:         128
        .size:           8
        .value_kind:     hidden_global_offset_y
      - .offset:         136
        .size:           8
        .value_kind:     hidden_global_offset_z
      - .offset:         144
        .size:           2
        .value_kind:     hidden_grid_dims
    .group_segment_fixed_size: 0
    .kernarg_segment_align: 8
    .kernarg_segment_size: 336
    .language:       OpenCL C
    .language_version:
      - 2
      - 0
    .max_flat_workgroup_size: 256
    .name:           _ZN9rocsparseL21csrmvt_general_kernelILj256ELj16Eli21rocsparse_complex_numIdES2_S2_S2_EEvbbT2_NS_24const_host_device_scalarIT6_EEPKT1_S9_PKS3_PKT3_PKT4_PT5_21rocsparse_index_base_b
    .private_segment_fixed_size: 0
    .sgpr_count:     26
    .sgpr_spill_count: 0
    .symbol:         _ZN9rocsparseL21csrmvt_general_kernelILj256ELj16Eli21rocsparse_complex_numIdES2_S2_S2_EEvbbT2_NS_24const_host_device_scalarIT6_EEPKT1_S9_PKS3_PKT3_PKT4_PT5_21rocsparse_index_base_b.kd
    .uniform_work_group_size: 1
    .uses_dynamic_stack: false
    .vgpr_count:     30
    .vgpr_spill_count: 0
    .wavefront_size: 32
  - .args:
      - .offset:         0
        .size:           1
        .value_kind:     by_value
      - .offset:         1
        .size:           1
        .value_kind:     by_value
      - .offset:         4
        .size:           4
        .value_kind:     by_value
      - .offset:         8
        .size:           16
        .value_kind:     by_value
      - .address_space:  global
        .offset:         24
        .size:           8
        .value_kind:     global_buffer
      - .address_space:  global
        .offset:         32
        .size:           8
        .value_kind:     global_buffer
      - .actual_access:  read_only
        .address_space:  global
        .offset:         40
        .size:           8
        .value_kind:     global_buffer
      - .actual_access:  read_only
        .address_space:  global
        .offset:         48
        .size:           8
        .value_kind:     global_buffer
      - .actual_access:  read_only
        .address_space:  global
        .offset:         56
        .size:           8
        .value_kind:     global_buffer
      - .address_space:  global
        .offset:         64
        .size:           8
        .value_kind:     global_buffer
      - .offset:         72
        .size:           4
        .value_kind:     by_value
      - .offset:         76
        .size:           1
        .value_kind:     by_value
      - .offset:         80
        .size:           4
        .value_kind:     hidden_block_count_x
      - .offset:         84
        .size:           4
        .value_kind:     hidden_block_count_y
      - .offset:         88
        .size:           4
        .value_kind:     hidden_block_count_z
      - .offset:         92
        .size:           2
        .value_kind:     hidden_group_size_x
      - .offset:         94
        .size:           2
        .value_kind:     hidden_group_size_y
      - .offset:         96
        .size:           2
        .value_kind:     hidden_group_size_z
      - .offset:         98
        .size:           2
        .value_kind:     hidden_remainder_x
      - .offset:         100
        .size:           2
        .value_kind:     hidden_remainder_y
      - .offset:         102
        .size:           2
        .value_kind:     hidden_remainder_z
      - .offset:         120
        .size:           8
        .value_kind:     hidden_global_offset_x
      - .offset:         128
        .size:           8
        .value_kind:     hidden_global_offset_y
      - .offset:         136
        .size:           8
        .value_kind:     hidden_global_offset_z
      - .offset:         144
        .size:           2
        .value_kind:     hidden_grid_dims
    .group_segment_fixed_size: 0
    .kernarg_segment_align: 8
    .kernarg_segment_size: 336
    .language:       OpenCL C
    .language_version:
      - 2
      - 0
    .max_flat_workgroup_size: 256
    .name:           _ZN9rocsparseL21csrmvt_general_kernelILj256ELj32Eli21rocsparse_complex_numIdES2_S2_S2_EEvbbT2_NS_24const_host_device_scalarIT6_EEPKT1_S9_PKS3_PKT3_PKT4_PT5_21rocsparse_index_base_b
    .private_segment_fixed_size: 0
    .sgpr_count:     26
    .sgpr_spill_count: 0
    .symbol:         _ZN9rocsparseL21csrmvt_general_kernelILj256ELj32Eli21rocsparse_complex_numIdES2_S2_S2_EEvbbT2_NS_24const_host_device_scalarIT6_EEPKT1_S9_PKS3_PKT3_PKT4_PT5_21rocsparse_index_base_b.kd
    .uniform_work_group_size: 1
    .uses_dynamic_stack: false
    .vgpr_count:     30
    .vgpr_spill_count: 0
    .wavefront_size: 32
  - .args:
      - .offset:         0
        .size:           1
        .value_kind:     by_value
      - .offset:         1
        .size:           1
        .value_kind:     by_value
      - .offset:         4
        .size:           4
        .value_kind:     by_value
      - .offset:         8
        .size:           16
        .value_kind:     by_value
      - .address_space:  global
        .offset:         24
        .size:           8
        .value_kind:     global_buffer
      - .address_space:  global
        .offset:         32
        .size:           8
        .value_kind:     global_buffer
      - .actual_access:  read_only
        .address_space:  global
        .offset:         40
        .size:           8
        .value_kind:     global_buffer
      - .actual_access:  read_only
        .address_space:  global
        .offset:         48
        .size:           8
        .value_kind:     global_buffer
      - .actual_access:  read_only
        .address_space:  global
        .offset:         56
        .size:           8
        .value_kind:     global_buffer
      - .address_space:  global
        .offset:         64
        .size:           8
        .value_kind:     global_buffer
      - .offset:         72
        .size:           4
        .value_kind:     by_value
      - .offset:         76
        .size:           1
        .value_kind:     by_value
      - .offset:         80
        .size:           4
        .value_kind:     hidden_block_count_x
      - .offset:         84
        .size:           4
        .value_kind:     hidden_block_count_y
      - .offset:         88
        .size:           4
        .value_kind:     hidden_block_count_z
      - .offset:         92
        .size:           2
        .value_kind:     hidden_group_size_x
      - .offset:         94
        .size:           2
        .value_kind:     hidden_group_size_y
      - .offset:         96
        .size:           2
        .value_kind:     hidden_group_size_z
      - .offset:         98
        .size:           2
        .value_kind:     hidden_remainder_x
      - .offset:         100
        .size:           2
        .value_kind:     hidden_remainder_y
      - .offset:         102
        .size:           2
        .value_kind:     hidden_remainder_z
      - .offset:         120
        .size:           8
        .value_kind:     hidden_global_offset_x
      - .offset:         128
        .size:           8
        .value_kind:     hidden_global_offset_y
      - .offset:         136
        .size:           8
        .value_kind:     hidden_global_offset_z
      - .offset:         144
        .size:           2
        .value_kind:     hidden_grid_dims
    .group_segment_fixed_size: 0
    .kernarg_segment_align: 8
    .kernarg_segment_size: 336
    .language:       OpenCL C
    .language_version:
      - 2
      - 0
    .max_flat_workgroup_size: 256
    .name:           _ZN9rocsparseL21csrmvt_general_kernelILj256ELj64Eli21rocsparse_complex_numIdES2_S2_S2_EEvbbT2_NS_24const_host_device_scalarIT6_EEPKT1_S9_PKS3_PKT3_PKT4_PT5_21rocsparse_index_base_b
    .private_segment_fixed_size: 0
    .sgpr_count:     26
    .sgpr_spill_count: 0
    .symbol:         _ZN9rocsparseL21csrmvt_general_kernelILj256ELj64Eli21rocsparse_complex_numIdES2_S2_S2_EEvbbT2_NS_24const_host_device_scalarIT6_EEPKT1_S9_PKS3_PKT3_PKT4_PT5_21rocsparse_index_base_b.kd
    .uniform_work_group_size: 1
    .uses_dynamic_stack: false
    .vgpr_count:     30
    .vgpr_spill_count: 0
    .wavefront_size: 32
  - .args:
      - .offset:         0
        .size:           1
        .value_kind:     by_value
      - .offset:         8
        .size:           8
        .value_kind:     by_value
      - .offset:         16
        .size:           16
        .value_kind:     by_value
      - .address_space:  global
        .offset:         32
        .size:           8
        .value_kind:     global_buffer
      - .address_space:  global
        .offset:         40
        .size:           8
        .value_kind:     global_buffer
      - .actual_access:  read_only
        .address_space:  global
        .offset:         48
        .size:           8
        .value_kind:     global_buffer
      - .actual_access:  read_only
        .address_space:  global
        .offset:         56
        .size:           8
        .value_kind:     global_buffer
      - .actual_access:  read_only
        .address_space:  global
        .offset:         64
        .size:           8
        .value_kind:     global_buffer
      - .offset:         72
        .size:           16
        .value_kind:     by_value
      - .address_space:  global
        .offset:         88
        .size:           8
        .value_kind:     global_buffer
      - .offset:         96
        .size:           4
        .value_kind:     by_value
      - .offset:         100
        .size:           1
        .value_kind:     by_value
      - .offset:         104
        .size:           4
        .value_kind:     hidden_block_count_x
      - .offset:         108
        .size:           4
        .value_kind:     hidden_block_count_y
      - .offset:         112
        .size:           4
        .value_kind:     hidden_block_count_z
      - .offset:         116
        .size:           2
        .value_kind:     hidden_group_size_x
      - .offset:         118
        .size:           2
        .value_kind:     hidden_group_size_y
      - .offset:         120
        .size:           2
        .value_kind:     hidden_group_size_z
      - .offset:         122
        .size:           2
        .value_kind:     hidden_remainder_x
      - .offset:         124
        .size:           2
        .value_kind:     hidden_remainder_y
      - .offset:         126
        .size:           2
        .value_kind:     hidden_remainder_z
      - .offset:         144
        .size:           8
        .value_kind:     hidden_global_offset_x
      - .offset:         152
        .size:           8
        .value_kind:     hidden_global_offset_y
      - .offset:         160
        .size:           8
        .value_kind:     hidden_global_offset_z
      - .offset:         168
        .size:           2
        .value_kind:     hidden_grid_dims
    .group_segment_fixed_size: 0
    .kernarg_segment_align: 8
    .kernarg_segment_size: 360
    .language:       OpenCL C
    .language_version:
      - 2
      - 0
    .max_flat_workgroup_size: 256
    .name:           _ZN9rocsparseL21csrmvn_general_kernelILj256ELj2Ell21rocsparse_complex_numIdES2_S2_S2_EEvbT2_NS_24const_host_device_scalarIT6_EEPKT1_S9_PKS3_PKT3_PKT4_S6_PT5_21rocsparse_index_base_b
    .private_segment_fixed_size: 0
    .sgpr_count:     26
    .sgpr_spill_count: 0
    .symbol:         _ZN9rocsparseL21csrmvn_general_kernelILj256ELj2Ell21rocsparse_complex_numIdES2_S2_S2_EEvbT2_NS_24const_host_device_scalarIT6_EEPKT1_S9_PKS3_PKT3_PKT4_S6_PT5_21rocsparse_index_base_b.kd
    .uniform_work_group_size: 1
    .uses_dynamic_stack: false
    .vgpr_count:     36
    .vgpr_spill_count: 0
    .wavefront_size: 32
  - .args:
      - .offset:         0
        .size:           1
        .value_kind:     by_value
      - .offset:         8
        .size:           8
        .value_kind:     by_value
      - .offset:         16
        .size:           16
        .value_kind:     by_value
      - .address_space:  global
        .offset:         32
        .size:           8
        .value_kind:     global_buffer
      - .address_space:  global
        .offset:         40
        .size:           8
        .value_kind:     global_buffer
      - .actual_access:  read_only
        .address_space:  global
        .offset:         48
        .size:           8
        .value_kind:     global_buffer
      - .actual_access:  read_only
        .address_space:  global
        .offset:         56
        .size:           8
        .value_kind:     global_buffer
      - .actual_access:  read_only
        .address_space:  global
        .offset:         64
        .size:           8
        .value_kind:     global_buffer
      - .offset:         72
        .size:           16
        .value_kind:     by_value
      - .address_space:  global
        .offset:         88
        .size:           8
        .value_kind:     global_buffer
      - .offset:         96
        .size:           4
        .value_kind:     by_value
      - .offset:         100
        .size:           1
        .value_kind:     by_value
      - .offset:         104
        .size:           4
        .value_kind:     hidden_block_count_x
      - .offset:         108
        .size:           4
        .value_kind:     hidden_block_count_y
      - .offset:         112
        .size:           4
        .value_kind:     hidden_block_count_z
      - .offset:         116
        .size:           2
        .value_kind:     hidden_group_size_x
      - .offset:         118
        .size:           2
        .value_kind:     hidden_group_size_y
      - .offset:         120
        .size:           2
        .value_kind:     hidden_group_size_z
      - .offset:         122
        .size:           2
        .value_kind:     hidden_remainder_x
      - .offset:         124
        .size:           2
        .value_kind:     hidden_remainder_y
      - .offset:         126
        .size:           2
        .value_kind:     hidden_remainder_z
      - .offset:         144
        .size:           8
        .value_kind:     hidden_global_offset_x
      - .offset:         152
        .size:           8
        .value_kind:     hidden_global_offset_y
      - .offset:         160
        .size:           8
        .value_kind:     hidden_global_offset_z
      - .offset:         168
        .size:           2
        .value_kind:     hidden_grid_dims
    .group_segment_fixed_size: 0
    .kernarg_segment_align: 8
    .kernarg_segment_size: 360
    .language:       OpenCL C
    .language_version:
      - 2
      - 0
    .max_flat_workgroup_size: 256
    .name:           _ZN9rocsparseL21csrmvn_general_kernelILj256ELj4Ell21rocsparse_complex_numIdES2_S2_S2_EEvbT2_NS_24const_host_device_scalarIT6_EEPKT1_S9_PKS3_PKT3_PKT4_S6_PT5_21rocsparse_index_base_b
    .private_segment_fixed_size: 0
    .sgpr_count:     26
    .sgpr_spill_count: 0
    .symbol:         _ZN9rocsparseL21csrmvn_general_kernelILj256ELj4Ell21rocsparse_complex_numIdES2_S2_S2_EEvbT2_NS_24const_host_device_scalarIT6_EEPKT1_S9_PKS3_PKT3_PKT4_S6_PT5_21rocsparse_index_base_b.kd
    .uniform_work_group_size: 1
    .uses_dynamic_stack: false
    .vgpr_count:     36
    .vgpr_spill_count: 0
    .wavefront_size: 32
  - .args:
      - .offset:         0
        .size:           1
        .value_kind:     by_value
      - .offset:         8
        .size:           8
        .value_kind:     by_value
      - .offset:         16
        .size:           16
        .value_kind:     by_value
      - .address_space:  global
        .offset:         32
        .size:           8
        .value_kind:     global_buffer
      - .address_space:  global
        .offset:         40
        .size:           8
        .value_kind:     global_buffer
      - .actual_access:  read_only
        .address_space:  global
        .offset:         48
        .size:           8
        .value_kind:     global_buffer
      - .actual_access:  read_only
        .address_space:  global
        .offset:         56
        .size:           8
        .value_kind:     global_buffer
      - .actual_access:  read_only
        .address_space:  global
        .offset:         64
        .size:           8
        .value_kind:     global_buffer
      - .offset:         72
        .size:           16
        .value_kind:     by_value
      - .address_space:  global
        .offset:         88
        .size:           8
        .value_kind:     global_buffer
      - .offset:         96
        .size:           4
        .value_kind:     by_value
      - .offset:         100
        .size:           1
        .value_kind:     by_value
      - .offset:         104
        .size:           4
        .value_kind:     hidden_block_count_x
      - .offset:         108
        .size:           4
        .value_kind:     hidden_block_count_y
      - .offset:         112
        .size:           4
        .value_kind:     hidden_block_count_z
      - .offset:         116
        .size:           2
        .value_kind:     hidden_group_size_x
      - .offset:         118
        .size:           2
        .value_kind:     hidden_group_size_y
      - .offset:         120
        .size:           2
        .value_kind:     hidden_group_size_z
      - .offset:         122
        .size:           2
        .value_kind:     hidden_remainder_x
      - .offset:         124
        .size:           2
        .value_kind:     hidden_remainder_y
      - .offset:         126
        .size:           2
        .value_kind:     hidden_remainder_z
      - .offset:         144
        .size:           8
        .value_kind:     hidden_global_offset_x
      - .offset:         152
        .size:           8
        .value_kind:     hidden_global_offset_y
      - .offset:         160
        .size:           8
        .value_kind:     hidden_global_offset_z
      - .offset:         168
        .size:           2
        .value_kind:     hidden_grid_dims
    .group_segment_fixed_size: 0
    .kernarg_segment_align: 8
    .kernarg_segment_size: 360
    .language:       OpenCL C
    .language_version:
      - 2
      - 0
    .max_flat_workgroup_size: 256
    .name:           _ZN9rocsparseL21csrmvn_general_kernelILj256ELj8Ell21rocsparse_complex_numIdES2_S2_S2_EEvbT2_NS_24const_host_device_scalarIT6_EEPKT1_S9_PKS3_PKT3_PKT4_S6_PT5_21rocsparse_index_base_b
    .private_segment_fixed_size: 0
    .sgpr_count:     26
    .sgpr_spill_count: 0
    .symbol:         _ZN9rocsparseL21csrmvn_general_kernelILj256ELj8Ell21rocsparse_complex_numIdES2_S2_S2_EEvbT2_NS_24const_host_device_scalarIT6_EEPKT1_S9_PKS3_PKT3_PKT4_S6_PT5_21rocsparse_index_base_b.kd
    .uniform_work_group_size: 1
    .uses_dynamic_stack: false
    .vgpr_count:     38
    .vgpr_spill_count: 0
    .wavefront_size: 32
  - .args:
      - .offset:         0
        .size:           1
        .value_kind:     by_value
      - .offset:         8
        .size:           8
        .value_kind:     by_value
      - .offset:         16
        .size:           16
        .value_kind:     by_value
      - .address_space:  global
        .offset:         32
        .size:           8
        .value_kind:     global_buffer
      - .address_space:  global
        .offset:         40
        .size:           8
        .value_kind:     global_buffer
      - .actual_access:  read_only
        .address_space:  global
        .offset:         48
        .size:           8
        .value_kind:     global_buffer
      - .actual_access:  read_only
        .address_space:  global
        .offset:         56
        .size:           8
        .value_kind:     global_buffer
      - .actual_access:  read_only
        .address_space:  global
        .offset:         64
        .size:           8
        .value_kind:     global_buffer
      - .offset:         72
        .size:           16
        .value_kind:     by_value
      - .address_space:  global
        .offset:         88
        .size:           8
        .value_kind:     global_buffer
      - .offset:         96
        .size:           4
        .value_kind:     by_value
      - .offset:         100
        .size:           1
        .value_kind:     by_value
      - .offset:         104
        .size:           4
        .value_kind:     hidden_block_count_x
      - .offset:         108
        .size:           4
        .value_kind:     hidden_block_count_y
      - .offset:         112
        .size:           4
        .value_kind:     hidden_block_count_z
      - .offset:         116
        .size:           2
        .value_kind:     hidden_group_size_x
      - .offset:         118
        .size:           2
        .value_kind:     hidden_group_size_y
      - .offset:         120
        .size:           2
        .value_kind:     hidden_group_size_z
      - .offset:         122
        .size:           2
        .value_kind:     hidden_remainder_x
      - .offset:         124
        .size:           2
        .value_kind:     hidden_remainder_y
      - .offset:         126
        .size:           2
        .value_kind:     hidden_remainder_z
      - .offset:         144
        .size:           8
        .value_kind:     hidden_global_offset_x
      - .offset:         152
        .size:           8
        .value_kind:     hidden_global_offset_y
      - .offset:         160
        .size:           8
        .value_kind:     hidden_global_offset_z
      - .offset:         168
        .size:           2
        .value_kind:     hidden_grid_dims
    .group_segment_fixed_size: 0
    .kernarg_segment_align: 8
    .kernarg_segment_size: 360
    .language:       OpenCL C
    .language_version:
      - 2
      - 0
    .max_flat_workgroup_size: 256
    .name:           _ZN9rocsparseL21csrmvn_general_kernelILj256ELj16Ell21rocsparse_complex_numIdES2_S2_S2_EEvbT2_NS_24const_host_device_scalarIT6_EEPKT1_S9_PKS3_PKT3_PKT4_S6_PT5_21rocsparse_index_base_b
    .private_segment_fixed_size: 0
    .sgpr_count:     26
    .sgpr_spill_count: 0
    .symbol:         _ZN9rocsparseL21csrmvn_general_kernelILj256ELj16Ell21rocsparse_complex_numIdES2_S2_S2_EEvbT2_NS_24const_host_device_scalarIT6_EEPKT1_S9_PKS3_PKT3_PKT4_S6_PT5_21rocsparse_index_base_b.kd
    .uniform_work_group_size: 1
    .uses_dynamic_stack: false
    .vgpr_count:     38
    .vgpr_spill_count: 0
    .wavefront_size: 32
  - .args:
      - .offset:         0
        .size:           1
        .value_kind:     by_value
      - .offset:         8
        .size:           8
        .value_kind:     by_value
      - .offset:         16
        .size:           16
        .value_kind:     by_value
      - .address_space:  global
        .offset:         32
        .size:           8
        .value_kind:     global_buffer
      - .address_space:  global
        .offset:         40
        .size:           8
        .value_kind:     global_buffer
      - .actual_access:  read_only
        .address_space:  global
        .offset:         48
        .size:           8
        .value_kind:     global_buffer
      - .actual_access:  read_only
        .address_space:  global
        .offset:         56
        .size:           8
        .value_kind:     global_buffer
      - .actual_access:  read_only
        .address_space:  global
        .offset:         64
        .size:           8
        .value_kind:     global_buffer
      - .offset:         72
        .size:           16
        .value_kind:     by_value
      - .address_space:  global
        .offset:         88
        .size:           8
        .value_kind:     global_buffer
      - .offset:         96
        .size:           4
        .value_kind:     by_value
      - .offset:         100
        .size:           1
        .value_kind:     by_value
      - .offset:         104
        .size:           4
        .value_kind:     hidden_block_count_x
      - .offset:         108
        .size:           4
        .value_kind:     hidden_block_count_y
      - .offset:         112
        .size:           4
        .value_kind:     hidden_block_count_z
      - .offset:         116
        .size:           2
        .value_kind:     hidden_group_size_x
      - .offset:         118
        .size:           2
        .value_kind:     hidden_group_size_y
      - .offset:         120
        .size:           2
        .value_kind:     hidden_group_size_z
      - .offset:         122
        .size:           2
        .value_kind:     hidden_remainder_x
      - .offset:         124
        .size:           2
        .value_kind:     hidden_remainder_y
      - .offset:         126
        .size:           2
        .value_kind:     hidden_remainder_z
      - .offset:         144
        .size:           8
        .value_kind:     hidden_global_offset_x
      - .offset:         152
        .size:           8
        .value_kind:     hidden_global_offset_y
      - .offset:         160
        .size:           8
        .value_kind:     hidden_global_offset_z
      - .offset:         168
        .size:           2
        .value_kind:     hidden_grid_dims
    .group_segment_fixed_size: 0
    .kernarg_segment_align: 8
    .kernarg_segment_size: 360
    .language:       OpenCL C
    .language_version:
      - 2
      - 0
    .max_flat_workgroup_size: 256
    .name:           _ZN9rocsparseL21csrmvn_general_kernelILj256ELj32Ell21rocsparse_complex_numIdES2_S2_S2_EEvbT2_NS_24const_host_device_scalarIT6_EEPKT1_S9_PKS3_PKT3_PKT4_S6_PT5_21rocsparse_index_base_b
    .private_segment_fixed_size: 0
    .sgpr_count:     26
    .sgpr_spill_count: 0
    .symbol:         _ZN9rocsparseL21csrmvn_general_kernelILj256ELj32Ell21rocsparse_complex_numIdES2_S2_S2_EEvbT2_NS_24const_host_device_scalarIT6_EEPKT1_S9_PKS3_PKT3_PKT4_S6_PT5_21rocsparse_index_base_b.kd
    .uniform_work_group_size: 1
    .uses_dynamic_stack: false
    .vgpr_count:     40
    .vgpr_spill_count: 0
    .wavefront_size: 32
  - .args:
      - .offset:         0
        .size:           1
        .value_kind:     by_value
      - .offset:         8
        .size:           8
        .value_kind:     by_value
      - .offset:         16
        .size:           16
        .value_kind:     by_value
      - .address_space:  global
        .offset:         32
        .size:           8
        .value_kind:     global_buffer
      - .address_space:  global
        .offset:         40
        .size:           8
        .value_kind:     global_buffer
      - .actual_access:  read_only
        .address_space:  global
        .offset:         48
        .size:           8
        .value_kind:     global_buffer
      - .actual_access:  read_only
        .address_space:  global
        .offset:         56
        .size:           8
        .value_kind:     global_buffer
      - .actual_access:  read_only
        .address_space:  global
        .offset:         64
        .size:           8
        .value_kind:     global_buffer
      - .offset:         72
        .size:           16
        .value_kind:     by_value
      - .address_space:  global
        .offset:         88
        .size:           8
        .value_kind:     global_buffer
      - .offset:         96
        .size:           4
        .value_kind:     by_value
      - .offset:         100
        .size:           1
        .value_kind:     by_value
      - .offset:         104
        .size:           4
        .value_kind:     hidden_block_count_x
      - .offset:         108
        .size:           4
        .value_kind:     hidden_block_count_y
      - .offset:         112
        .size:           4
        .value_kind:     hidden_block_count_z
      - .offset:         116
        .size:           2
        .value_kind:     hidden_group_size_x
      - .offset:         118
        .size:           2
        .value_kind:     hidden_group_size_y
      - .offset:         120
        .size:           2
        .value_kind:     hidden_group_size_z
      - .offset:         122
        .size:           2
        .value_kind:     hidden_remainder_x
      - .offset:         124
        .size:           2
        .value_kind:     hidden_remainder_y
      - .offset:         126
        .size:           2
        .value_kind:     hidden_remainder_z
      - .offset:         144
        .size:           8
        .value_kind:     hidden_global_offset_x
      - .offset:         152
        .size:           8
        .value_kind:     hidden_global_offset_y
      - .offset:         160
        .size:           8
        .value_kind:     hidden_global_offset_z
      - .offset:         168
        .size:           2
        .value_kind:     hidden_grid_dims
    .group_segment_fixed_size: 0
    .kernarg_segment_align: 8
    .kernarg_segment_size: 360
    .language:       OpenCL C
    .language_version:
      - 2
      - 0
    .max_flat_workgroup_size: 256
    .name:           _ZN9rocsparseL21csrmvn_general_kernelILj256ELj64Ell21rocsparse_complex_numIdES2_S2_S2_EEvbT2_NS_24const_host_device_scalarIT6_EEPKT1_S9_PKS3_PKT3_PKT4_S6_PT5_21rocsparse_index_base_b
    .private_segment_fixed_size: 0
    .sgpr_count:     26
    .sgpr_spill_count: 0
    .symbol:         _ZN9rocsparseL21csrmvn_general_kernelILj256ELj64Ell21rocsparse_complex_numIdES2_S2_S2_EEvbT2_NS_24const_host_device_scalarIT6_EEPKT1_S9_PKS3_PKT3_PKT4_S6_PT5_21rocsparse_index_base_b.kd
    .uniform_work_group_size: 1
    .uses_dynamic_stack: false
    .vgpr_count:     40
    .vgpr_spill_count: 0
    .wavefront_size: 32
  - .args:
      - .offset:         0
        .size:           1
        .value_kind:     by_value
      - .offset:         1
        .size:           1
        .value_kind:     by_value
      - .offset:         8
        .size:           8
        .value_kind:     by_value
      - .offset:         16
        .size:           16
        .value_kind:     by_value
      - .address_space:  global
        .offset:         32
        .size:           8
        .value_kind:     global_buffer
      - .address_space:  global
        .offset:         40
        .size:           8
        .value_kind:     global_buffer
      - .actual_access:  read_only
        .address_space:  global
        .offset:         48
        .size:           8
        .value_kind:     global_buffer
      - .actual_access:  read_only
        .address_space:  global
        .offset:         56
        .size:           8
        .value_kind:     global_buffer
      - .actual_access:  read_only
        .address_space:  global
        .offset:         64
        .size:           8
        .value_kind:     global_buffer
      - .address_space:  global
        .offset:         72
        .size:           8
        .value_kind:     global_buffer
      - .offset:         80
        .size:           4
        .value_kind:     by_value
      - .offset:         84
        .size:           1
        .value_kind:     by_value
      - .offset:         88
        .size:           4
        .value_kind:     hidden_block_count_x
      - .offset:         92
        .size:           4
        .value_kind:     hidden_block_count_y
      - .offset:         96
        .size:           4
        .value_kind:     hidden_block_count_z
      - .offset:         100
        .size:           2
        .value_kind:     hidden_group_size_x
      - .offset:         102
        .size:           2
        .value_kind:     hidden_group_size_y
      - .offset:         104
        .size:           2
        .value_kind:     hidden_group_size_z
      - .offset:         106
        .size:           2
        .value_kind:     hidden_remainder_x
      - .offset:         108
        .size:           2
        .value_kind:     hidden_remainder_y
      - .offset:         110
        .size:           2
        .value_kind:     hidden_remainder_z
      - .offset:         128
        .size:           8
        .value_kind:     hidden_global_offset_x
      - .offset:         136
        .size:           8
        .value_kind:     hidden_global_offset_y
      - .offset:         144
        .size:           8
        .value_kind:     hidden_global_offset_z
      - .offset:         152
        .size:           2
        .value_kind:     hidden_grid_dims
    .group_segment_fixed_size: 0
    .kernarg_segment_align: 8
    .kernarg_segment_size: 344
    .language:       OpenCL C
    .language_version:
      - 2
      - 0
    .max_flat_workgroup_size: 256
    .name:           _ZN9rocsparseL21csrmvt_general_kernelILj256ELj4Ell21rocsparse_complex_numIdES2_S2_S2_EEvbbT2_NS_24const_host_device_scalarIT6_EEPKT1_S9_PKS3_PKT3_PKT4_PT5_21rocsparse_index_base_b
    .private_segment_fixed_size: 0
    .sgpr_count:     28
    .sgpr_spill_count: 0
    .symbol:         _ZN9rocsparseL21csrmvt_general_kernelILj256ELj4Ell21rocsparse_complex_numIdES2_S2_S2_EEvbbT2_NS_24const_host_device_scalarIT6_EEPKT1_S9_PKS3_PKT3_PKT4_PT5_21rocsparse_index_base_b.kd
    .uniform_work_group_size: 1
    .uses_dynamic_stack: false
    .vgpr_count:     32
    .vgpr_spill_count: 0
    .wavefront_size: 32
  - .args:
      - .offset:         0
        .size:           1
        .value_kind:     by_value
      - .offset:         1
        .size:           1
        .value_kind:     by_value
      - .offset:         8
        .size:           8
        .value_kind:     by_value
      - .offset:         16
        .size:           16
        .value_kind:     by_value
      - .address_space:  global
        .offset:         32
        .size:           8
        .value_kind:     global_buffer
      - .address_space:  global
        .offset:         40
        .size:           8
        .value_kind:     global_buffer
      - .actual_access:  read_only
        .address_space:  global
        .offset:         48
        .size:           8
        .value_kind:     global_buffer
      - .actual_access:  read_only
        .address_space:  global
        .offset:         56
        .size:           8
        .value_kind:     global_buffer
      - .actual_access:  read_only
        .address_space:  global
        .offset:         64
        .size:           8
        .value_kind:     global_buffer
      - .address_space:  global
        .offset:         72
        .size:           8
        .value_kind:     global_buffer
      - .offset:         80
        .size:           4
        .value_kind:     by_value
      - .offset:         84
        .size:           1
        .value_kind:     by_value
      - .offset:         88
        .size:           4
        .value_kind:     hidden_block_count_x
      - .offset:         92
        .size:           4
        .value_kind:     hidden_block_count_y
      - .offset:         96
        .size:           4
        .value_kind:     hidden_block_count_z
      - .offset:         100
        .size:           2
        .value_kind:     hidden_group_size_x
      - .offset:         102
        .size:           2
        .value_kind:     hidden_group_size_y
      - .offset:         104
        .size:           2
        .value_kind:     hidden_group_size_z
      - .offset:         106
        .size:           2
        .value_kind:     hidden_remainder_x
      - .offset:         108
        .size:           2
        .value_kind:     hidden_remainder_y
      - .offset:         110
        .size:           2
        .value_kind:     hidden_remainder_z
      - .offset:         128
        .size:           8
        .value_kind:     hidden_global_offset_x
      - .offset:         136
        .size:           8
        .value_kind:     hidden_global_offset_y
      - .offset:         144
        .size:           8
        .value_kind:     hidden_global_offset_z
      - .offset:         152
        .size:           2
        .value_kind:     hidden_grid_dims
    .group_segment_fixed_size: 0
    .kernarg_segment_align: 8
    .kernarg_segment_size: 344
    .language:       OpenCL C
    .language_version:
      - 2
      - 0
    .max_flat_workgroup_size: 256
    .name:           _ZN9rocsparseL21csrmvt_general_kernelILj256ELj8Ell21rocsparse_complex_numIdES2_S2_S2_EEvbbT2_NS_24const_host_device_scalarIT6_EEPKT1_S9_PKS3_PKT3_PKT4_PT5_21rocsparse_index_base_b
    .private_segment_fixed_size: 0
    .sgpr_count:     28
    .sgpr_spill_count: 0
    .symbol:         _ZN9rocsparseL21csrmvt_general_kernelILj256ELj8Ell21rocsparse_complex_numIdES2_S2_S2_EEvbbT2_NS_24const_host_device_scalarIT6_EEPKT1_S9_PKS3_PKT3_PKT4_PT5_21rocsparse_index_base_b.kd
    .uniform_work_group_size: 1
    .uses_dynamic_stack: false
    .vgpr_count:     32
    .vgpr_spill_count: 0
    .wavefront_size: 32
  - .args:
      - .offset:         0
        .size:           1
        .value_kind:     by_value
      - .offset:         1
        .size:           1
        .value_kind:     by_value
      - .offset:         8
        .size:           8
        .value_kind:     by_value
      - .offset:         16
        .size:           16
        .value_kind:     by_value
      - .address_space:  global
        .offset:         32
        .size:           8
        .value_kind:     global_buffer
      - .address_space:  global
        .offset:         40
        .size:           8
        .value_kind:     global_buffer
      - .actual_access:  read_only
        .address_space:  global
        .offset:         48
        .size:           8
        .value_kind:     global_buffer
      - .actual_access:  read_only
        .address_space:  global
        .offset:         56
        .size:           8
        .value_kind:     global_buffer
      - .actual_access:  read_only
        .address_space:  global
        .offset:         64
        .size:           8
        .value_kind:     global_buffer
      - .address_space:  global
        .offset:         72
        .size:           8
        .value_kind:     global_buffer
      - .offset:         80
        .size:           4
        .value_kind:     by_value
      - .offset:         84
        .size:           1
        .value_kind:     by_value
      - .offset:         88
        .size:           4
        .value_kind:     hidden_block_count_x
      - .offset:         92
        .size:           4
        .value_kind:     hidden_block_count_y
      - .offset:         96
        .size:           4
        .value_kind:     hidden_block_count_z
      - .offset:         100
        .size:           2
        .value_kind:     hidden_group_size_x
      - .offset:         102
        .size:           2
        .value_kind:     hidden_group_size_y
      - .offset:         104
        .size:           2
        .value_kind:     hidden_group_size_z
      - .offset:         106
        .size:           2
        .value_kind:     hidden_remainder_x
      - .offset:         108
        .size:           2
        .value_kind:     hidden_remainder_y
      - .offset:         110
        .size:           2
        .value_kind:     hidden_remainder_z
      - .offset:         128
        .size:           8
        .value_kind:     hidden_global_offset_x
      - .offset:         136
        .size:           8
        .value_kind:     hidden_global_offset_y
      - .offset:         144
        .size:           8
        .value_kind:     hidden_global_offset_z
      - .offset:         152
        .size:           2
        .value_kind:     hidden_grid_dims
    .group_segment_fixed_size: 0
    .kernarg_segment_align: 8
    .kernarg_segment_size: 344
    .language:       OpenCL C
    .language_version:
      - 2
      - 0
    .max_flat_workgroup_size: 256
    .name:           _ZN9rocsparseL21csrmvt_general_kernelILj256ELj16Ell21rocsparse_complex_numIdES2_S2_S2_EEvbbT2_NS_24const_host_device_scalarIT6_EEPKT1_S9_PKS3_PKT3_PKT4_PT5_21rocsparse_index_base_b
    .private_segment_fixed_size: 0
    .sgpr_count:     28
    .sgpr_spill_count: 0
    .symbol:         _ZN9rocsparseL21csrmvt_general_kernelILj256ELj16Ell21rocsparse_complex_numIdES2_S2_S2_EEvbbT2_NS_24const_host_device_scalarIT6_EEPKT1_S9_PKS3_PKT3_PKT4_PT5_21rocsparse_index_base_b.kd
    .uniform_work_group_size: 1
    .uses_dynamic_stack: false
    .vgpr_count:     32
    .vgpr_spill_count: 0
    .wavefront_size: 32
  - .args:
      - .offset:         0
        .size:           1
        .value_kind:     by_value
      - .offset:         1
        .size:           1
        .value_kind:     by_value
      - .offset:         8
        .size:           8
        .value_kind:     by_value
      - .offset:         16
        .size:           16
        .value_kind:     by_value
      - .address_space:  global
        .offset:         32
        .size:           8
        .value_kind:     global_buffer
      - .address_space:  global
        .offset:         40
        .size:           8
        .value_kind:     global_buffer
      - .actual_access:  read_only
        .address_space:  global
        .offset:         48
        .size:           8
        .value_kind:     global_buffer
      - .actual_access:  read_only
        .address_space:  global
        .offset:         56
        .size:           8
        .value_kind:     global_buffer
      - .actual_access:  read_only
        .address_space:  global
        .offset:         64
        .size:           8
        .value_kind:     global_buffer
      - .address_space:  global
        .offset:         72
        .size:           8
        .value_kind:     global_buffer
      - .offset:         80
        .size:           4
        .value_kind:     by_value
      - .offset:         84
        .size:           1
        .value_kind:     by_value
      - .offset:         88
        .size:           4
        .value_kind:     hidden_block_count_x
      - .offset:         92
        .size:           4
        .value_kind:     hidden_block_count_y
      - .offset:         96
        .size:           4
        .value_kind:     hidden_block_count_z
      - .offset:         100
        .size:           2
        .value_kind:     hidden_group_size_x
      - .offset:         102
        .size:           2
        .value_kind:     hidden_group_size_y
      - .offset:         104
        .size:           2
        .value_kind:     hidden_group_size_z
      - .offset:         106
        .size:           2
        .value_kind:     hidden_remainder_x
      - .offset:         108
        .size:           2
        .value_kind:     hidden_remainder_y
      - .offset:         110
        .size:           2
        .value_kind:     hidden_remainder_z
      - .offset:         128
        .size:           8
        .value_kind:     hidden_global_offset_x
      - .offset:         136
        .size:           8
        .value_kind:     hidden_global_offset_y
      - .offset:         144
        .size:           8
        .value_kind:     hidden_global_offset_z
      - .offset:         152
        .size:           2
        .value_kind:     hidden_grid_dims
    .group_segment_fixed_size: 0
    .kernarg_segment_align: 8
    .kernarg_segment_size: 344
    .language:       OpenCL C
    .language_version:
      - 2
      - 0
    .max_flat_workgroup_size: 256
    .name:           _ZN9rocsparseL21csrmvt_general_kernelILj256ELj32Ell21rocsparse_complex_numIdES2_S2_S2_EEvbbT2_NS_24const_host_device_scalarIT6_EEPKT1_S9_PKS3_PKT3_PKT4_PT5_21rocsparse_index_base_b
    .private_segment_fixed_size: 0
    .sgpr_count:     28
    .sgpr_spill_count: 0
    .symbol:         _ZN9rocsparseL21csrmvt_general_kernelILj256ELj32Ell21rocsparse_complex_numIdES2_S2_S2_EEvbbT2_NS_24const_host_device_scalarIT6_EEPKT1_S9_PKS3_PKT3_PKT4_PT5_21rocsparse_index_base_b.kd
    .uniform_work_group_size: 1
    .uses_dynamic_stack: false
    .vgpr_count:     32
    .vgpr_spill_count: 0
    .wavefront_size: 32
  - .args:
      - .offset:         0
        .size:           1
        .value_kind:     by_value
      - .offset:         1
        .size:           1
        .value_kind:     by_value
      - .offset:         8
        .size:           8
        .value_kind:     by_value
      - .offset:         16
        .size:           16
        .value_kind:     by_value
      - .address_space:  global
        .offset:         32
        .size:           8
        .value_kind:     global_buffer
      - .address_space:  global
        .offset:         40
        .size:           8
        .value_kind:     global_buffer
      - .actual_access:  read_only
        .address_space:  global
        .offset:         48
        .size:           8
        .value_kind:     global_buffer
      - .actual_access:  read_only
        .address_space:  global
        .offset:         56
        .size:           8
        .value_kind:     global_buffer
      - .actual_access:  read_only
        .address_space:  global
        .offset:         64
        .size:           8
        .value_kind:     global_buffer
      - .address_space:  global
        .offset:         72
        .size:           8
        .value_kind:     global_buffer
      - .offset:         80
        .size:           4
        .value_kind:     by_value
      - .offset:         84
        .size:           1
        .value_kind:     by_value
      - .offset:         88
        .size:           4
        .value_kind:     hidden_block_count_x
      - .offset:         92
        .size:           4
        .value_kind:     hidden_block_count_y
      - .offset:         96
        .size:           4
        .value_kind:     hidden_block_count_z
      - .offset:         100
        .size:           2
        .value_kind:     hidden_group_size_x
      - .offset:         102
        .size:           2
        .value_kind:     hidden_group_size_y
      - .offset:         104
        .size:           2
        .value_kind:     hidden_group_size_z
      - .offset:         106
        .size:           2
        .value_kind:     hidden_remainder_x
      - .offset:         108
        .size:           2
        .value_kind:     hidden_remainder_y
      - .offset:         110
        .size:           2
        .value_kind:     hidden_remainder_z
      - .offset:         128
        .size:           8
        .value_kind:     hidden_global_offset_x
      - .offset:         136
        .size:           8
        .value_kind:     hidden_global_offset_y
      - .offset:         144
        .size:           8
        .value_kind:     hidden_global_offset_z
      - .offset:         152
        .size:           2
        .value_kind:     hidden_grid_dims
    .group_segment_fixed_size: 0
    .kernarg_segment_align: 8
    .kernarg_segment_size: 344
    .language:       OpenCL C
    .language_version:
      - 2
      - 0
    .max_flat_workgroup_size: 256
    .name:           _ZN9rocsparseL21csrmvt_general_kernelILj256ELj64Ell21rocsparse_complex_numIdES2_S2_S2_EEvbbT2_NS_24const_host_device_scalarIT6_EEPKT1_S9_PKS3_PKT3_PKT4_PT5_21rocsparse_index_base_b
    .private_segment_fixed_size: 0
    .sgpr_count:     28
    .sgpr_spill_count: 0
    .symbol:         _ZN9rocsparseL21csrmvt_general_kernelILj256ELj64Ell21rocsparse_complex_numIdES2_S2_S2_EEvbbT2_NS_24const_host_device_scalarIT6_EEPKT1_S9_PKS3_PKT3_PKT4_PT5_21rocsparse_index_base_b.kd
    .uniform_work_group_size: 1
    .uses_dynamic_stack: false
    .vgpr_count:     32
    .vgpr_spill_count: 0
    .wavefront_size: 32
  - .args:
      - .offset:         0
        .size:           1
        .value_kind:     by_value
      - .offset:         4
        .size:           4
        .value_kind:     by_value
      - .offset:         8
        .size:           8
        .value_kind:     by_value
      - .address_space:  global
        .offset:         16
        .size:           8
        .value_kind:     global_buffer
      - .address_space:  global
        .offset:         24
        .size:           8
        .value_kind:     global_buffer
      - .actual_access:  read_only
        .address_space:  global
        .offset:         32
        .size:           8
        .value_kind:     global_buffer
      - .actual_access:  read_only
        .address_space:  global
        .offset:         40
        .size:           8
        .value_kind:     global_buffer
      - .actual_access:  read_only
        .address_space:  global
        .offset:         48
        .size:           8
        .value_kind:     global_buffer
      - .offset:         56
        .size:           8
        .value_kind:     by_value
      - .address_space:  global
        .offset:         64
        .size:           8
        .value_kind:     global_buffer
      - .offset:         72
        .size:           4
        .value_kind:     by_value
      - .offset:         76
        .size:           1
        .value_kind:     by_value
      - .offset:         80
        .size:           4
        .value_kind:     hidden_block_count_x
      - .offset:         84
        .size:           4
        .value_kind:     hidden_block_count_y
      - .offset:         88
        .size:           4
        .value_kind:     hidden_block_count_z
      - .offset:         92
        .size:           2
        .value_kind:     hidden_group_size_x
      - .offset:         94
        .size:           2
        .value_kind:     hidden_group_size_y
      - .offset:         96
        .size:           2
        .value_kind:     hidden_group_size_z
      - .offset:         98
        .size:           2
        .value_kind:     hidden_remainder_x
      - .offset:         100
        .size:           2
        .value_kind:     hidden_remainder_y
      - .offset:         102
        .size:           2
        .value_kind:     hidden_remainder_z
      - .offset:         120
        .size:           8
        .value_kind:     hidden_global_offset_x
      - .offset:         128
        .size:           8
        .value_kind:     hidden_global_offset_y
      - .offset:         136
        .size:           8
        .value_kind:     hidden_global_offset_z
      - .offset:         144
        .size:           2
        .value_kind:     hidden_grid_dims
    .group_segment_fixed_size: 0
    .kernarg_segment_align: 8
    .kernarg_segment_size: 336
    .language:       OpenCL C
    .language_version:
      - 2
      - 0
    .max_flat_workgroup_size: 256
    .name:           _ZN9rocsparseL21csrmvn_general_kernelILj256ELj2EiiaaiiEEvbT2_NS_24const_host_device_scalarIT6_EEPKT1_S7_PKS1_PKT3_PKT4_S4_PT5_21rocsparse_index_base_b
    .private_segment_fixed_size: 0
    .sgpr_count:     28
    .sgpr_spill_count: 0
    .symbol:         _ZN9rocsparseL21csrmvn_general_kernelILj256ELj2EiiaaiiEEvbT2_NS_24const_host_device_scalarIT6_EEPKT1_S7_PKS1_PKT3_PKT4_S4_PT5_21rocsparse_index_base_b.kd
    .uniform_work_group_size: 1
    .uses_dynamic_stack: false
    .vgpr_count:     20
    .vgpr_spill_count: 0
    .wavefront_size: 32
  - .args:
      - .offset:         0
        .size:           1
        .value_kind:     by_value
      - .offset:         4
        .size:           4
        .value_kind:     by_value
      - .offset:         8
        .size:           8
        .value_kind:     by_value
      - .address_space:  global
        .offset:         16
        .size:           8
        .value_kind:     global_buffer
      - .address_space:  global
        .offset:         24
        .size:           8
        .value_kind:     global_buffer
      - .actual_access:  read_only
        .address_space:  global
        .offset:         32
        .size:           8
        .value_kind:     global_buffer
      - .actual_access:  read_only
        .address_space:  global
        .offset:         40
        .size:           8
        .value_kind:     global_buffer
      - .actual_access:  read_only
        .address_space:  global
        .offset:         48
        .size:           8
        .value_kind:     global_buffer
      - .offset:         56
        .size:           8
        .value_kind:     by_value
      - .address_space:  global
        .offset:         64
        .size:           8
        .value_kind:     global_buffer
      - .offset:         72
        .size:           4
        .value_kind:     by_value
      - .offset:         76
        .size:           1
        .value_kind:     by_value
      - .offset:         80
        .size:           4
        .value_kind:     hidden_block_count_x
      - .offset:         84
        .size:           4
        .value_kind:     hidden_block_count_y
      - .offset:         88
        .size:           4
        .value_kind:     hidden_block_count_z
      - .offset:         92
        .size:           2
        .value_kind:     hidden_group_size_x
      - .offset:         94
        .size:           2
        .value_kind:     hidden_group_size_y
      - .offset:         96
        .size:           2
        .value_kind:     hidden_group_size_z
      - .offset:         98
        .size:           2
        .value_kind:     hidden_remainder_x
      - .offset:         100
        .size:           2
        .value_kind:     hidden_remainder_y
      - .offset:         102
        .size:           2
        .value_kind:     hidden_remainder_z
      - .offset:         120
        .size:           8
        .value_kind:     hidden_global_offset_x
      - .offset:         128
        .size:           8
        .value_kind:     hidden_global_offset_y
      - .offset:         136
        .size:           8
        .value_kind:     hidden_global_offset_z
      - .offset:         144
        .size:           2
        .value_kind:     hidden_grid_dims
    .group_segment_fixed_size: 0
    .kernarg_segment_align: 8
    .kernarg_segment_size: 336
    .language:       OpenCL C
    .language_version:
      - 2
      - 0
    .max_flat_workgroup_size: 256
    .name:           _ZN9rocsparseL21csrmvn_general_kernelILj256ELj4EiiaaiiEEvbT2_NS_24const_host_device_scalarIT6_EEPKT1_S7_PKS1_PKT3_PKT4_S4_PT5_21rocsparse_index_base_b
    .private_segment_fixed_size: 0
    .sgpr_count:     28
    .sgpr_spill_count: 0
    .symbol:         _ZN9rocsparseL21csrmvn_general_kernelILj256ELj4EiiaaiiEEvbT2_NS_24const_host_device_scalarIT6_EEPKT1_S7_PKS1_PKT3_PKT4_S4_PT5_21rocsparse_index_base_b.kd
    .uniform_work_group_size: 1
    .uses_dynamic_stack: false
    .vgpr_count:     21
    .vgpr_spill_count: 0
    .wavefront_size: 32
  - .args:
      - .offset:         0
        .size:           1
        .value_kind:     by_value
      - .offset:         4
        .size:           4
        .value_kind:     by_value
      - .offset:         8
        .size:           8
        .value_kind:     by_value
      - .address_space:  global
        .offset:         16
        .size:           8
        .value_kind:     global_buffer
      - .address_space:  global
        .offset:         24
        .size:           8
        .value_kind:     global_buffer
      - .actual_access:  read_only
        .address_space:  global
        .offset:         32
        .size:           8
        .value_kind:     global_buffer
      - .actual_access:  read_only
        .address_space:  global
        .offset:         40
        .size:           8
        .value_kind:     global_buffer
      - .actual_access:  read_only
        .address_space:  global
        .offset:         48
        .size:           8
        .value_kind:     global_buffer
      - .offset:         56
        .size:           8
        .value_kind:     by_value
      - .address_space:  global
        .offset:         64
        .size:           8
        .value_kind:     global_buffer
      - .offset:         72
        .size:           4
        .value_kind:     by_value
      - .offset:         76
        .size:           1
        .value_kind:     by_value
      - .offset:         80
        .size:           4
        .value_kind:     hidden_block_count_x
      - .offset:         84
        .size:           4
        .value_kind:     hidden_block_count_y
      - .offset:         88
        .size:           4
        .value_kind:     hidden_block_count_z
      - .offset:         92
        .size:           2
        .value_kind:     hidden_group_size_x
      - .offset:         94
        .size:           2
        .value_kind:     hidden_group_size_y
      - .offset:         96
        .size:           2
        .value_kind:     hidden_group_size_z
      - .offset:         98
        .size:           2
        .value_kind:     hidden_remainder_x
      - .offset:         100
        .size:           2
        .value_kind:     hidden_remainder_y
      - .offset:         102
        .size:           2
        .value_kind:     hidden_remainder_z
      - .offset:         120
        .size:           8
        .value_kind:     hidden_global_offset_x
      - .offset:         128
        .size:           8
        .value_kind:     hidden_global_offset_y
      - .offset:         136
        .size:           8
        .value_kind:     hidden_global_offset_z
      - .offset:         144
        .size:           2
        .value_kind:     hidden_grid_dims
    .group_segment_fixed_size: 0
    .kernarg_segment_align: 8
    .kernarg_segment_size: 336
    .language:       OpenCL C
    .language_version:
      - 2
      - 0
    .max_flat_workgroup_size: 256
    .name:           _ZN9rocsparseL21csrmvn_general_kernelILj256ELj8EiiaaiiEEvbT2_NS_24const_host_device_scalarIT6_EEPKT1_S7_PKS1_PKT3_PKT4_S4_PT5_21rocsparse_index_base_b
    .private_segment_fixed_size: 0
    .sgpr_count:     28
    .sgpr_spill_count: 0
    .symbol:         _ZN9rocsparseL21csrmvn_general_kernelILj256ELj8EiiaaiiEEvbT2_NS_24const_host_device_scalarIT6_EEPKT1_S7_PKS1_PKT3_PKT4_S4_PT5_21rocsparse_index_base_b.kd
    .uniform_work_group_size: 1
    .uses_dynamic_stack: false
    .vgpr_count:     22
    .vgpr_spill_count: 0
    .wavefront_size: 32
  - .args:
      - .offset:         0
        .size:           1
        .value_kind:     by_value
      - .offset:         4
        .size:           4
        .value_kind:     by_value
      - .offset:         8
        .size:           8
        .value_kind:     by_value
      - .address_space:  global
        .offset:         16
        .size:           8
        .value_kind:     global_buffer
      - .address_space:  global
        .offset:         24
        .size:           8
        .value_kind:     global_buffer
      - .actual_access:  read_only
        .address_space:  global
        .offset:         32
        .size:           8
        .value_kind:     global_buffer
      - .actual_access:  read_only
        .address_space:  global
        .offset:         40
        .size:           8
        .value_kind:     global_buffer
      - .actual_access:  read_only
        .address_space:  global
        .offset:         48
        .size:           8
        .value_kind:     global_buffer
      - .offset:         56
        .size:           8
        .value_kind:     by_value
      - .address_space:  global
        .offset:         64
        .size:           8
        .value_kind:     global_buffer
      - .offset:         72
        .size:           4
        .value_kind:     by_value
      - .offset:         76
        .size:           1
        .value_kind:     by_value
      - .offset:         80
        .size:           4
        .value_kind:     hidden_block_count_x
      - .offset:         84
        .size:           4
        .value_kind:     hidden_block_count_y
      - .offset:         88
        .size:           4
        .value_kind:     hidden_block_count_z
      - .offset:         92
        .size:           2
        .value_kind:     hidden_group_size_x
      - .offset:         94
        .size:           2
        .value_kind:     hidden_group_size_y
      - .offset:         96
        .size:           2
        .value_kind:     hidden_group_size_z
      - .offset:         98
        .size:           2
        .value_kind:     hidden_remainder_x
      - .offset:         100
        .size:           2
        .value_kind:     hidden_remainder_y
      - .offset:         102
        .size:           2
        .value_kind:     hidden_remainder_z
      - .offset:         120
        .size:           8
        .value_kind:     hidden_global_offset_x
      - .offset:         128
        .size:           8
        .value_kind:     hidden_global_offset_y
      - .offset:         136
        .size:           8
        .value_kind:     hidden_global_offset_z
      - .offset:         144
        .size:           2
        .value_kind:     hidden_grid_dims
    .group_segment_fixed_size: 0
    .kernarg_segment_align: 8
    .kernarg_segment_size: 336
    .language:       OpenCL C
    .language_version:
      - 2
      - 0
    .max_flat_workgroup_size: 256
    .name:           _ZN9rocsparseL21csrmvn_general_kernelILj256ELj16EiiaaiiEEvbT2_NS_24const_host_device_scalarIT6_EEPKT1_S7_PKS1_PKT3_PKT4_S4_PT5_21rocsparse_index_base_b
    .private_segment_fixed_size: 0
    .sgpr_count:     28
    .sgpr_spill_count: 0
    .symbol:         _ZN9rocsparseL21csrmvn_general_kernelILj256ELj16EiiaaiiEEvbT2_NS_24const_host_device_scalarIT6_EEPKT1_S7_PKS1_PKT3_PKT4_S4_PT5_21rocsparse_index_base_b.kd
    .uniform_work_group_size: 1
    .uses_dynamic_stack: false
    .vgpr_count:     23
    .vgpr_spill_count: 0
    .wavefront_size: 32
  - .args:
      - .offset:         0
        .size:           1
        .value_kind:     by_value
      - .offset:         4
        .size:           4
        .value_kind:     by_value
      - .offset:         8
        .size:           8
        .value_kind:     by_value
      - .address_space:  global
        .offset:         16
        .size:           8
        .value_kind:     global_buffer
      - .address_space:  global
        .offset:         24
        .size:           8
        .value_kind:     global_buffer
      - .actual_access:  read_only
        .address_space:  global
        .offset:         32
        .size:           8
        .value_kind:     global_buffer
      - .actual_access:  read_only
        .address_space:  global
        .offset:         40
        .size:           8
        .value_kind:     global_buffer
      - .actual_access:  read_only
        .address_space:  global
        .offset:         48
        .size:           8
        .value_kind:     global_buffer
      - .offset:         56
        .size:           8
        .value_kind:     by_value
      - .address_space:  global
        .offset:         64
        .size:           8
        .value_kind:     global_buffer
      - .offset:         72
        .size:           4
        .value_kind:     by_value
      - .offset:         76
        .size:           1
        .value_kind:     by_value
      - .offset:         80
        .size:           4
        .value_kind:     hidden_block_count_x
      - .offset:         84
        .size:           4
        .value_kind:     hidden_block_count_y
      - .offset:         88
        .size:           4
        .value_kind:     hidden_block_count_z
      - .offset:         92
        .size:           2
        .value_kind:     hidden_group_size_x
      - .offset:         94
        .size:           2
        .value_kind:     hidden_group_size_y
      - .offset:         96
        .size:           2
        .value_kind:     hidden_group_size_z
      - .offset:         98
        .size:           2
        .value_kind:     hidden_remainder_x
      - .offset:         100
        .size:           2
        .value_kind:     hidden_remainder_y
      - .offset:         102
        .size:           2
        .value_kind:     hidden_remainder_z
      - .offset:         120
        .size:           8
        .value_kind:     hidden_global_offset_x
      - .offset:         128
        .size:           8
        .value_kind:     hidden_global_offset_y
      - .offset:         136
        .size:           8
        .value_kind:     hidden_global_offset_z
      - .offset:         144
        .size:           2
        .value_kind:     hidden_grid_dims
    .group_segment_fixed_size: 0
    .kernarg_segment_align: 8
    .kernarg_segment_size: 336
    .language:       OpenCL C
    .language_version:
      - 2
      - 0
    .max_flat_workgroup_size: 256
    .name:           _ZN9rocsparseL21csrmvn_general_kernelILj256ELj32EiiaaiiEEvbT2_NS_24const_host_device_scalarIT6_EEPKT1_S7_PKS1_PKT3_PKT4_S4_PT5_21rocsparse_index_base_b
    .private_segment_fixed_size: 0
    .sgpr_count:     28
    .sgpr_spill_count: 0
    .symbol:         _ZN9rocsparseL21csrmvn_general_kernelILj256ELj32EiiaaiiEEvbT2_NS_24const_host_device_scalarIT6_EEPKT1_S7_PKS1_PKT3_PKT4_S4_PT5_21rocsparse_index_base_b.kd
    .uniform_work_group_size: 1
    .uses_dynamic_stack: false
    .vgpr_count:     24
    .vgpr_spill_count: 0
    .wavefront_size: 32
  - .args:
      - .offset:         0
        .size:           1
        .value_kind:     by_value
      - .offset:         4
        .size:           4
        .value_kind:     by_value
      - .offset:         8
        .size:           8
        .value_kind:     by_value
      - .address_space:  global
        .offset:         16
        .size:           8
        .value_kind:     global_buffer
      - .address_space:  global
        .offset:         24
        .size:           8
        .value_kind:     global_buffer
      - .actual_access:  read_only
        .address_space:  global
        .offset:         32
        .size:           8
        .value_kind:     global_buffer
      - .actual_access:  read_only
        .address_space:  global
        .offset:         40
        .size:           8
        .value_kind:     global_buffer
      - .actual_access:  read_only
        .address_space:  global
        .offset:         48
        .size:           8
        .value_kind:     global_buffer
      - .offset:         56
        .size:           8
        .value_kind:     by_value
      - .address_space:  global
        .offset:         64
        .size:           8
        .value_kind:     global_buffer
      - .offset:         72
        .size:           4
        .value_kind:     by_value
      - .offset:         76
        .size:           1
        .value_kind:     by_value
      - .offset:         80
        .size:           4
        .value_kind:     hidden_block_count_x
      - .offset:         84
        .size:           4
        .value_kind:     hidden_block_count_y
      - .offset:         88
        .size:           4
        .value_kind:     hidden_block_count_z
      - .offset:         92
        .size:           2
        .value_kind:     hidden_group_size_x
      - .offset:         94
        .size:           2
        .value_kind:     hidden_group_size_y
      - .offset:         96
        .size:           2
        .value_kind:     hidden_group_size_z
      - .offset:         98
        .size:           2
        .value_kind:     hidden_remainder_x
      - .offset:         100
        .size:           2
        .value_kind:     hidden_remainder_y
      - .offset:         102
        .size:           2
        .value_kind:     hidden_remainder_z
      - .offset:         120
        .size:           8
        .value_kind:     hidden_global_offset_x
      - .offset:         128
        .size:           8
        .value_kind:     hidden_global_offset_y
      - .offset:         136
        .size:           8
        .value_kind:     hidden_global_offset_z
      - .offset:         144
        .size:           2
        .value_kind:     hidden_grid_dims
    .group_segment_fixed_size: 0
    .kernarg_segment_align: 8
    .kernarg_segment_size: 336
    .language:       OpenCL C
    .language_version:
      - 2
      - 0
    .max_flat_workgroup_size: 256
    .name:           _ZN9rocsparseL21csrmvn_general_kernelILj256ELj64EiiaaiiEEvbT2_NS_24const_host_device_scalarIT6_EEPKT1_S7_PKS1_PKT3_PKT4_S4_PT5_21rocsparse_index_base_b
    .private_segment_fixed_size: 0
    .sgpr_count:     28
    .sgpr_spill_count: 0
    .symbol:         _ZN9rocsparseL21csrmvn_general_kernelILj256ELj64EiiaaiiEEvbT2_NS_24const_host_device_scalarIT6_EEPKT1_S7_PKS1_PKT3_PKT4_S4_PT5_21rocsparse_index_base_b.kd
    .uniform_work_group_size: 1
    .uses_dynamic_stack: false
    .vgpr_count:     25
    .vgpr_spill_count: 0
    .wavefront_size: 32
  - .args:
      - .offset:         0
        .size:           1
        .value_kind:     by_value
      - .offset:         1
        .size:           1
        .value_kind:     by_value
      - .offset:         4
        .size:           4
        .value_kind:     by_value
      - .offset:         8
        .size:           8
        .value_kind:     by_value
      - .address_space:  global
        .offset:         16
        .size:           8
        .value_kind:     global_buffer
      - .address_space:  global
        .offset:         24
        .size:           8
        .value_kind:     global_buffer
      - .actual_access:  read_only
        .address_space:  global
        .offset:         32
        .size:           8
        .value_kind:     global_buffer
      - .actual_access:  read_only
        .address_space:  global
        .offset:         40
        .size:           8
        .value_kind:     global_buffer
      - .actual_access:  read_only
        .address_space:  global
        .offset:         48
        .size:           8
        .value_kind:     global_buffer
      - .address_space:  global
        .offset:         56
        .size:           8
        .value_kind:     global_buffer
      - .offset:         64
        .size:           4
        .value_kind:     by_value
      - .offset:         68
        .size:           1
        .value_kind:     by_value
      - .offset:         72
        .size:           4
        .value_kind:     hidden_block_count_x
      - .offset:         76
        .size:           4
        .value_kind:     hidden_block_count_y
      - .offset:         80
        .size:           4
        .value_kind:     hidden_block_count_z
      - .offset:         84
        .size:           2
        .value_kind:     hidden_group_size_x
      - .offset:         86
        .size:           2
        .value_kind:     hidden_group_size_y
      - .offset:         88
        .size:           2
        .value_kind:     hidden_group_size_z
      - .offset:         90
        .size:           2
        .value_kind:     hidden_remainder_x
      - .offset:         92
        .size:           2
        .value_kind:     hidden_remainder_y
      - .offset:         94
        .size:           2
        .value_kind:     hidden_remainder_z
      - .offset:         112
        .size:           8
        .value_kind:     hidden_global_offset_x
      - .offset:         120
        .size:           8
        .value_kind:     hidden_global_offset_y
      - .offset:         128
        .size:           8
        .value_kind:     hidden_global_offset_z
      - .offset:         136
        .size:           2
        .value_kind:     hidden_grid_dims
    .group_segment_fixed_size: 0
    .kernarg_segment_align: 8
    .kernarg_segment_size: 328
    .language:       OpenCL C
    .language_version:
      - 2
      - 0
    .max_flat_workgroup_size: 256
    .name:           _ZN9rocsparseL21csrmvt_general_kernelILj256ELj4EiiaaiiEEvbbT2_NS_24const_host_device_scalarIT6_EEPKT1_S7_PKS1_PKT3_PKT4_PT5_21rocsparse_index_base_b
    .private_segment_fixed_size: 0
    .sgpr_count:     23
    .sgpr_spill_count: 0
    .symbol:         _ZN9rocsparseL21csrmvt_general_kernelILj256ELj4EiiaaiiEEvbbT2_NS_24const_host_device_scalarIT6_EEPKT1_S7_PKS1_PKT3_PKT4_PT5_21rocsparse_index_base_b.kd
    .uniform_work_group_size: 1
    .uses_dynamic_stack: false
    .vgpr_count:     10
    .vgpr_spill_count: 0
    .wavefront_size: 32
  - .args:
      - .offset:         0
        .size:           1
        .value_kind:     by_value
      - .offset:         1
        .size:           1
        .value_kind:     by_value
      - .offset:         4
        .size:           4
        .value_kind:     by_value
      - .offset:         8
        .size:           8
        .value_kind:     by_value
      - .address_space:  global
        .offset:         16
        .size:           8
        .value_kind:     global_buffer
      - .address_space:  global
        .offset:         24
        .size:           8
        .value_kind:     global_buffer
      - .actual_access:  read_only
        .address_space:  global
        .offset:         32
        .size:           8
        .value_kind:     global_buffer
      - .actual_access:  read_only
        .address_space:  global
        .offset:         40
        .size:           8
        .value_kind:     global_buffer
      - .actual_access:  read_only
        .address_space:  global
        .offset:         48
        .size:           8
        .value_kind:     global_buffer
      - .address_space:  global
        .offset:         56
        .size:           8
        .value_kind:     global_buffer
      - .offset:         64
        .size:           4
        .value_kind:     by_value
      - .offset:         68
        .size:           1
        .value_kind:     by_value
      - .offset:         72
        .size:           4
        .value_kind:     hidden_block_count_x
      - .offset:         76
        .size:           4
        .value_kind:     hidden_block_count_y
      - .offset:         80
        .size:           4
        .value_kind:     hidden_block_count_z
      - .offset:         84
        .size:           2
        .value_kind:     hidden_group_size_x
      - .offset:         86
        .size:           2
        .value_kind:     hidden_group_size_y
      - .offset:         88
        .size:           2
        .value_kind:     hidden_group_size_z
      - .offset:         90
        .size:           2
        .value_kind:     hidden_remainder_x
      - .offset:         92
        .size:           2
        .value_kind:     hidden_remainder_y
      - .offset:         94
        .size:           2
        .value_kind:     hidden_remainder_z
      - .offset:         112
        .size:           8
        .value_kind:     hidden_global_offset_x
      - .offset:         120
        .size:           8
        .value_kind:     hidden_global_offset_y
      - .offset:         128
        .size:           8
        .value_kind:     hidden_global_offset_z
      - .offset:         136
        .size:           2
        .value_kind:     hidden_grid_dims
    .group_segment_fixed_size: 0
    .kernarg_segment_align: 8
    .kernarg_segment_size: 328
    .language:       OpenCL C
    .language_version:
      - 2
      - 0
    .max_flat_workgroup_size: 256
    .name:           _ZN9rocsparseL21csrmvt_general_kernelILj256ELj8EiiaaiiEEvbbT2_NS_24const_host_device_scalarIT6_EEPKT1_S7_PKS1_PKT3_PKT4_PT5_21rocsparse_index_base_b
    .private_segment_fixed_size: 0
    .sgpr_count:     23
    .sgpr_spill_count: 0
    .symbol:         _ZN9rocsparseL21csrmvt_general_kernelILj256ELj8EiiaaiiEEvbbT2_NS_24const_host_device_scalarIT6_EEPKT1_S7_PKS1_PKT3_PKT4_PT5_21rocsparse_index_base_b.kd
    .uniform_work_group_size: 1
    .uses_dynamic_stack: false
    .vgpr_count:     10
    .vgpr_spill_count: 0
    .wavefront_size: 32
  - .args:
      - .offset:         0
        .size:           1
        .value_kind:     by_value
      - .offset:         1
        .size:           1
        .value_kind:     by_value
      - .offset:         4
        .size:           4
        .value_kind:     by_value
      - .offset:         8
        .size:           8
        .value_kind:     by_value
      - .address_space:  global
        .offset:         16
        .size:           8
        .value_kind:     global_buffer
      - .address_space:  global
        .offset:         24
        .size:           8
        .value_kind:     global_buffer
      - .actual_access:  read_only
        .address_space:  global
        .offset:         32
        .size:           8
        .value_kind:     global_buffer
      - .actual_access:  read_only
        .address_space:  global
        .offset:         40
        .size:           8
        .value_kind:     global_buffer
      - .actual_access:  read_only
        .address_space:  global
        .offset:         48
        .size:           8
        .value_kind:     global_buffer
      - .address_space:  global
        .offset:         56
        .size:           8
        .value_kind:     global_buffer
      - .offset:         64
        .size:           4
        .value_kind:     by_value
      - .offset:         68
        .size:           1
        .value_kind:     by_value
      - .offset:         72
        .size:           4
        .value_kind:     hidden_block_count_x
      - .offset:         76
        .size:           4
        .value_kind:     hidden_block_count_y
      - .offset:         80
        .size:           4
        .value_kind:     hidden_block_count_z
      - .offset:         84
        .size:           2
        .value_kind:     hidden_group_size_x
      - .offset:         86
        .size:           2
        .value_kind:     hidden_group_size_y
      - .offset:         88
        .size:           2
        .value_kind:     hidden_group_size_z
      - .offset:         90
        .size:           2
        .value_kind:     hidden_remainder_x
      - .offset:         92
        .size:           2
        .value_kind:     hidden_remainder_y
      - .offset:         94
        .size:           2
        .value_kind:     hidden_remainder_z
      - .offset:         112
        .size:           8
        .value_kind:     hidden_global_offset_x
      - .offset:         120
        .size:           8
        .value_kind:     hidden_global_offset_y
      - .offset:         128
        .size:           8
        .value_kind:     hidden_global_offset_z
      - .offset:         136
        .size:           2
        .value_kind:     hidden_grid_dims
    .group_segment_fixed_size: 0
    .kernarg_segment_align: 8
    .kernarg_segment_size: 328
    .language:       OpenCL C
    .language_version:
      - 2
      - 0
    .max_flat_workgroup_size: 256
    .name:           _ZN9rocsparseL21csrmvt_general_kernelILj256ELj16EiiaaiiEEvbbT2_NS_24const_host_device_scalarIT6_EEPKT1_S7_PKS1_PKT3_PKT4_PT5_21rocsparse_index_base_b
    .private_segment_fixed_size: 0
    .sgpr_count:     23
    .sgpr_spill_count: 0
    .symbol:         _ZN9rocsparseL21csrmvt_general_kernelILj256ELj16EiiaaiiEEvbbT2_NS_24const_host_device_scalarIT6_EEPKT1_S7_PKS1_PKT3_PKT4_PT5_21rocsparse_index_base_b.kd
    .uniform_work_group_size: 1
    .uses_dynamic_stack: false
    .vgpr_count:     10
    .vgpr_spill_count: 0
    .wavefront_size: 32
  - .args:
      - .offset:         0
        .size:           1
        .value_kind:     by_value
      - .offset:         1
        .size:           1
        .value_kind:     by_value
      - .offset:         4
        .size:           4
        .value_kind:     by_value
      - .offset:         8
        .size:           8
        .value_kind:     by_value
      - .address_space:  global
        .offset:         16
        .size:           8
        .value_kind:     global_buffer
      - .address_space:  global
        .offset:         24
        .size:           8
        .value_kind:     global_buffer
      - .actual_access:  read_only
        .address_space:  global
        .offset:         32
        .size:           8
        .value_kind:     global_buffer
      - .actual_access:  read_only
        .address_space:  global
        .offset:         40
        .size:           8
        .value_kind:     global_buffer
      - .actual_access:  read_only
        .address_space:  global
        .offset:         48
        .size:           8
        .value_kind:     global_buffer
      - .address_space:  global
        .offset:         56
        .size:           8
        .value_kind:     global_buffer
      - .offset:         64
        .size:           4
        .value_kind:     by_value
      - .offset:         68
        .size:           1
        .value_kind:     by_value
      - .offset:         72
        .size:           4
        .value_kind:     hidden_block_count_x
      - .offset:         76
        .size:           4
        .value_kind:     hidden_block_count_y
      - .offset:         80
        .size:           4
        .value_kind:     hidden_block_count_z
      - .offset:         84
        .size:           2
        .value_kind:     hidden_group_size_x
      - .offset:         86
        .size:           2
        .value_kind:     hidden_group_size_y
      - .offset:         88
        .size:           2
        .value_kind:     hidden_group_size_z
      - .offset:         90
        .size:           2
        .value_kind:     hidden_remainder_x
      - .offset:         92
        .size:           2
        .value_kind:     hidden_remainder_y
      - .offset:         94
        .size:           2
        .value_kind:     hidden_remainder_z
      - .offset:         112
        .size:           8
        .value_kind:     hidden_global_offset_x
      - .offset:         120
        .size:           8
        .value_kind:     hidden_global_offset_y
      - .offset:         128
        .size:           8
        .value_kind:     hidden_global_offset_z
      - .offset:         136
        .size:           2
        .value_kind:     hidden_grid_dims
    .group_segment_fixed_size: 0
    .kernarg_segment_align: 8
    .kernarg_segment_size: 328
    .language:       OpenCL C
    .language_version:
      - 2
      - 0
    .max_flat_workgroup_size: 256
    .name:           _ZN9rocsparseL21csrmvt_general_kernelILj256ELj32EiiaaiiEEvbbT2_NS_24const_host_device_scalarIT6_EEPKT1_S7_PKS1_PKT3_PKT4_PT5_21rocsparse_index_base_b
    .private_segment_fixed_size: 0
    .sgpr_count:     23
    .sgpr_spill_count: 0
    .symbol:         _ZN9rocsparseL21csrmvt_general_kernelILj256ELj32EiiaaiiEEvbbT2_NS_24const_host_device_scalarIT6_EEPKT1_S7_PKS1_PKT3_PKT4_PT5_21rocsparse_index_base_b.kd
    .uniform_work_group_size: 1
    .uses_dynamic_stack: false
    .vgpr_count:     10
    .vgpr_spill_count: 0
    .wavefront_size: 32
  - .args:
      - .offset:         0
        .size:           1
        .value_kind:     by_value
      - .offset:         1
        .size:           1
        .value_kind:     by_value
      - .offset:         4
        .size:           4
        .value_kind:     by_value
      - .offset:         8
        .size:           8
        .value_kind:     by_value
      - .address_space:  global
        .offset:         16
        .size:           8
        .value_kind:     global_buffer
      - .address_space:  global
        .offset:         24
        .size:           8
        .value_kind:     global_buffer
      - .actual_access:  read_only
        .address_space:  global
        .offset:         32
        .size:           8
        .value_kind:     global_buffer
      - .actual_access:  read_only
        .address_space:  global
        .offset:         40
        .size:           8
        .value_kind:     global_buffer
      - .actual_access:  read_only
        .address_space:  global
        .offset:         48
        .size:           8
        .value_kind:     global_buffer
      - .address_space:  global
        .offset:         56
        .size:           8
        .value_kind:     global_buffer
      - .offset:         64
        .size:           4
        .value_kind:     by_value
      - .offset:         68
        .size:           1
        .value_kind:     by_value
      - .offset:         72
        .size:           4
        .value_kind:     hidden_block_count_x
      - .offset:         76
        .size:           4
        .value_kind:     hidden_block_count_y
      - .offset:         80
        .size:           4
        .value_kind:     hidden_block_count_z
      - .offset:         84
        .size:           2
        .value_kind:     hidden_group_size_x
      - .offset:         86
        .size:           2
        .value_kind:     hidden_group_size_y
      - .offset:         88
        .size:           2
        .value_kind:     hidden_group_size_z
      - .offset:         90
        .size:           2
        .value_kind:     hidden_remainder_x
      - .offset:         92
        .size:           2
        .value_kind:     hidden_remainder_y
      - .offset:         94
        .size:           2
        .value_kind:     hidden_remainder_z
      - .offset:         112
        .size:           8
        .value_kind:     hidden_global_offset_x
      - .offset:         120
        .size:           8
        .value_kind:     hidden_global_offset_y
      - .offset:         128
        .size:           8
        .value_kind:     hidden_global_offset_z
      - .offset:         136
        .size:           2
        .value_kind:     hidden_grid_dims
    .group_segment_fixed_size: 0
    .kernarg_segment_align: 8
    .kernarg_segment_size: 328
    .language:       OpenCL C
    .language_version:
      - 2
      - 0
    .max_flat_workgroup_size: 256
    .name:           _ZN9rocsparseL21csrmvt_general_kernelILj256ELj64EiiaaiiEEvbbT2_NS_24const_host_device_scalarIT6_EEPKT1_S7_PKS1_PKT3_PKT4_PT5_21rocsparse_index_base_b
    .private_segment_fixed_size: 0
    .sgpr_count:     23
    .sgpr_spill_count: 0
    .symbol:         _ZN9rocsparseL21csrmvt_general_kernelILj256ELj64EiiaaiiEEvbbT2_NS_24const_host_device_scalarIT6_EEPKT1_S7_PKS1_PKT3_PKT4_PT5_21rocsparse_index_base_b.kd
    .uniform_work_group_size: 1
    .uses_dynamic_stack: false
    .vgpr_count:     10
    .vgpr_spill_count: 0
    .wavefront_size: 32
  - .args:
      - .offset:         0
        .size:           1
        .value_kind:     by_value
      - .offset:         4
        .size:           4
        .value_kind:     by_value
      - .offset:         8
        .size:           8
        .value_kind:     by_value
      - .address_space:  global
        .offset:         16
        .size:           8
        .value_kind:     global_buffer
      - .address_space:  global
        .offset:         24
        .size:           8
        .value_kind:     global_buffer
      - .actual_access:  read_only
        .address_space:  global
        .offset:         32
        .size:           8
        .value_kind:     global_buffer
      - .actual_access:  read_only
        .address_space:  global
        .offset:         40
        .size:           8
        .value_kind:     global_buffer
      - .actual_access:  read_only
        .address_space:  global
        .offset:         48
        .size:           8
        .value_kind:     global_buffer
      - .offset:         56
        .size:           8
        .value_kind:     by_value
      - .address_space:  global
        .offset:         64
        .size:           8
        .value_kind:     global_buffer
      - .offset:         72
        .size:           4
        .value_kind:     by_value
      - .offset:         76
        .size:           1
        .value_kind:     by_value
      - .offset:         80
        .size:           4
        .value_kind:     hidden_block_count_x
      - .offset:         84
        .size:           4
        .value_kind:     hidden_block_count_y
      - .offset:         88
        .size:           4
        .value_kind:     hidden_block_count_z
      - .offset:         92
        .size:           2
        .value_kind:     hidden_group_size_x
      - .offset:         94
        .size:           2
        .value_kind:     hidden_group_size_y
      - .offset:         96
        .size:           2
        .value_kind:     hidden_group_size_z
      - .offset:         98
        .size:           2
        .value_kind:     hidden_remainder_x
      - .offset:         100
        .size:           2
        .value_kind:     hidden_remainder_y
      - .offset:         102
        .size:           2
        .value_kind:     hidden_remainder_z
      - .offset:         120
        .size:           8
        .value_kind:     hidden_global_offset_x
      - .offset:         128
        .size:           8
        .value_kind:     hidden_global_offset_y
      - .offset:         136
        .size:           8
        .value_kind:     hidden_global_offset_z
      - .offset:         144
        .size:           2
        .value_kind:     hidden_grid_dims
    .group_segment_fixed_size: 0
    .kernarg_segment_align: 8
    .kernarg_segment_size: 336
    .language:       OpenCL C
    .language_version:
      - 2
      - 0
    .max_flat_workgroup_size: 256
    .name:           _ZN9rocsparseL21csrmvn_general_kernelILj256ELj2EliaaiiEEvbT2_NS_24const_host_device_scalarIT6_EEPKT1_S7_PKS1_PKT3_PKT4_S4_PT5_21rocsparse_index_base_b
    .private_segment_fixed_size: 0
    .sgpr_count:     29
    .sgpr_spill_count: 0
    .symbol:         _ZN9rocsparseL21csrmvn_general_kernelILj256ELj2EliaaiiEEvbT2_NS_24const_host_device_scalarIT6_EEPKT1_S7_PKS1_PKT3_PKT4_S4_PT5_21rocsparse_index_base_b.kd
    .uniform_work_group_size: 1
    .uses_dynamic_stack: false
    .vgpr_count:     32
    .vgpr_spill_count: 0
    .wavefront_size: 32
  - .args:
      - .offset:         0
        .size:           1
        .value_kind:     by_value
      - .offset:         4
        .size:           4
        .value_kind:     by_value
      - .offset:         8
        .size:           8
        .value_kind:     by_value
      - .address_space:  global
        .offset:         16
        .size:           8
        .value_kind:     global_buffer
      - .address_space:  global
        .offset:         24
        .size:           8
        .value_kind:     global_buffer
      - .actual_access:  read_only
        .address_space:  global
        .offset:         32
        .size:           8
        .value_kind:     global_buffer
      - .actual_access:  read_only
        .address_space:  global
        .offset:         40
        .size:           8
        .value_kind:     global_buffer
      - .actual_access:  read_only
        .address_space:  global
        .offset:         48
        .size:           8
        .value_kind:     global_buffer
      - .offset:         56
        .size:           8
        .value_kind:     by_value
      - .address_space:  global
        .offset:         64
        .size:           8
        .value_kind:     global_buffer
      - .offset:         72
        .size:           4
        .value_kind:     by_value
      - .offset:         76
        .size:           1
        .value_kind:     by_value
      - .offset:         80
        .size:           4
        .value_kind:     hidden_block_count_x
      - .offset:         84
        .size:           4
        .value_kind:     hidden_block_count_y
      - .offset:         88
        .size:           4
        .value_kind:     hidden_block_count_z
      - .offset:         92
        .size:           2
        .value_kind:     hidden_group_size_x
      - .offset:         94
        .size:           2
        .value_kind:     hidden_group_size_y
      - .offset:         96
        .size:           2
        .value_kind:     hidden_group_size_z
      - .offset:         98
        .size:           2
        .value_kind:     hidden_remainder_x
      - .offset:         100
        .size:           2
        .value_kind:     hidden_remainder_y
      - .offset:         102
        .size:           2
        .value_kind:     hidden_remainder_z
      - .offset:         120
        .size:           8
        .value_kind:     hidden_global_offset_x
      - .offset:         128
        .size:           8
        .value_kind:     hidden_global_offset_y
      - .offset:         136
        .size:           8
        .value_kind:     hidden_global_offset_z
      - .offset:         144
        .size:           2
        .value_kind:     hidden_grid_dims
    .group_segment_fixed_size: 0
    .kernarg_segment_align: 8
    .kernarg_segment_size: 336
    .language:       OpenCL C
    .language_version:
      - 2
      - 0
    .max_flat_workgroup_size: 256
    .name:           _ZN9rocsparseL21csrmvn_general_kernelILj256ELj4EliaaiiEEvbT2_NS_24const_host_device_scalarIT6_EEPKT1_S7_PKS1_PKT3_PKT4_S4_PT5_21rocsparse_index_base_b
    .private_segment_fixed_size: 0
    .sgpr_count:     29
    .sgpr_spill_count: 0
    .symbol:         _ZN9rocsparseL21csrmvn_general_kernelILj256ELj4EliaaiiEEvbT2_NS_24const_host_device_scalarIT6_EEPKT1_S7_PKS1_PKT3_PKT4_S4_PT5_21rocsparse_index_base_b.kd
    .uniform_work_group_size: 1
    .uses_dynamic_stack: false
    .vgpr_count:     33
    .vgpr_spill_count: 0
    .wavefront_size: 32
  - .args:
      - .offset:         0
        .size:           1
        .value_kind:     by_value
      - .offset:         4
        .size:           4
        .value_kind:     by_value
      - .offset:         8
        .size:           8
        .value_kind:     by_value
      - .address_space:  global
        .offset:         16
        .size:           8
        .value_kind:     global_buffer
      - .address_space:  global
        .offset:         24
        .size:           8
        .value_kind:     global_buffer
      - .actual_access:  read_only
        .address_space:  global
        .offset:         32
        .size:           8
        .value_kind:     global_buffer
      - .actual_access:  read_only
        .address_space:  global
        .offset:         40
        .size:           8
        .value_kind:     global_buffer
      - .actual_access:  read_only
        .address_space:  global
        .offset:         48
        .size:           8
        .value_kind:     global_buffer
      - .offset:         56
        .size:           8
        .value_kind:     by_value
      - .address_space:  global
        .offset:         64
        .size:           8
        .value_kind:     global_buffer
      - .offset:         72
        .size:           4
        .value_kind:     by_value
      - .offset:         76
        .size:           1
        .value_kind:     by_value
      - .offset:         80
        .size:           4
        .value_kind:     hidden_block_count_x
      - .offset:         84
        .size:           4
        .value_kind:     hidden_block_count_y
      - .offset:         88
        .size:           4
        .value_kind:     hidden_block_count_z
      - .offset:         92
        .size:           2
        .value_kind:     hidden_group_size_x
      - .offset:         94
        .size:           2
        .value_kind:     hidden_group_size_y
      - .offset:         96
        .size:           2
        .value_kind:     hidden_group_size_z
      - .offset:         98
        .size:           2
        .value_kind:     hidden_remainder_x
      - .offset:         100
        .size:           2
        .value_kind:     hidden_remainder_y
      - .offset:         102
        .size:           2
        .value_kind:     hidden_remainder_z
      - .offset:         120
        .size:           8
        .value_kind:     hidden_global_offset_x
      - .offset:         128
        .size:           8
        .value_kind:     hidden_global_offset_y
      - .offset:         136
        .size:           8
        .value_kind:     hidden_global_offset_z
      - .offset:         144
        .size:           2
        .value_kind:     hidden_grid_dims
    .group_segment_fixed_size: 0
    .kernarg_segment_align: 8
    .kernarg_segment_size: 336
    .language:       OpenCL C
    .language_version:
      - 2
      - 0
    .max_flat_workgroup_size: 256
    .name:           _ZN9rocsparseL21csrmvn_general_kernelILj256ELj8EliaaiiEEvbT2_NS_24const_host_device_scalarIT6_EEPKT1_S7_PKS1_PKT3_PKT4_S4_PT5_21rocsparse_index_base_b
    .private_segment_fixed_size: 0
    .sgpr_count:     29
    .sgpr_spill_count: 0
    .symbol:         _ZN9rocsparseL21csrmvn_general_kernelILj256ELj8EliaaiiEEvbT2_NS_24const_host_device_scalarIT6_EEPKT1_S7_PKS1_PKT3_PKT4_S4_PT5_21rocsparse_index_base_b.kd
    .uniform_work_group_size: 1
    .uses_dynamic_stack: false
    .vgpr_count:     34
    .vgpr_spill_count: 0
    .wavefront_size: 32
  - .args:
      - .offset:         0
        .size:           1
        .value_kind:     by_value
      - .offset:         4
        .size:           4
        .value_kind:     by_value
      - .offset:         8
        .size:           8
        .value_kind:     by_value
      - .address_space:  global
        .offset:         16
        .size:           8
        .value_kind:     global_buffer
      - .address_space:  global
        .offset:         24
        .size:           8
        .value_kind:     global_buffer
      - .actual_access:  read_only
        .address_space:  global
        .offset:         32
        .size:           8
        .value_kind:     global_buffer
      - .actual_access:  read_only
        .address_space:  global
        .offset:         40
        .size:           8
        .value_kind:     global_buffer
      - .actual_access:  read_only
        .address_space:  global
        .offset:         48
        .size:           8
        .value_kind:     global_buffer
      - .offset:         56
        .size:           8
        .value_kind:     by_value
      - .address_space:  global
        .offset:         64
        .size:           8
        .value_kind:     global_buffer
      - .offset:         72
        .size:           4
        .value_kind:     by_value
      - .offset:         76
        .size:           1
        .value_kind:     by_value
      - .offset:         80
        .size:           4
        .value_kind:     hidden_block_count_x
      - .offset:         84
        .size:           4
        .value_kind:     hidden_block_count_y
      - .offset:         88
        .size:           4
        .value_kind:     hidden_block_count_z
      - .offset:         92
        .size:           2
        .value_kind:     hidden_group_size_x
      - .offset:         94
        .size:           2
        .value_kind:     hidden_group_size_y
      - .offset:         96
        .size:           2
        .value_kind:     hidden_group_size_z
      - .offset:         98
        .size:           2
        .value_kind:     hidden_remainder_x
      - .offset:         100
        .size:           2
        .value_kind:     hidden_remainder_y
      - .offset:         102
        .size:           2
        .value_kind:     hidden_remainder_z
      - .offset:         120
        .size:           8
        .value_kind:     hidden_global_offset_x
      - .offset:         128
        .size:           8
        .value_kind:     hidden_global_offset_y
      - .offset:         136
        .size:           8
        .value_kind:     hidden_global_offset_z
      - .offset:         144
        .size:           2
        .value_kind:     hidden_grid_dims
    .group_segment_fixed_size: 0
    .kernarg_segment_align: 8
    .kernarg_segment_size: 336
    .language:       OpenCL C
    .language_version:
      - 2
      - 0
    .max_flat_workgroup_size: 256
    .name:           _ZN9rocsparseL21csrmvn_general_kernelILj256ELj16EliaaiiEEvbT2_NS_24const_host_device_scalarIT6_EEPKT1_S7_PKS1_PKT3_PKT4_S4_PT5_21rocsparse_index_base_b
    .private_segment_fixed_size: 0
    .sgpr_count:     29
    .sgpr_spill_count: 0
    .symbol:         _ZN9rocsparseL21csrmvn_general_kernelILj256ELj16EliaaiiEEvbT2_NS_24const_host_device_scalarIT6_EEPKT1_S7_PKS1_PKT3_PKT4_S4_PT5_21rocsparse_index_base_b.kd
    .uniform_work_group_size: 1
    .uses_dynamic_stack: false
    .vgpr_count:     35
    .vgpr_spill_count: 0
    .wavefront_size: 32
  - .args:
      - .offset:         0
        .size:           1
        .value_kind:     by_value
      - .offset:         4
        .size:           4
        .value_kind:     by_value
      - .offset:         8
        .size:           8
        .value_kind:     by_value
      - .address_space:  global
        .offset:         16
        .size:           8
        .value_kind:     global_buffer
      - .address_space:  global
        .offset:         24
        .size:           8
        .value_kind:     global_buffer
      - .actual_access:  read_only
        .address_space:  global
        .offset:         32
        .size:           8
        .value_kind:     global_buffer
      - .actual_access:  read_only
        .address_space:  global
        .offset:         40
        .size:           8
        .value_kind:     global_buffer
      - .actual_access:  read_only
        .address_space:  global
        .offset:         48
        .size:           8
        .value_kind:     global_buffer
      - .offset:         56
        .size:           8
        .value_kind:     by_value
      - .address_space:  global
        .offset:         64
        .size:           8
        .value_kind:     global_buffer
      - .offset:         72
        .size:           4
        .value_kind:     by_value
      - .offset:         76
        .size:           1
        .value_kind:     by_value
      - .offset:         80
        .size:           4
        .value_kind:     hidden_block_count_x
      - .offset:         84
        .size:           4
        .value_kind:     hidden_block_count_y
      - .offset:         88
        .size:           4
        .value_kind:     hidden_block_count_z
      - .offset:         92
        .size:           2
        .value_kind:     hidden_group_size_x
      - .offset:         94
        .size:           2
        .value_kind:     hidden_group_size_y
      - .offset:         96
        .size:           2
        .value_kind:     hidden_group_size_z
      - .offset:         98
        .size:           2
        .value_kind:     hidden_remainder_x
      - .offset:         100
        .size:           2
        .value_kind:     hidden_remainder_y
      - .offset:         102
        .size:           2
        .value_kind:     hidden_remainder_z
      - .offset:         120
        .size:           8
        .value_kind:     hidden_global_offset_x
      - .offset:         128
        .size:           8
        .value_kind:     hidden_global_offset_y
      - .offset:         136
        .size:           8
        .value_kind:     hidden_global_offset_z
      - .offset:         144
        .size:           2
        .value_kind:     hidden_grid_dims
    .group_segment_fixed_size: 0
    .kernarg_segment_align: 8
    .kernarg_segment_size: 336
    .language:       OpenCL C
    .language_version:
      - 2
      - 0
    .max_flat_workgroup_size: 256
    .name:           _ZN9rocsparseL21csrmvn_general_kernelILj256ELj32EliaaiiEEvbT2_NS_24const_host_device_scalarIT6_EEPKT1_S7_PKS1_PKT3_PKT4_S4_PT5_21rocsparse_index_base_b
    .private_segment_fixed_size: 0
    .sgpr_count:     29
    .sgpr_spill_count: 0
    .symbol:         _ZN9rocsparseL21csrmvn_general_kernelILj256ELj32EliaaiiEEvbT2_NS_24const_host_device_scalarIT6_EEPKT1_S7_PKS1_PKT3_PKT4_S4_PT5_21rocsparse_index_base_b.kd
    .uniform_work_group_size: 1
    .uses_dynamic_stack: false
    .vgpr_count:     36
    .vgpr_spill_count: 0
    .wavefront_size: 32
  - .args:
      - .offset:         0
        .size:           1
        .value_kind:     by_value
      - .offset:         4
        .size:           4
        .value_kind:     by_value
      - .offset:         8
        .size:           8
        .value_kind:     by_value
      - .address_space:  global
        .offset:         16
        .size:           8
        .value_kind:     global_buffer
      - .address_space:  global
        .offset:         24
        .size:           8
        .value_kind:     global_buffer
      - .actual_access:  read_only
        .address_space:  global
        .offset:         32
        .size:           8
        .value_kind:     global_buffer
      - .actual_access:  read_only
        .address_space:  global
        .offset:         40
        .size:           8
        .value_kind:     global_buffer
      - .actual_access:  read_only
        .address_space:  global
        .offset:         48
        .size:           8
        .value_kind:     global_buffer
      - .offset:         56
        .size:           8
        .value_kind:     by_value
      - .address_space:  global
        .offset:         64
        .size:           8
        .value_kind:     global_buffer
      - .offset:         72
        .size:           4
        .value_kind:     by_value
      - .offset:         76
        .size:           1
        .value_kind:     by_value
      - .offset:         80
        .size:           4
        .value_kind:     hidden_block_count_x
      - .offset:         84
        .size:           4
        .value_kind:     hidden_block_count_y
      - .offset:         88
        .size:           4
        .value_kind:     hidden_block_count_z
      - .offset:         92
        .size:           2
        .value_kind:     hidden_group_size_x
      - .offset:         94
        .size:           2
        .value_kind:     hidden_group_size_y
      - .offset:         96
        .size:           2
        .value_kind:     hidden_group_size_z
      - .offset:         98
        .size:           2
        .value_kind:     hidden_remainder_x
      - .offset:         100
        .size:           2
        .value_kind:     hidden_remainder_y
      - .offset:         102
        .size:           2
        .value_kind:     hidden_remainder_z
      - .offset:         120
        .size:           8
        .value_kind:     hidden_global_offset_x
      - .offset:         128
        .size:           8
        .value_kind:     hidden_global_offset_y
      - .offset:         136
        .size:           8
        .value_kind:     hidden_global_offset_z
      - .offset:         144
        .size:           2
        .value_kind:     hidden_grid_dims
    .group_segment_fixed_size: 0
    .kernarg_segment_align: 8
    .kernarg_segment_size: 336
    .language:       OpenCL C
    .language_version:
      - 2
      - 0
    .max_flat_workgroup_size: 256
    .name:           _ZN9rocsparseL21csrmvn_general_kernelILj256ELj64EliaaiiEEvbT2_NS_24const_host_device_scalarIT6_EEPKT1_S7_PKS1_PKT3_PKT4_S4_PT5_21rocsparse_index_base_b
    .private_segment_fixed_size: 0
    .sgpr_count:     29
    .sgpr_spill_count: 0
    .symbol:         _ZN9rocsparseL21csrmvn_general_kernelILj256ELj64EliaaiiEEvbT2_NS_24const_host_device_scalarIT6_EEPKT1_S7_PKS1_PKT3_PKT4_S4_PT5_21rocsparse_index_base_b.kd
    .uniform_work_group_size: 1
    .uses_dynamic_stack: false
    .vgpr_count:     37
    .vgpr_spill_count: 0
    .wavefront_size: 32
  - .args:
      - .offset:         0
        .size:           1
        .value_kind:     by_value
      - .offset:         1
        .size:           1
        .value_kind:     by_value
      - .offset:         4
        .size:           4
        .value_kind:     by_value
      - .offset:         8
        .size:           8
        .value_kind:     by_value
      - .address_space:  global
        .offset:         16
        .size:           8
        .value_kind:     global_buffer
      - .address_space:  global
        .offset:         24
        .size:           8
        .value_kind:     global_buffer
      - .actual_access:  read_only
        .address_space:  global
        .offset:         32
        .size:           8
        .value_kind:     global_buffer
      - .actual_access:  read_only
        .address_space:  global
        .offset:         40
        .size:           8
        .value_kind:     global_buffer
      - .actual_access:  read_only
        .address_space:  global
        .offset:         48
        .size:           8
        .value_kind:     global_buffer
      - .address_space:  global
        .offset:         56
        .size:           8
        .value_kind:     global_buffer
      - .offset:         64
        .size:           4
        .value_kind:     by_value
      - .offset:         68
        .size:           1
        .value_kind:     by_value
      - .offset:         72
        .size:           4
        .value_kind:     hidden_block_count_x
      - .offset:         76
        .size:           4
        .value_kind:     hidden_block_count_y
      - .offset:         80
        .size:           4
        .value_kind:     hidden_block_count_z
      - .offset:         84
        .size:           2
        .value_kind:     hidden_group_size_x
      - .offset:         86
        .size:           2
        .value_kind:     hidden_group_size_y
      - .offset:         88
        .size:           2
        .value_kind:     hidden_group_size_z
      - .offset:         90
        .size:           2
        .value_kind:     hidden_remainder_x
      - .offset:         92
        .size:           2
        .value_kind:     hidden_remainder_y
      - .offset:         94
        .size:           2
        .value_kind:     hidden_remainder_z
      - .offset:         112
        .size:           8
        .value_kind:     hidden_global_offset_x
      - .offset:         120
        .size:           8
        .value_kind:     hidden_global_offset_y
      - .offset:         128
        .size:           8
        .value_kind:     hidden_global_offset_z
      - .offset:         136
        .size:           2
        .value_kind:     hidden_grid_dims
    .group_segment_fixed_size: 0
    .kernarg_segment_align: 8
    .kernarg_segment_size: 328
    .language:       OpenCL C
    .language_version:
      - 2
      - 0
    .max_flat_workgroup_size: 256
    .name:           _ZN9rocsparseL21csrmvt_general_kernelILj256ELj4EliaaiiEEvbbT2_NS_24const_host_device_scalarIT6_EEPKT1_S7_PKS1_PKT3_PKT4_PT5_21rocsparse_index_base_b
    .private_segment_fixed_size: 0
    .sgpr_count:     24
    .sgpr_spill_count: 0
    .symbol:         _ZN9rocsparseL21csrmvt_general_kernelILj256ELj4EliaaiiEEvbbT2_NS_24const_host_device_scalarIT6_EEPKT1_S7_PKS1_PKT3_PKT4_PT5_21rocsparse_index_base_b.kd
    .uniform_work_group_size: 1
    .uses_dynamic_stack: false
    .vgpr_count:     16
    .vgpr_spill_count: 0
    .wavefront_size: 32
  - .args:
      - .offset:         0
        .size:           1
        .value_kind:     by_value
      - .offset:         1
        .size:           1
        .value_kind:     by_value
      - .offset:         4
        .size:           4
        .value_kind:     by_value
      - .offset:         8
        .size:           8
        .value_kind:     by_value
      - .address_space:  global
        .offset:         16
        .size:           8
        .value_kind:     global_buffer
      - .address_space:  global
        .offset:         24
        .size:           8
        .value_kind:     global_buffer
      - .actual_access:  read_only
        .address_space:  global
        .offset:         32
        .size:           8
        .value_kind:     global_buffer
      - .actual_access:  read_only
        .address_space:  global
        .offset:         40
        .size:           8
        .value_kind:     global_buffer
      - .actual_access:  read_only
        .address_space:  global
        .offset:         48
        .size:           8
        .value_kind:     global_buffer
      - .address_space:  global
        .offset:         56
        .size:           8
        .value_kind:     global_buffer
      - .offset:         64
        .size:           4
        .value_kind:     by_value
      - .offset:         68
        .size:           1
        .value_kind:     by_value
      - .offset:         72
        .size:           4
        .value_kind:     hidden_block_count_x
      - .offset:         76
        .size:           4
        .value_kind:     hidden_block_count_y
      - .offset:         80
        .size:           4
        .value_kind:     hidden_block_count_z
      - .offset:         84
        .size:           2
        .value_kind:     hidden_group_size_x
      - .offset:         86
        .size:           2
        .value_kind:     hidden_group_size_y
      - .offset:         88
        .size:           2
        .value_kind:     hidden_group_size_z
      - .offset:         90
        .size:           2
        .value_kind:     hidden_remainder_x
      - .offset:         92
        .size:           2
        .value_kind:     hidden_remainder_y
      - .offset:         94
        .size:           2
        .value_kind:     hidden_remainder_z
      - .offset:         112
        .size:           8
        .value_kind:     hidden_global_offset_x
      - .offset:         120
        .size:           8
        .value_kind:     hidden_global_offset_y
      - .offset:         128
        .size:           8
        .value_kind:     hidden_global_offset_z
      - .offset:         136
        .size:           2
        .value_kind:     hidden_grid_dims
    .group_segment_fixed_size: 0
    .kernarg_segment_align: 8
    .kernarg_segment_size: 328
    .language:       OpenCL C
    .language_version:
      - 2
      - 0
    .max_flat_workgroup_size: 256
    .name:           _ZN9rocsparseL21csrmvt_general_kernelILj256ELj8EliaaiiEEvbbT2_NS_24const_host_device_scalarIT6_EEPKT1_S7_PKS1_PKT3_PKT4_PT5_21rocsparse_index_base_b
    .private_segment_fixed_size: 0
    .sgpr_count:     24
    .sgpr_spill_count: 0
    .symbol:         _ZN9rocsparseL21csrmvt_general_kernelILj256ELj8EliaaiiEEvbbT2_NS_24const_host_device_scalarIT6_EEPKT1_S7_PKS1_PKT3_PKT4_PT5_21rocsparse_index_base_b.kd
    .uniform_work_group_size: 1
    .uses_dynamic_stack: false
    .vgpr_count:     16
    .vgpr_spill_count: 0
    .wavefront_size: 32
  - .args:
      - .offset:         0
        .size:           1
        .value_kind:     by_value
      - .offset:         1
        .size:           1
        .value_kind:     by_value
      - .offset:         4
        .size:           4
        .value_kind:     by_value
      - .offset:         8
        .size:           8
        .value_kind:     by_value
      - .address_space:  global
        .offset:         16
        .size:           8
        .value_kind:     global_buffer
      - .address_space:  global
        .offset:         24
        .size:           8
        .value_kind:     global_buffer
      - .actual_access:  read_only
        .address_space:  global
        .offset:         32
        .size:           8
        .value_kind:     global_buffer
      - .actual_access:  read_only
        .address_space:  global
        .offset:         40
        .size:           8
        .value_kind:     global_buffer
      - .actual_access:  read_only
        .address_space:  global
        .offset:         48
        .size:           8
        .value_kind:     global_buffer
      - .address_space:  global
        .offset:         56
        .size:           8
        .value_kind:     global_buffer
      - .offset:         64
        .size:           4
        .value_kind:     by_value
      - .offset:         68
        .size:           1
        .value_kind:     by_value
      - .offset:         72
        .size:           4
        .value_kind:     hidden_block_count_x
      - .offset:         76
        .size:           4
        .value_kind:     hidden_block_count_y
      - .offset:         80
        .size:           4
        .value_kind:     hidden_block_count_z
      - .offset:         84
        .size:           2
        .value_kind:     hidden_group_size_x
      - .offset:         86
        .size:           2
        .value_kind:     hidden_group_size_y
      - .offset:         88
        .size:           2
        .value_kind:     hidden_group_size_z
      - .offset:         90
        .size:           2
        .value_kind:     hidden_remainder_x
      - .offset:         92
        .size:           2
        .value_kind:     hidden_remainder_y
      - .offset:         94
        .size:           2
        .value_kind:     hidden_remainder_z
      - .offset:         112
        .size:           8
        .value_kind:     hidden_global_offset_x
      - .offset:         120
        .size:           8
        .value_kind:     hidden_global_offset_y
      - .offset:         128
        .size:           8
        .value_kind:     hidden_global_offset_z
      - .offset:         136
        .size:           2
        .value_kind:     hidden_grid_dims
    .group_segment_fixed_size: 0
    .kernarg_segment_align: 8
    .kernarg_segment_size: 328
    .language:       OpenCL C
    .language_version:
      - 2
      - 0
    .max_flat_workgroup_size: 256
    .name:           _ZN9rocsparseL21csrmvt_general_kernelILj256ELj16EliaaiiEEvbbT2_NS_24const_host_device_scalarIT6_EEPKT1_S7_PKS1_PKT3_PKT4_PT5_21rocsparse_index_base_b
    .private_segment_fixed_size: 0
    .sgpr_count:     24
    .sgpr_spill_count: 0
    .symbol:         _ZN9rocsparseL21csrmvt_general_kernelILj256ELj16EliaaiiEEvbbT2_NS_24const_host_device_scalarIT6_EEPKT1_S7_PKS1_PKT3_PKT4_PT5_21rocsparse_index_base_b.kd
    .uniform_work_group_size: 1
    .uses_dynamic_stack: false
    .vgpr_count:     16
    .vgpr_spill_count: 0
    .wavefront_size: 32
  - .args:
      - .offset:         0
        .size:           1
        .value_kind:     by_value
      - .offset:         1
        .size:           1
        .value_kind:     by_value
      - .offset:         4
        .size:           4
        .value_kind:     by_value
      - .offset:         8
        .size:           8
        .value_kind:     by_value
      - .address_space:  global
        .offset:         16
        .size:           8
        .value_kind:     global_buffer
      - .address_space:  global
        .offset:         24
        .size:           8
        .value_kind:     global_buffer
      - .actual_access:  read_only
        .address_space:  global
        .offset:         32
        .size:           8
        .value_kind:     global_buffer
      - .actual_access:  read_only
        .address_space:  global
        .offset:         40
        .size:           8
        .value_kind:     global_buffer
      - .actual_access:  read_only
        .address_space:  global
        .offset:         48
        .size:           8
        .value_kind:     global_buffer
      - .address_space:  global
        .offset:         56
        .size:           8
        .value_kind:     global_buffer
      - .offset:         64
        .size:           4
        .value_kind:     by_value
      - .offset:         68
        .size:           1
        .value_kind:     by_value
      - .offset:         72
        .size:           4
        .value_kind:     hidden_block_count_x
      - .offset:         76
        .size:           4
        .value_kind:     hidden_block_count_y
      - .offset:         80
        .size:           4
        .value_kind:     hidden_block_count_z
      - .offset:         84
        .size:           2
        .value_kind:     hidden_group_size_x
      - .offset:         86
        .size:           2
        .value_kind:     hidden_group_size_y
      - .offset:         88
        .size:           2
        .value_kind:     hidden_group_size_z
      - .offset:         90
        .size:           2
        .value_kind:     hidden_remainder_x
      - .offset:         92
        .size:           2
        .value_kind:     hidden_remainder_y
      - .offset:         94
        .size:           2
        .value_kind:     hidden_remainder_z
      - .offset:         112
        .size:           8
        .value_kind:     hidden_global_offset_x
      - .offset:         120
        .size:           8
        .value_kind:     hidden_global_offset_y
      - .offset:         128
        .size:           8
        .value_kind:     hidden_global_offset_z
      - .offset:         136
        .size:           2
        .value_kind:     hidden_grid_dims
    .group_segment_fixed_size: 0
    .kernarg_segment_align: 8
    .kernarg_segment_size: 328
    .language:       OpenCL C
    .language_version:
      - 2
      - 0
    .max_flat_workgroup_size: 256
    .name:           _ZN9rocsparseL21csrmvt_general_kernelILj256ELj32EliaaiiEEvbbT2_NS_24const_host_device_scalarIT6_EEPKT1_S7_PKS1_PKT3_PKT4_PT5_21rocsparse_index_base_b
    .private_segment_fixed_size: 0
    .sgpr_count:     24
    .sgpr_spill_count: 0
    .symbol:         _ZN9rocsparseL21csrmvt_general_kernelILj256ELj32EliaaiiEEvbbT2_NS_24const_host_device_scalarIT6_EEPKT1_S7_PKS1_PKT3_PKT4_PT5_21rocsparse_index_base_b.kd
    .uniform_work_group_size: 1
    .uses_dynamic_stack: false
    .vgpr_count:     16
    .vgpr_spill_count: 0
    .wavefront_size: 32
  - .args:
      - .offset:         0
        .size:           1
        .value_kind:     by_value
      - .offset:         1
        .size:           1
        .value_kind:     by_value
      - .offset:         4
        .size:           4
        .value_kind:     by_value
      - .offset:         8
        .size:           8
        .value_kind:     by_value
      - .address_space:  global
        .offset:         16
        .size:           8
        .value_kind:     global_buffer
      - .address_space:  global
        .offset:         24
        .size:           8
        .value_kind:     global_buffer
      - .actual_access:  read_only
        .address_space:  global
        .offset:         32
        .size:           8
        .value_kind:     global_buffer
      - .actual_access:  read_only
        .address_space:  global
        .offset:         40
        .size:           8
        .value_kind:     global_buffer
      - .actual_access:  read_only
        .address_space:  global
        .offset:         48
        .size:           8
        .value_kind:     global_buffer
      - .address_space:  global
        .offset:         56
        .size:           8
        .value_kind:     global_buffer
      - .offset:         64
        .size:           4
        .value_kind:     by_value
      - .offset:         68
        .size:           1
        .value_kind:     by_value
      - .offset:         72
        .size:           4
        .value_kind:     hidden_block_count_x
      - .offset:         76
        .size:           4
        .value_kind:     hidden_block_count_y
      - .offset:         80
        .size:           4
        .value_kind:     hidden_block_count_z
      - .offset:         84
        .size:           2
        .value_kind:     hidden_group_size_x
      - .offset:         86
        .size:           2
        .value_kind:     hidden_group_size_y
      - .offset:         88
        .size:           2
        .value_kind:     hidden_group_size_z
      - .offset:         90
        .size:           2
        .value_kind:     hidden_remainder_x
      - .offset:         92
        .size:           2
        .value_kind:     hidden_remainder_y
      - .offset:         94
        .size:           2
        .value_kind:     hidden_remainder_z
      - .offset:         112
        .size:           8
        .value_kind:     hidden_global_offset_x
      - .offset:         120
        .size:           8
        .value_kind:     hidden_global_offset_y
      - .offset:         128
        .size:           8
        .value_kind:     hidden_global_offset_z
      - .offset:         136
        .size:           2
        .value_kind:     hidden_grid_dims
    .group_segment_fixed_size: 0
    .kernarg_segment_align: 8
    .kernarg_segment_size: 328
    .language:       OpenCL C
    .language_version:
      - 2
      - 0
    .max_flat_workgroup_size: 256
    .name:           _ZN9rocsparseL21csrmvt_general_kernelILj256ELj64EliaaiiEEvbbT2_NS_24const_host_device_scalarIT6_EEPKT1_S7_PKS1_PKT3_PKT4_PT5_21rocsparse_index_base_b
    .private_segment_fixed_size: 0
    .sgpr_count:     24
    .sgpr_spill_count: 0
    .symbol:         _ZN9rocsparseL21csrmvt_general_kernelILj256ELj64EliaaiiEEvbbT2_NS_24const_host_device_scalarIT6_EEPKT1_S7_PKS1_PKT3_PKT4_PT5_21rocsparse_index_base_b.kd
    .uniform_work_group_size: 1
    .uses_dynamic_stack: false
    .vgpr_count:     16
    .vgpr_spill_count: 0
    .wavefront_size: 32
  - .args:
      - .offset:         0
        .size:           1
        .value_kind:     by_value
      - .offset:         8
        .size:           8
        .value_kind:     by_value
      - .offset:         16
        .size:           8
        .value_kind:     by_value
      - .address_space:  global
        .offset:         24
        .size:           8
        .value_kind:     global_buffer
      - .address_space:  global
        .offset:         32
        .size:           8
        .value_kind:     global_buffer
      - .actual_access:  read_only
        .address_space:  global
        .offset:         40
        .size:           8
        .value_kind:     global_buffer
      - .actual_access:  read_only
        .address_space:  global
        .offset:         48
        .size:           8
        .value_kind:     global_buffer
      - .actual_access:  read_only
        .address_space:  global
        .offset:         56
        .size:           8
        .value_kind:     global_buffer
      - .offset:         64
        .size:           8
        .value_kind:     by_value
      - .address_space:  global
        .offset:         72
        .size:           8
        .value_kind:     global_buffer
      - .offset:         80
        .size:           4
        .value_kind:     by_value
      - .offset:         84
        .size:           1
        .value_kind:     by_value
      - .offset:         88
        .size:           4
        .value_kind:     hidden_block_count_x
      - .offset:         92
        .size:           4
        .value_kind:     hidden_block_count_y
      - .offset:         96
        .size:           4
        .value_kind:     hidden_block_count_z
      - .offset:         100
        .size:           2
        .value_kind:     hidden_group_size_x
      - .offset:         102
        .size:           2
        .value_kind:     hidden_group_size_y
      - .offset:         104
        .size:           2
        .value_kind:     hidden_group_size_z
      - .offset:         106
        .size:           2
        .value_kind:     hidden_remainder_x
      - .offset:         108
        .size:           2
        .value_kind:     hidden_remainder_y
      - .offset:         110
        .size:           2
        .value_kind:     hidden_remainder_z
      - .offset:         128
        .size:           8
        .value_kind:     hidden_global_offset_x
      - .offset:         136
        .size:           8
        .value_kind:     hidden_global_offset_y
      - .offset:         144
        .size:           8
        .value_kind:     hidden_global_offset_z
      - .offset:         152
        .size:           2
        .value_kind:     hidden_grid_dims
    .group_segment_fixed_size: 0
    .kernarg_segment_align: 8
    .kernarg_segment_size: 344
    .language:       OpenCL C
    .language_version:
      - 2
      - 0
    .max_flat_workgroup_size: 256
    .name:           _ZN9rocsparseL21csrmvn_general_kernelILj256ELj2EllaaiiEEvbT2_NS_24const_host_device_scalarIT6_EEPKT1_S7_PKS1_PKT3_PKT4_S4_PT5_21rocsparse_index_base_b
    .private_segment_fixed_size: 0
    .sgpr_count:     27
    .sgpr_spill_count: 0
    .symbol:         _ZN9rocsparseL21csrmvn_general_kernelILj256ELj2EllaaiiEEvbT2_NS_24const_host_device_scalarIT6_EEPKT1_S7_PKS1_PKT3_PKT4_S4_PT5_21rocsparse_index_base_b.kd
    .uniform_work_group_size: 1
    .uses_dynamic_stack: false
    .vgpr_count:     16
    .vgpr_spill_count: 0
    .wavefront_size: 32
  - .args:
      - .offset:         0
        .size:           1
        .value_kind:     by_value
      - .offset:         8
        .size:           8
        .value_kind:     by_value
      - .offset:         16
        .size:           8
        .value_kind:     by_value
      - .address_space:  global
        .offset:         24
        .size:           8
        .value_kind:     global_buffer
      - .address_space:  global
        .offset:         32
        .size:           8
        .value_kind:     global_buffer
      - .actual_access:  read_only
        .address_space:  global
        .offset:         40
        .size:           8
        .value_kind:     global_buffer
      - .actual_access:  read_only
        .address_space:  global
        .offset:         48
        .size:           8
        .value_kind:     global_buffer
      - .actual_access:  read_only
        .address_space:  global
        .offset:         56
        .size:           8
        .value_kind:     global_buffer
      - .offset:         64
        .size:           8
        .value_kind:     by_value
      - .address_space:  global
        .offset:         72
        .size:           8
        .value_kind:     global_buffer
      - .offset:         80
        .size:           4
        .value_kind:     by_value
      - .offset:         84
        .size:           1
        .value_kind:     by_value
      - .offset:         88
        .size:           4
        .value_kind:     hidden_block_count_x
      - .offset:         92
        .size:           4
        .value_kind:     hidden_block_count_y
      - .offset:         96
        .size:           4
        .value_kind:     hidden_block_count_z
      - .offset:         100
        .size:           2
        .value_kind:     hidden_group_size_x
      - .offset:         102
        .size:           2
        .value_kind:     hidden_group_size_y
      - .offset:         104
        .size:           2
        .value_kind:     hidden_group_size_z
      - .offset:         106
        .size:           2
        .value_kind:     hidden_remainder_x
      - .offset:         108
        .size:           2
        .value_kind:     hidden_remainder_y
      - .offset:         110
        .size:           2
        .value_kind:     hidden_remainder_z
      - .offset:         128
        .size:           8
        .value_kind:     hidden_global_offset_x
      - .offset:         136
        .size:           8
        .value_kind:     hidden_global_offset_y
      - .offset:         144
        .size:           8
        .value_kind:     hidden_global_offset_z
      - .offset:         152
        .size:           2
        .value_kind:     hidden_grid_dims
    .group_segment_fixed_size: 0
    .kernarg_segment_align: 8
    .kernarg_segment_size: 344
    .language:       OpenCL C
    .language_version:
      - 2
      - 0
    .max_flat_workgroup_size: 256
    .name:           _ZN9rocsparseL21csrmvn_general_kernelILj256ELj4EllaaiiEEvbT2_NS_24const_host_device_scalarIT6_EEPKT1_S7_PKS1_PKT3_PKT4_S4_PT5_21rocsparse_index_base_b
    .private_segment_fixed_size: 0
    .sgpr_count:     27
    .sgpr_spill_count: 0
    .symbol:         _ZN9rocsparseL21csrmvn_general_kernelILj256ELj4EllaaiiEEvbT2_NS_24const_host_device_scalarIT6_EEPKT1_S7_PKS1_PKT3_PKT4_S4_PT5_21rocsparse_index_base_b.kd
    .uniform_work_group_size: 1
    .uses_dynamic_stack: false
    .vgpr_count:     18
    .vgpr_spill_count: 0
    .wavefront_size: 32
  - .args:
      - .offset:         0
        .size:           1
        .value_kind:     by_value
      - .offset:         8
        .size:           8
        .value_kind:     by_value
      - .offset:         16
        .size:           8
        .value_kind:     by_value
      - .address_space:  global
        .offset:         24
        .size:           8
        .value_kind:     global_buffer
      - .address_space:  global
        .offset:         32
        .size:           8
        .value_kind:     global_buffer
      - .actual_access:  read_only
        .address_space:  global
        .offset:         40
        .size:           8
        .value_kind:     global_buffer
      - .actual_access:  read_only
        .address_space:  global
        .offset:         48
        .size:           8
        .value_kind:     global_buffer
      - .actual_access:  read_only
        .address_space:  global
        .offset:         56
        .size:           8
        .value_kind:     global_buffer
      - .offset:         64
        .size:           8
        .value_kind:     by_value
      - .address_space:  global
        .offset:         72
        .size:           8
        .value_kind:     global_buffer
      - .offset:         80
        .size:           4
        .value_kind:     by_value
      - .offset:         84
        .size:           1
        .value_kind:     by_value
      - .offset:         88
        .size:           4
        .value_kind:     hidden_block_count_x
      - .offset:         92
        .size:           4
        .value_kind:     hidden_block_count_y
      - .offset:         96
        .size:           4
        .value_kind:     hidden_block_count_z
      - .offset:         100
        .size:           2
        .value_kind:     hidden_group_size_x
      - .offset:         102
        .size:           2
        .value_kind:     hidden_group_size_y
      - .offset:         104
        .size:           2
        .value_kind:     hidden_group_size_z
      - .offset:         106
        .size:           2
        .value_kind:     hidden_remainder_x
      - .offset:         108
        .size:           2
        .value_kind:     hidden_remainder_y
      - .offset:         110
        .size:           2
        .value_kind:     hidden_remainder_z
      - .offset:         128
        .size:           8
        .value_kind:     hidden_global_offset_x
      - .offset:         136
        .size:           8
        .value_kind:     hidden_global_offset_y
      - .offset:         144
        .size:           8
        .value_kind:     hidden_global_offset_z
      - .offset:         152
        .size:           2
        .value_kind:     hidden_grid_dims
    .group_segment_fixed_size: 0
    .kernarg_segment_align: 8
    .kernarg_segment_size: 344
    .language:       OpenCL C
    .language_version:
      - 2
      - 0
    .max_flat_workgroup_size: 256
    .name:           _ZN9rocsparseL21csrmvn_general_kernelILj256ELj8EllaaiiEEvbT2_NS_24const_host_device_scalarIT6_EEPKT1_S7_PKS1_PKT3_PKT4_S4_PT5_21rocsparse_index_base_b
    .private_segment_fixed_size: 0
    .sgpr_count:     27
    .sgpr_spill_count: 0
    .symbol:         _ZN9rocsparseL21csrmvn_general_kernelILj256ELj8EllaaiiEEvbT2_NS_24const_host_device_scalarIT6_EEPKT1_S7_PKS1_PKT3_PKT4_S4_PT5_21rocsparse_index_base_b.kd
    .uniform_work_group_size: 1
    .uses_dynamic_stack: false
    .vgpr_count:     18
    .vgpr_spill_count: 0
    .wavefront_size: 32
  - .args:
      - .offset:         0
        .size:           1
        .value_kind:     by_value
      - .offset:         8
        .size:           8
        .value_kind:     by_value
      - .offset:         16
        .size:           8
        .value_kind:     by_value
      - .address_space:  global
        .offset:         24
        .size:           8
        .value_kind:     global_buffer
      - .address_space:  global
        .offset:         32
        .size:           8
        .value_kind:     global_buffer
      - .actual_access:  read_only
        .address_space:  global
        .offset:         40
        .size:           8
        .value_kind:     global_buffer
      - .actual_access:  read_only
        .address_space:  global
        .offset:         48
        .size:           8
        .value_kind:     global_buffer
      - .actual_access:  read_only
        .address_space:  global
        .offset:         56
        .size:           8
        .value_kind:     global_buffer
      - .offset:         64
        .size:           8
        .value_kind:     by_value
      - .address_space:  global
        .offset:         72
        .size:           8
        .value_kind:     global_buffer
      - .offset:         80
        .size:           4
        .value_kind:     by_value
      - .offset:         84
        .size:           1
        .value_kind:     by_value
      - .offset:         88
        .size:           4
        .value_kind:     hidden_block_count_x
      - .offset:         92
        .size:           4
        .value_kind:     hidden_block_count_y
      - .offset:         96
        .size:           4
        .value_kind:     hidden_block_count_z
      - .offset:         100
        .size:           2
        .value_kind:     hidden_group_size_x
      - .offset:         102
        .size:           2
        .value_kind:     hidden_group_size_y
      - .offset:         104
        .size:           2
        .value_kind:     hidden_group_size_z
      - .offset:         106
        .size:           2
        .value_kind:     hidden_remainder_x
      - .offset:         108
        .size:           2
        .value_kind:     hidden_remainder_y
      - .offset:         110
        .size:           2
        .value_kind:     hidden_remainder_z
      - .offset:         128
        .size:           8
        .value_kind:     hidden_global_offset_x
      - .offset:         136
        .size:           8
        .value_kind:     hidden_global_offset_y
      - .offset:         144
        .size:           8
        .value_kind:     hidden_global_offset_z
      - .offset:         152
        .size:           2
        .value_kind:     hidden_grid_dims
    .group_segment_fixed_size: 0
    .kernarg_segment_align: 8
    .kernarg_segment_size: 344
    .language:       OpenCL C
    .language_version:
      - 2
      - 0
    .max_flat_workgroup_size: 256
    .name:           _ZN9rocsparseL21csrmvn_general_kernelILj256ELj16EllaaiiEEvbT2_NS_24const_host_device_scalarIT6_EEPKT1_S7_PKS1_PKT3_PKT4_S4_PT5_21rocsparse_index_base_b
    .private_segment_fixed_size: 0
    .sgpr_count:     27
    .sgpr_spill_count: 0
    .symbol:         _ZN9rocsparseL21csrmvn_general_kernelILj256ELj16EllaaiiEEvbT2_NS_24const_host_device_scalarIT6_EEPKT1_S7_PKS1_PKT3_PKT4_S4_PT5_21rocsparse_index_base_b.kd
    .uniform_work_group_size: 1
    .uses_dynamic_stack: false
    .vgpr_count:     20
    .vgpr_spill_count: 0
    .wavefront_size: 32
  - .args:
      - .offset:         0
        .size:           1
        .value_kind:     by_value
      - .offset:         8
        .size:           8
        .value_kind:     by_value
      - .offset:         16
        .size:           8
        .value_kind:     by_value
      - .address_space:  global
        .offset:         24
        .size:           8
        .value_kind:     global_buffer
      - .address_space:  global
        .offset:         32
        .size:           8
        .value_kind:     global_buffer
      - .actual_access:  read_only
        .address_space:  global
        .offset:         40
        .size:           8
        .value_kind:     global_buffer
      - .actual_access:  read_only
        .address_space:  global
        .offset:         48
        .size:           8
        .value_kind:     global_buffer
      - .actual_access:  read_only
        .address_space:  global
        .offset:         56
        .size:           8
        .value_kind:     global_buffer
      - .offset:         64
        .size:           8
        .value_kind:     by_value
      - .address_space:  global
        .offset:         72
        .size:           8
        .value_kind:     global_buffer
      - .offset:         80
        .size:           4
        .value_kind:     by_value
      - .offset:         84
        .size:           1
        .value_kind:     by_value
      - .offset:         88
        .size:           4
        .value_kind:     hidden_block_count_x
      - .offset:         92
        .size:           4
        .value_kind:     hidden_block_count_y
      - .offset:         96
        .size:           4
        .value_kind:     hidden_block_count_z
      - .offset:         100
        .size:           2
        .value_kind:     hidden_group_size_x
      - .offset:         102
        .size:           2
        .value_kind:     hidden_group_size_y
      - .offset:         104
        .size:           2
        .value_kind:     hidden_group_size_z
      - .offset:         106
        .size:           2
        .value_kind:     hidden_remainder_x
      - .offset:         108
        .size:           2
        .value_kind:     hidden_remainder_y
      - .offset:         110
        .size:           2
        .value_kind:     hidden_remainder_z
      - .offset:         128
        .size:           8
        .value_kind:     hidden_global_offset_x
      - .offset:         136
        .size:           8
        .value_kind:     hidden_global_offset_y
      - .offset:         144
        .size:           8
        .value_kind:     hidden_global_offset_z
      - .offset:         152
        .size:           2
        .value_kind:     hidden_grid_dims
    .group_segment_fixed_size: 0
    .kernarg_segment_align: 8
    .kernarg_segment_size: 344
    .language:       OpenCL C
    .language_version:
      - 2
      - 0
    .max_flat_workgroup_size: 256
    .name:           _ZN9rocsparseL21csrmvn_general_kernelILj256ELj32EllaaiiEEvbT2_NS_24const_host_device_scalarIT6_EEPKT1_S7_PKS1_PKT3_PKT4_S4_PT5_21rocsparse_index_base_b
    .private_segment_fixed_size: 0
    .sgpr_count:     27
    .sgpr_spill_count: 0
    .symbol:         _ZN9rocsparseL21csrmvn_general_kernelILj256ELj32EllaaiiEEvbT2_NS_24const_host_device_scalarIT6_EEPKT1_S7_PKS1_PKT3_PKT4_S4_PT5_21rocsparse_index_base_b.kd
    .uniform_work_group_size: 1
    .uses_dynamic_stack: false
    .vgpr_count:     20
    .vgpr_spill_count: 0
    .wavefront_size: 32
  - .args:
      - .offset:         0
        .size:           1
        .value_kind:     by_value
      - .offset:         8
        .size:           8
        .value_kind:     by_value
      - .offset:         16
        .size:           8
        .value_kind:     by_value
      - .address_space:  global
        .offset:         24
        .size:           8
        .value_kind:     global_buffer
      - .address_space:  global
        .offset:         32
        .size:           8
        .value_kind:     global_buffer
      - .actual_access:  read_only
        .address_space:  global
        .offset:         40
        .size:           8
        .value_kind:     global_buffer
      - .actual_access:  read_only
        .address_space:  global
        .offset:         48
        .size:           8
        .value_kind:     global_buffer
      - .actual_access:  read_only
        .address_space:  global
        .offset:         56
        .size:           8
        .value_kind:     global_buffer
      - .offset:         64
        .size:           8
        .value_kind:     by_value
      - .address_space:  global
        .offset:         72
        .size:           8
        .value_kind:     global_buffer
      - .offset:         80
        .size:           4
        .value_kind:     by_value
      - .offset:         84
        .size:           1
        .value_kind:     by_value
      - .offset:         88
        .size:           4
        .value_kind:     hidden_block_count_x
      - .offset:         92
        .size:           4
        .value_kind:     hidden_block_count_y
      - .offset:         96
        .size:           4
        .value_kind:     hidden_block_count_z
      - .offset:         100
        .size:           2
        .value_kind:     hidden_group_size_x
      - .offset:         102
        .size:           2
        .value_kind:     hidden_group_size_y
      - .offset:         104
        .size:           2
        .value_kind:     hidden_group_size_z
      - .offset:         106
        .size:           2
        .value_kind:     hidden_remainder_x
      - .offset:         108
        .size:           2
        .value_kind:     hidden_remainder_y
      - .offset:         110
        .size:           2
        .value_kind:     hidden_remainder_z
      - .offset:         128
        .size:           8
        .value_kind:     hidden_global_offset_x
      - .offset:         136
        .size:           8
        .value_kind:     hidden_global_offset_y
      - .offset:         144
        .size:           8
        .value_kind:     hidden_global_offset_z
      - .offset:         152
        .size:           2
        .value_kind:     hidden_grid_dims
    .group_segment_fixed_size: 0
    .kernarg_segment_align: 8
    .kernarg_segment_size: 344
    .language:       OpenCL C
    .language_version:
      - 2
      - 0
    .max_flat_workgroup_size: 256
    .name:           _ZN9rocsparseL21csrmvn_general_kernelILj256ELj64EllaaiiEEvbT2_NS_24const_host_device_scalarIT6_EEPKT1_S7_PKS1_PKT3_PKT4_S4_PT5_21rocsparse_index_base_b
    .private_segment_fixed_size: 0
    .sgpr_count:     27
    .sgpr_spill_count: 0
    .symbol:         _ZN9rocsparseL21csrmvn_general_kernelILj256ELj64EllaaiiEEvbT2_NS_24const_host_device_scalarIT6_EEPKT1_S7_PKS1_PKT3_PKT4_S4_PT5_21rocsparse_index_base_b.kd
    .uniform_work_group_size: 1
    .uses_dynamic_stack: false
    .vgpr_count:     22
    .vgpr_spill_count: 0
    .wavefront_size: 32
  - .args:
      - .offset:         0
        .size:           1
        .value_kind:     by_value
      - .offset:         1
        .size:           1
        .value_kind:     by_value
      - .offset:         8
        .size:           8
        .value_kind:     by_value
      - .offset:         16
        .size:           8
        .value_kind:     by_value
      - .address_space:  global
        .offset:         24
        .size:           8
        .value_kind:     global_buffer
      - .address_space:  global
        .offset:         32
        .size:           8
        .value_kind:     global_buffer
      - .actual_access:  read_only
        .address_space:  global
        .offset:         40
        .size:           8
        .value_kind:     global_buffer
      - .actual_access:  read_only
        .address_space:  global
        .offset:         48
        .size:           8
        .value_kind:     global_buffer
      - .actual_access:  read_only
        .address_space:  global
        .offset:         56
        .size:           8
        .value_kind:     global_buffer
      - .address_space:  global
        .offset:         64
        .size:           8
        .value_kind:     global_buffer
      - .offset:         72
        .size:           4
        .value_kind:     by_value
      - .offset:         76
        .size:           1
        .value_kind:     by_value
      - .offset:         80
        .size:           4
        .value_kind:     hidden_block_count_x
      - .offset:         84
        .size:           4
        .value_kind:     hidden_block_count_y
      - .offset:         88
        .size:           4
        .value_kind:     hidden_block_count_z
      - .offset:         92
        .size:           2
        .value_kind:     hidden_group_size_x
      - .offset:         94
        .size:           2
        .value_kind:     hidden_group_size_y
      - .offset:         96
        .size:           2
        .value_kind:     hidden_group_size_z
      - .offset:         98
        .size:           2
        .value_kind:     hidden_remainder_x
      - .offset:         100
        .size:           2
        .value_kind:     hidden_remainder_y
      - .offset:         102
        .size:           2
        .value_kind:     hidden_remainder_z
      - .offset:         120
        .size:           8
        .value_kind:     hidden_global_offset_x
      - .offset:         128
        .size:           8
        .value_kind:     hidden_global_offset_y
      - .offset:         136
        .size:           8
        .value_kind:     hidden_global_offset_z
      - .offset:         144
        .size:           2
        .value_kind:     hidden_grid_dims
    .group_segment_fixed_size: 0
    .kernarg_segment_align: 8
    .kernarg_segment_size: 336
    .language:       OpenCL C
    .language_version:
      - 2
      - 0
    .max_flat_workgroup_size: 256
    .name:           _ZN9rocsparseL21csrmvt_general_kernelILj256ELj4EllaaiiEEvbbT2_NS_24const_host_device_scalarIT6_EEPKT1_S7_PKS1_PKT3_PKT4_PT5_21rocsparse_index_base_b
    .private_segment_fixed_size: 0
    .sgpr_count:     26
    .sgpr_spill_count: 0
    .symbol:         _ZN9rocsparseL21csrmvt_general_kernelILj256ELj4EllaaiiEEvbbT2_NS_24const_host_device_scalarIT6_EEPKT1_S7_PKS1_PKT3_PKT4_PT5_21rocsparse_index_base_b.kd
    .uniform_work_group_size: 1
    .uses_dynamic_stack: false
    .vgpr_count:     19
    .vgpr_spill_count: 0
    .wavefront_size: 32
  - .args:
      - .offset:         0
        .size:           1
        .value_kind:     by_value
      - .offset:         1
        .size:           1
        .value_kind:     by_value
      - .offset:         8
        .size:           8
        .value_kind:     by_value
      - .offset:         16
        .size:           8
        .value_kind:     by_value
      - .address_space:  global
        .offset:         24
        .size:           8
        .value_kind:     global_buffer
      - .address_space:  global
        .offset:         32
        .size:           8
        .value_kind:     global_buffer
      - .actual_access:  read_only
        .address_space:  global
        .offset:         40
        .size:           8
        .value_kind:     global_buffer
      - .actual_access:  read_only
        .address_space:  global
        .offset:         48
        .size:           8
        .value_kind:     global_buffer
      - .actual_access:  read_only
        .address_space:  global
        .offset:         56
        .size:           8
        .value_kind:     global_buffer
      - .address_space:  global
        .offset:         64
        .size:           8
        .value_kind:     global_buffer
      - .offset:         72
        .size:           4
        .value_kind:     by_value
      - .offset:         76
        .size:           1
        .value_kind:     by_value
      - .offset:         80
        .size:           4
        .value_kind:     hidden_block_count_x
      - .offset:         84
        .size:           4
        .value_kind:     hidden_block_count_y
      - .offset:         88
        .size:           4
        .value_kind:     hidden_block_count_z
      - .offset:         92
        .size:           2
        .value_kind:     hidden_group_size_x
      - .offset:         94
        .size:           2
        .value_kind:     hidden_group_size_y
      - .offset:         96
        .size:           2
        .value_kind:     hidden_group_size_z
      - .offset:         98
        .size:           2
        .value_kind:     hidden_remainder_x
      - .offset:         100
        .size:           2
        .value_kind:     hidden_remainder_y
      - .offset:         102
        .size:           2
        .value_kind:     hidden_remainder_z
      - .offset:         120
        .size:           8
        .value_kind:     hidden_global_offset_x
      - .offset:         128
        .size:           8
        .value_kind:     hidden_global_offset_y
      - .offset:         136
        .size:           8
        .value_kind:     hidden_global_offset_z
      - .offset:         144
        .size:           2
        .value_kind:     hidden_grid_dims
    .group_segment_fixed_size: 0
    .kernarg_segment_align: 8
    .kernarg_segment_size: 336
    .language:       OpenCL C
    .language_version:
      - 2
      - 0
    .max_flat_workgroup_size: 256
    .name:           _ZN9rocsparseL21csrmvt_general_kernelILj256ELj8EllaaiiEEvbbT2_NS_24const_host_device_scalarIT6_EEPKT1_S7_PKS1_PKT3_PKT4_PT5_21rocsparse_index_base_b
    .private_segment_fixed_size: 0
    .sgpr_count:     26
    .sgpr_spill_count: 0
    .symbol:         _ZN9rocsparseL21csrmvt_general_kernelILj256ELj8EllaaiiEEvbbT2_NS_24const_host_device_scalarIT6_EEPKT1_S7_PKS1_PKT3_PKT4_PT5_21rocsparse_index_base_b.kd
    .uniform_work_group_size: 1
    .uses_dynamic_stack: false
    .vgpr_count:     19
    .vgpr_spill_count: 0
    .wavefront_size: 32
  - .args:
      - .offset:         0
        .size:           1
        .value_kind:     by_value
      - .offset:         1
        .size:           1
        .value_kind:     by_value
      - .offset:         8
        .size:           8
        .value_kind:     by_value
      - .offset:         16
        .size:           8
        .value_kind:     by_value
      - .address_space:  global
        .offset:         24
        .size:           8
        .value_kind:     global_buffer
      - .address_space:  global
        .offset:         32
        .size:           8
        .value_kind:     global_buffer
      - .actual_access:  read_only
        .address_space:  global
        .offset:         40
        .size:           8
        .value_kind:     global_buffer
      - .actual_access:  read_only
        .address_space:  global
        .offset:         48
        .size:           8
        .value_kind:     global_buffer
      - .actual_access:  read_only
        .address_space:  global
        .offset:         56
        .size:           8
        .value_kind:     global_buffer
      - .address_space:  global
        .offset:         64
        .size:           8
        .value_kind:     global_buffer
      - .offset:         72
        .size:           4
        .value_kind:     by_value
      - .offset:         76
        .size:           1
        .value_kind:     by_value
      - .offset:         80
        .size:           4
        .value_kind:     hidden_block_count_x
      - .offset:         84
        .size:           4
        .value_kind:     hidden_block_count_y
      - .offset:         88
        .size:           4
        .value_kind:     hidden_block_count_z
      - .offset:         92
        .size:           2
        .value_kind:     hidden_group_size_x
      - .offset:         94
        .size:           2
        .value_kind:     hidden_group_size_y
      - .offset:         96
        .size:           2
        .value_kind:     hidden_group_size_z
      - .offset:         98
        .size:           2
        .value_kind:     hidden_remainder_x
      - .offset:         100
        .size:           2
        .value_kind:     hidden_remainder_y
      - .offset:         102
        .size:           2
        .value_kind:     hidden_remainder_z
      - .offset:         120
        .size:           8
        .value_kind:     hidden_global_offset_x
      - .offset:         128
        .size:           8
        .value_kind:     hidden_global_offset_y
      - .offset:         136
        .size:           8
        .value_kind:     hidden_global_offset_z
      - .offset:         144
        .size:           2
        .value_kind:     hidden_grid_dims
    .group_segment_fixed_size: 0
    .kernarg_segment_align: 8
    .kernarg_segment_size: 336
    .language:       OpenCL C
    .language_version:
      - 2
      - 0
    .max_flat_workgroup_size: 256
    .name:           _ZN9rocsparseL21csrmvt_general_kernelILj256ELj16EllaaiiEEvbbT2_NS_24const_host_device_scalarIT6_EEPKT1_S7_PKS1_PKT3_PKT4_PT5_21rocsparse_index_base_b
    .private_segment_fixed_size: 0
    .sgpr_count:     26
    .sgpr_spill_count: 0
    .symbol:         _ZN9rocsparseL21csrmvt_general_kernelILj256ELj16EllaaiiEEvbbT2_NS_24const_host_device_scalarIT6_EEPKT1_S7_PKS1_PKT3_PKT4_PT5_21rocsparse_index_base_b.kd
    .uniform_work_group_size: 1
    .uses_dynamic_stack: false
    .vgpr_count:     19
    .vgpr_spill_count: 0
    .wavefront_size: 32
  - .args:
      - .offset:         0
        .size:           1
        .value_kind:     by_value
      - .offset:         1
        .size:           1
        .value_kind:     by_value
      - .offset:         8
        .size:           8
        .value_kind:     by_value
      - .offset:         16
        .size:           8
        .value_kind:     by_value
      - .address_space:  global
        .offset:         24
        .size:           8
        .value_kind:     global_buffer
      - .address_space:  global
        .offset:         32
        .size:           8
        .value_kind:     global_buffer
      - .actual_access:  read_only
        .address_space:  global
        .offset:         40
        .size:           8
        .value_kind:     global_buffer
      - .actual_access:  read_only
        .address_space:  global
        .offset:         48
        .size:           8
        .value_kind:     global_buffer
      - .actual_access:  read_only
        .address_space:  global
        .offset:         56
        .size:           8
        .value_kind:     global_buffer
      - .address_space:  global
        .offset:         64
        .size:           8
        .value_kind:     global_buffer
      - .offset:         72
        .size:           4
        .value_kind:     by_value
      - .offset:         76
        .size:           1
        .value_kind:     by_value
      - .offset:         80
        .size:           4
        .value_kind:     hidden_block_count_x
      - .offset:         84
        .size:           4
        .value_kind:     hidden_block_count_y
      - .offset:         88
        .size:           4
        .value_kind:     hidden_block_count_z
      - .offset:         92
        .size:           2
        .value_kind:     hidden_group_size_x
      - .offset:         94
        .size:           2
        .value_kind:     hidden_group_size_y
      - .offset:         96
        .size:           2
        .value_kind:     hidden_group_size_z
      - .offset:         98
        .size:           2
        .value_kind:     hidden_remainder_x
      - .offset:         100
        .size:           2
        .value_kind:     hidden_remainder_y
      - .offset:         102
        .size:           2
        .value_kind:     hidden_remainder_z
      - .offset:         120
        .size:           8
        .value_kind:     hidden_global_offset_x
      - .offset:         128
        .size:           8
        .value_kind:     hidden_global_offset_y
      - .offset:         136
        .size:           8
        .value_kind:     hidden_global_offset_z
      - .offset:         144
        .size:           2
        .value_kind:     hidden_grid_dims
    .group_segment_fixed_size: 0
    .kernarg_segment_align: 8
    .kernarg_segment_size: 336
    .language:       OpenCL C
    .language_version:
      - 2
      - 0
    .max_flat_workgroup_size: 256
    .name:           _ZN9rocsparseL21csrmvt_general_kernelILj256ELj32EllaaiiEEvbbT2_NS_24const_host_device_scalarIT6_EEPKT1_S7_PKS1_PKT3_PKT4_PT5_21rocsparse_index_base_b
    .private_segment_fixed_size: 0
    .sgpr_count:     26
    .sgpr_spill_count: 0
    .symbol:         _ZN9rocsparseL21csrmvt_general_kernelILj256ELj32EllaaiiEEvbbT2_NS_24const_host_device_scalarIT6_EEPKT1_S7_PKS1_PKT3_PKT4_PT5_21rocsparse_index_base_b.kd
    .uniform_work_group_size: 1
    .uses_dynamic_stack: false
    .vgpr_count:     19
    .vgpr_spill_count: 0
    .wavefront_size: 32
  - .args:
      - .offset:         0
        .size:           1
        .value_kind:     by_value
      - .offset:         1
        .size:           1
        .value_kind:     by_value
      - .offset:         8
        .size:           8
        .value_kind:     by_value
      - .offset:         16
        .size:           8
        .value_kind:     by_value
      - .address_space:  global
        .offset:         24
        .size:           8
        .value_kind:     global_buffer
      - .address_space:  global
        .offset:         32
        .size:           8
        .value_kind:     global_buffer
      - .actual_access:  read_only
        .address_space:  global
        .offset:         40
        .size:           8
        .value_kind:     global_buffer
      - .actual_access:  read_only
        .address_space:  global
        .offset:         48
        .size:           8
        .value_kind:     global_buffer
      - .actual_access:  read_only
        .address_space:  global
        .offset:         56
        .size:           8
        .value_kind:     global_buffer
      - .address_space:  global
        .offset:         64
        .size:           8
        .value_kind:     global_buffer
      - .offset:         72
        .size:           4
        .value_kind:     by_value
      - .offset:         76
        .size:           1
        .value_kind:     by_value
      - .offset:         80
        .size:           4
        .value_kind:     hidden_block_count_x
      - .offset:         84
        .size:           4
        .value_kind:     hidden_block_count_y
      - .offset:         88
        .size:           4
        .value_kind:     hidden_block_count_z
      - .offset:         92
        .size:           2
        .value_kind:     hidden_group_size_x
      - .offset:         94
        .size:           2
        .value_kind:     hidden_group_size_y
      - .offset:         96
        .size:           2
        .value_kind:     hidden_group_size_z
      - .offset:         98
        .size:           2
        .value_kind:     hidden_remainder_x
      - .offset:         100
        .size:           2
        .value_kind:     hidden_remainder_y
      - .offset:         102
        .size:           2
        .value_kind:     hidden_remainder_z
      - .offset:         120
        .size:           8
        .value_kind:     hidden_global_offset_x
      - .offset:         128
        .size:           8
        .value_kind:     hidden_global_offset_y
      - .offset:         136
        .size:           8
        .value_kind:     hidden_global_offset_z
      - .offset:         144
        .size:           2
        .value_kind:     hidden_grid_dims
    .group_segment_fixed_size: 0
    .kernarg_segment_align: 8
    .kernarg_segment_size: 336
    .language:       OpenCL C
    .language_version:
      - 2
      - 0
    .max_flat_workgroup_size: 256
    .name:           _ZN9rocsparseL21csrmvt_general_kernelILj256ELj64EllaaiiEEvbbT2_NS_24const_host_device_scalarIT6_EEPKT1_S7_PKS1_PKT3_PKT4_PT5_21rocsparse_index_base_b
    .private_segment_fixed_size: 0
    .sgpr_count:     26
    .sgpr_spill_count: 0
    .symbol:         _ZN9rocsparseL21csrmvt_general_kernelILj256ELj64EllaaiiEEvbbT2_NS_24const_host_device_scalarIT6_EEPKT1_S7_PKS1_PKT3_PKT4_PT5_21rocsparse_index_base_b.kd
    .uniform_work_group_size: 1
    .uses_dynamic_stack: false
    .vgpr_count:     19
    .vgpr_spill_count: 0
    .wavefront_size: 32
  - .args:
      - .offset:         0
        .size:           1
        .value_kind:     by_value
      - .offset:         4
        .size:           4
        .value_kind:     by_value
      - .offset:         8
        .size:           8
        .value_kind:     by_value
      - .address_space:  global
        .offset:         16
        .size:           8
        .value_kind:     global_buffer
      - .address_space:  global
        .offset:         24
        .size:           8
        .value_kind:     global_buffer
      - .actual_access:  read_only
        .address_space:  global
        .offset:         32
        .size:           8
        .value_kind:     global_buffer
      - .actual_access:  read_only
        .address_space:  global
        .offset:         40
        .size:           8
        .value_kind:     global_buffer
      - .actual_access:  read_only
        .address_space:  global
        .offset:         48
        .size:           8
        .value_kind:     global_buffer
      - .offset:         56
        .size:           8
        .value_kind:     by_value
      - .address_space:  global
        .offset:         64
        .size:           8
        .value_kind:     global_buffer
      - .offset:         72
        .size:           4
        .value_kind:     by_value
      - .offset:         76
        .size:           1
        .value_kind:     by_value
      - .offset:         80
        .size:           4
        .value_kind:     hidden_block_count_x
      - .offset:         84
        .size:           4
        .value_kind:     hidden_block_count_y
      - .offset:         88
        .size:           4
        .value_kind:     hidden_block_count_z
      - .offset:         92
        .size:           2
        .value_kind:     hidden_group_size_x
      - .offset:         94
        .size:           2
        .value_kind:     hidden_group_size_y
      - .offset:         96
        .size:           2
        .value_kind:     hidden_group_size_z
      - .offset:         98
        .size:           2
        .value_kind:     hidden_remainder_x
      - .offset:         100
        .size:           2
        .value_kind:     hidden_remainder_y
      - .offset:         102
        .size:           2
        .value_kind:     hidden_remainder_z
      - .offset:         120
        .size:           8
        .value_kind:     hidden_global_offset_x
      - .offset:         128
        .size:           8
        .value_kind:     hidden_global_offset_y
      - .offset:         136
        .size:           8
        .value_kind:     hidden_global_offset_z
      - .offset:         144
        .size:           2
        .value_kind:     hidden_grid_dims
    .group_segment_fixed_size: 0
    .kernarg_segment_align: 8
    .kernarg_segment_size: 336
    .language:       OpenCL C
    .language_version:
      - 2
      - 0
    .max_flat_workgroup_size: 256
    .name:           _ZN9rocsparseL21csrmvn_general_kernelILj256ELj2EiiaaffEEvbT2_NS_24const_host_device_scalarIT6_EEPKT1_S7_PKS1_PKT3_PKT4_S4_PT5_21rocsparse_index_base_b
    .private_segment_fixed_size: 0
    .sgpr_count:     24
    .sgpr_spill_count: 0
    .symbol:         _ZN9rocsparseL21csrmvn_general_kernelILj256ELj2EiiaaffEEvbT2_NS_24const_host_device_scalarIT6_EEPKT1_S7_PKS1_PKT3_PKT4_S4_PT5_21rocsparse_index_base_b.kd
    .uniform_work_group_size: 1
    .uses_dynamic_stack: false
    .vgpr_count:     8
    .vgpr_spill_count: 0
    .wavefront_size: 32
  - .args:
      - .offset:         0
        .size:           1
        .value_kind:     by_value
      - .offset:         4
        .size:           4
        .value_kind:     by_value
      - .offset:         8
        .size:           8
        .value_kind:     by_value
      - .address_space:  global
        .offset:         16
        .size:           8
        .value_kind:     global_buffer
      - .address_space:  global
        .offset:         24
        .size:           8
        .value_kind:     global_buffer
      - .actual_access:  read_only
        .address_space:  global
        .offset:         32
        .size:           8
        .value_kind:     global_buffer
      - .actual_access:  read_only
        .address_space:  global
        .offset:         40
        .size:           8
        .value_kind:     global_buffer
      - .actual_access:  read_only
        .address_space:  global
        .offset:         48
        .size:           8
        .value_kind:     global_buffer
      - .offset:         56
        .size:           8
        .value_kind:     by_value
      - .address_space:  global
        .offset:         64
        .size:           8
        .value_kind:     global_buffer
      - .offset:         72
        .size:           4
        .value_kind:     by_value
      - .offset:         76
        .size:           1
        .value_kind:     by_value
      - .offset:         80
        .size:           4
        .value_kind:     hidden_block_count_x
      - .offset:         84
        .size:           4
        .value_kind:     hidden_block_count_y
      - .offset:         88
        .size:           4
        .value_kind:     hidden_block_count_z
      - .offset:         92
        .size:           2
        .value_kind:     hidden_group_size_x
      - .offset:         94
        .size:           2
        .value_kind:     hidden_group_size_y
      - .offset:         96
        .size:           2
        .value_kind:     hidden_group_size_z
      - .offset:         98
        .size:           2
        .value_kind:     hidden_remainder_x
      - .offset:         100
        .size:           2
        .value_kind:     hidden_remainder_y
      - .offset:         102
        .size:           2
        .value_kind:     hidden_remainder_z
      - .offset:         120
        .size:           8
        .value_kind:     hidden_global_offset_x
      - .offset:         128
        .size:           8
        .value_kind:     hidden_global_offset_y
      - .offset:         136
        .size:           8
        .value_kind:     hidden_global_offset_z
      - .offset:         144
        .size:           2
        .value_kind:     hidden_grid_dims
    .group_segment_fixed_size: 0
    .kernarg_segment_align: 8
    .kernarg_segment_size: 336
    .language:       OpenCL C
    .language_version:
      - 2
      - 0
    .max_flat_workgroup_size: 256
    .name:           _ZN9rocsparseL21csrmvn_general_kernelILj256ELj4EiiaaffEEvbT2_NS_24const_host_device_scalarIT6_EEPKT1_S7_PKS1_PKT3_PKT4_S4_PT5_21rocsparse_index_base_b
    .private_segment_fixed_size: 0
    .sgpr_count:     24
    .sgpr_spill_count: 0
    .symbol:         _ZN9rocsparseL21csrmvn_general_kernelILj256ELj4EiiaaffEEvbT2_NS_24const_host_device_scalarIT6_EEPKT1_S7_PKS1_PKT3_PKT4_S4_PT5_21rocsparse_index_base_b.kd
    .uniform_work_group_size: 1
    .uses_dynamic_stack: false
    .vgpr_count:     9
    .vgpr_spill_count: 0
    .wavefront_size: 32
  - .args:
      - .offset:         0
        .size:           1
        .value_kind:     by_value
      - .offset:         4
        .size:           4
        .value_kind:     by_value
      - .offset:         8
        .size:           8
        .value_kind:     by_value
      - .address_space:  global
        .offset:         16
        .size:           8
        .value_kind:     global_buffer
      - .address_space:  global
        .offset:         24
        .size:           8
        .value_kind:     global_buffer
      - .actual_access:  read_only
        .address_space:  global
        .offset:         32
        .size:           8
        .value_kind:     global_buffer
      - .actual_access:  read_only
        .address_space:  global
        .offset:         40
        .size:           8
        .value_kind:     global_buffer
      - .actual_access:  read_only
        .address_space:  global
        .offset:         48
        .size:           8
        .value_kind:     global_buffer
      - .offset:         56
        .size:           8
        .value_kind:     by_value
      - .address_space:  global
        .offset:         64
        .size:           8
        .value_kind:     global_buffer
      - .offset:         72
        .size:           4
        .value_kind:     by_value
      - .offset:         76
        .size:           1
        .value_kind:     by_value
      - .offset:         80
        .size:           4
        .value_kind:     hidden_block_count_x
      - .offset:         84
        .size:           4
        .value_kind:     hidden_block_count_y
      - .offset:         88
        .size:           4
        .value_kind:     hidden_block_count_z
      - .offset:         92
        .size:           2
        .value_kind:     hidden_group_size_x
      - .offset:         94
        .size:           2
        .value_kind:     hidden_group_size_y
      - .offset:         96
        .size:           2
        .value_kind:     hidden_group_size_z
      - .offset:         98
        .size:           2
        .value_kind:     hidden_remainder_x
      - .offset:         100
        .size:           2
        .value_kind:     hidden_remainder_y
      - .offset:         102
        .size:           2
        .value_kind:     hidden_remainder_z
      - .offset:         120
        .size:           8
        .value_kind:     hidden_global_offset_x
      - .offset:         128
        .size:           8
        .value_kind:     hidden_global_offset_y
      - .offset:         136
        .size:           8
        .value_kind:     hidden_global_offset_z
      - .offset:         144
        .size:           2
        .value_kind:     hidden_grid_dims
    .group_segment_fixed_size: 0
    .kernarg_segment_align: 8
    .kernarg_segment_size: 336
    .language:       OpenCL C
    .language_version:
      - 2
      - 0
    .max_flat_workgroup_size: 256
    .name:           _ZN9rocsparseL21csrmvn_general_kernelILj256ELj8EiiaaffEEvbT2_NS_24const_host_device_scalarIT6_EEPKT1_S7_PKS1_PKT3_PKT4_S4_PT5_21rocsparse_index_base_b
    .private_segment_fixed_size: 0
    .sgpr_count:     24
    .sgpr_spill_count: 0
    .symbol:         _ZN9rocsparseL21csrmvn_general_kernelILj256ELj8EiiaaffEEvbT2_NS_24const_host_device_scalarIT6_EEPKT1_S7_PKS1_PKT3_PKT4_S4_PT5_21rocsparse_index_base_b.kd
    .uniform_work_group_size: 1
    .uses_dynamic_stack: false
    .vgpr_count:     10
    .vgpr_spill_count: 0
    .wavefront_size: 32
  - .args:
      - .offset:         0
        .size:           1
        .value_kind:     by_value
      - .offset:         4
        .size:           4
        .value_kind:     by_value
      - .offset:         8
        .size:           8
        .value_kind:     by_value
      - .address_space:  global
        .offset:         16
        .size:           8
        .value_kind:     global_buffer
      - .address_space:  global
        .offset:         24
        .size:           8
        .value_kind:     global_buffer
      - .actual_access:  read_only
        .address_space:  global
        .offset:         32
        .size:           8
        .value_kind:     global_buffer
      - .actual_access:  read_only
        .address_space:  global
        .offset:         40
        .size:           8
        .value_kind:     global_buffer
      - .actual_access:  read_only
        .address_space:  global
        .offset:         48
        .size:           8
        .value_kind:     global_buffer
      - .offset:         56
        .size:           8
        .value_kind:     by_value
      - .address_space:  global
        .offset:         64
        .size:           8
        .value_kind:     global_buffer
      - .offset:         72
        .size:           4
        .value_kind:     by_value
      - .offset:         76
        .size:           1
        .value_kind:     by_value
      - .offset:         80
        .size:           4
        .value_kind:     hidden_block_count_x
      - .offset:         84
        .size:           4
        .value_kind:     hidden_block_count_y
      - .offset:         88
        .size:           4
        .value_kind:     hidden_block_count_z
      - .offset:         92
        .size:           2
        .value_kind:     hidden_group_size_x
      - .offset:         94
        .size:           2
        .value_kind:     hidden_group_size_y
      - .offset:         96
        .size:           2
        .value_kind:     hidden_group_size_z
      - .offset:         98
        .size:           2
        .value_kind:     hidden_remainder_x
      - .offset:         100
        .size:           2
        .value_kind:     hidden_remainder_y
      - .offset:         102
        .size:           2
        .value_kind:     hidden_remainder_z
      - .offset:         120
        .size:           8
        .value_kind:     hidden_global_offset_x
      - .offset:         128
        .size:           8
        .value_kind:     hidden_global_offset_y
      - .offset:         136
        .size:           8
        .value_kind:     hidden_global_offset_z
      - .offset:         144
        .size:           2
        .value_kind:     hidden_grid_dims
    .group_segment_fixed_size: 0
    .kernarg_segment_align: 8
    .kernarg_segment_size: 336
    .language:       OpenCL C
    .language_version:
      - 2
      - 0
    .max_flat_workgroup_size: 256
    .name:           _ZN9rocsparseL21csrmvn_general_kernelILj256ELj16EiiaaffEEvbT2_NS_24const_host_device_scalarIT6_EEPKT1_S7_PKS1_PKT3_PKT4_S4_PT5_21rocsparse_index_base_b
    .private_segment_fixed_size: 0
    .sgpr_count:     24
    .sgpr_spill_count: 0
    .symbol:         _ZN9rocsparseL21csrmvn_general_kernelILj256ELj16EiiaaffEEvbT2_NS_24const_host_device_scalarIT6_EEPKT1_S7_PKS1_PKT3_PKT4_S4_PT5_21rocsparse_index_base_b.kd
    .uniform_work_group_size: 1
    .uses_dynamic_stack: false
    .vgpr_count:     11
    .vgpr_spill_count: 0
    .wavefront_size: 32
  - .args:
      - .offset:         0
        .size:           1
        .value_kind:     by_value
      - .offset:         4
        .size:           4
        .value_kind:     by_value
      - .offset:         8
        .size:           8
        .value_kind:     by_value
      - .address_space:  global
        .offset:         16
        .size:           8
        .value_kind:     global_buffer
      - .address_space:  global
        .offset:         24
        .size:           8
        .value_kind:     global_buffer
      - .actual_access:  read_only
        .address_space:  global
        .offset:         32
        .size:           8
        .value_kind:     global_buffer
      - .actual_access:  read_only
        .address_space:  global
        .offset:         40
        .size:           8
        .value_kind:     global_buffer
      - .actual_access:  read_only
        .address_space:  global
        .offset:         48
        .size:           8
        .value_kind:     global_buffer
      - .offset:         56
        .size:           8
        .value_kind:     by_value
      - .address_space:  global
        .offset:         64
        .size:           8
        .value_kind:     global_buffer
      - .offset:         72
        .size:           4
        .value_kind:     by_value
      - .offset:         76
        .size:           1
        .value_kind:     by_value
      - .offset:         80
        .size:           4
        .value_kind:     hidden_block_count_x
      - .offset:         84
        .size:           4
        .value_kind:     hidden_block_count_y
      - .offset:         88
        .size:           4
        .value_kind:     hidden_block_count_z
      - .offset:         92
        .size:           2
        .value_kind:     hidden_group_size_x
      - .offset:         94
        .size:           2
        .value_kind:     hidden_group_size_y
      - .offset:         96
        .size:           2
        .value_kind:     hidden_group_size_z
      - .offset:         98
        .size:           2
        .value_kind:     hidden_remainder_x
      - .offset:         100
        .size:           2
        .value_kind:     hidden_remainder_y
      - .offset:         102
        .size:           2
        .value_kind:     hidden_remainder_z
      - .offset:         120
        .size:           8
        .value_kind:     hidden_global_offset_x
      - .offset:         128
        .size:           8
        .value_kind:     hidden_global_offset_y
      - .offset:         136
        .size:           8
        .value_kind:     hidden_global_offset_z
      - .offset:         144
        .size:           2
        .value_kind:     hidden_grid_dims
    .group_segment_fixed_size: 0
    .kernarg_segment_align: 8
    .kernarg_segment_size: 336
    .language:       OpenCL C
    .language_version:
      - 2
      - 0
    .max_flat_workgroup_size: 256
    .name:           _ZN9rocsparseL21csrmvn_general_kernelILj256ELj32EiiaaffEEvbT2_NS_24const_host_device_scalarIT6_EEPKT1_S7_PKS1_PKT3_PKT4_S4_PT5_21rocsparse_index_base_b
    .private_segment_fixed_size: 0
    .sgpr_count:     24
    .sgpr_spill_count: 0
    .symbol:         _ZN9rocsparseL21csrmvn_general_kernelILj256ELj32EiiaaffEEvbT2_NS_24const_host_device_scalarIT6_EEPKT1_S7_PKS1_PKT3_PKT4_S4_PT5_21rocsparse_index_base_b.kd
    .uniform_work_group_size: 1
    .uses_dynamic_stack: false
    .vgpr_count:     12
    .vgpr_spill_count: 0
    .wavefront_size: 32
  - .args:
      - .offset:         0
        .size:           1
        .value_kind:     by_value
      - .offset:         4
        .size:           4
        .value_kind:     by_value
      - .offset:         8
        .size:           8
        .value_kind:     by_value
      - .address_space:  global
        .offset:         16
        .size:           8
        .value_kind:     global_buffer
      - .address_space:  global
        .offset:         24
        .size:           8
        .value_kind:     global_buffer
      - .actual_access:  read_only
        .address_space:  global
        .offset:         32
        .size:           8
        .value_kind:     global_buffer
      - .actual_access:  read_only
        .address_space:  global
        .offset:         40
        .size:           8
        .value_kind:     global_buffer
      - .actual_access:  read_only
        .address_space:  global
        .offset:         48
        .size:           8
        .value_kind:     global_buffer
      - .offset:         56
        .size:           8
        .value_kind:     by_value
      - .address_space:  global
        .offset:         64
        .size:           8
        .value_kind:     global_buffer
      - .offset:         72
        .size:           4
        .value_kind:     by_value
      - .offset:         76
        .size:           1
        .value_kind:     by_value
      - .offset:         80
        .size:           4
        .value_kind:     hidden_block_count_x
      - .offset:         84
        .size:           4
        .value_kind:     hidden_block_count_y
      - .offset:         88
        .size:           4
        .value_kind:     hidden_block_count_z
      - .offset:         92
        .size:           2
        .value_kind:     hidden_group_size_x
      - .offset:         94
        .size:           2
        .value_kind:     hidden_group_size_y
      - .offset:         96
        .size:           2
        .value_kind:     hidden_group_size_z
      - .offset:         98
        .size:           2
        .value_kind:     hidden_remainder_x
      - .offset:         100
        .size:           2
        .value_kind:     hidden_remainder_y
      - .offset:         102
        .size:           2
        .value_kind:     hidden_remainder_z
      - .offset:         120
        .size:           8
        .value_kind:     hidden_global_offset_x
      - .offset:         128
        .size:           8
        .value_kind:     hidden_global_offset_y
      - .offset:         136
        .size:           8
        .value_kind:     hidden_global_offset_z
      - .offset:         144
        .size:           2
        .value_kind:     hidden_grid_dims
    .group_segment_fixed_size: 0
    .kernarg_segment_align: 8
    .kernarg_segment_size: 336
    .language:       OpenCL C
    .language_version:
      - 2
      - 0
    .max_flat_workgroup_size: 256
    .name:           _ZN9rocsparseL21csrmvn_general_kernelILj256ELj64EiiaaffEEvbT2_NS_24const_host_device_scalarIT6_EEPKT1_S7_PKS1_PKT3_PKT4_S4_PT5_21rocsparse_index_base_b
    .private_segment_fixed_size: 0
    .sgpr_count:     24
    .sgpr_spill_count: 0
    .symbol:         _ZN9rocsparseL21csrmvn_general_kernelILj256ELj64EiiaaffEEvbT2_NS_24const_host_device_scalarIT6_EEPKT1_S7_PKS1_PKT3_PKT4_S4_PT5_21rocsparse_index_base_b.kd
    .uniform_work_group_size: 1
    .uses_dynamic_stack: false
    .vgpr_count:     13
    .vgpr_spill_count: 0
    .wavefront_size: 32
  - .args:
      - .offset:         0
        .size:           1
        .value_kind:     by_value
      - .offset:         1
        .size:           1
        .value_kind:     by_value
      - .offset:         4
        .size:           4
        .value_kind:     by_value
      - .offset:         8
        .size:           8
        .value_kind:     by_value
      - .address_space:  global
        .offset:         16
        .size:           8
        .value_kind:     global_buffer
      - .address_space:  global
        .offset:         24
        .size:           8
        .value_kind:     global_buffer
      - .actual_access:  read_only
        .address_space:  global
        .offset:         32
        .size:           8
        .value_kind:     global_buffer
      - .actual_access:  read_only
        .address_space:  global
        .offset:         40
        .size:           8
        .value_kind:     global_buffer
      - .actual_access:  read_only
        .address_space:  global
        .offset:         48
        .size:           8
        .value_kind:     global_buffer
      - .address_space:  global
        .offset:         56
        .size:           8
        .value_kind:     global_buffer
      - .offset:         64
        .size:           4
        .value_kind:     by_value
      - .offset:         68
        .size:           1
        .value_kind:     by_value
      - .offset:         72
        .size:           4
        .value_kind:     hidden_block_count_x
      - .offset:         76
        .size:           4
        .value_kind:     hidden_block_count_y
      - .offset:         80
        .size:           4
        .value_kind:     hidden_block_count_z
      - .offset:         84
        .size:           2
        .value_kind:     hidden_group_size_x
      - .offset:         86
        .size:           2
        .value_kind:     hidden_group_size_y
      - .offset:         88
        .size:           2
        .value_kind:     hidden_group_size_z
      - .offset:         90
        .size:           2
        .value_kind:     hidden_remainder_x
      - .offset:         92
        .size:           2
        .value_kind:     hidden_remainder_y
      - .offset:         94
        .size:           2
        .value_kind:     hidden_remainder_z
      - .offset:         112
        .size:           8
        .value_kind:     hidden_global_offset_x
      - .offset:         120
        .size:           8
        .value_kind:     hidden_global_offset_y
      - .offset:         128
        .size:           8
        .value_kind:     hidden_global_offset_z
      - .offset:         136
        .size:           2
        .value_kind:     hidden_grid_dims
    .group_segment_fixed_size: 0
    .kernarg_segment_align: 8
    .kernarg_segment_size: 328
    .language:       OpenCL C
    .language_version:
      - 2
      - 0
    .max_flat_workgroup_size: 256
    .name:           _ZN9rocsparseL21csrmvt_general_kernelILj256ELj4EiiaaffEEvbbT2_NS_24const_host_device_scalarIT6_EEPKT1_S7_PKS1_PKT3_PKT4_PT5_21rocsparse_index_base_b
    .private_segment_fixed_size: 0
    .sgpr_count:     23
    .sgpr_spill_count: 0
    .symbol:         _ZN9rocsparseL21csrmvt_general_kernelILj256ELj4EiiaaffEEvbbT2_NS_24const_host_device_scalarIT6_EEPKT1_S7_PKS1_PKT3_PKT4_PT5_21rocsparse_index_base_b.kd
    .uniform_work_group_size: 1
    .uses_dynamic_stack: false
    .vgpr_count:     10
    .vgpr_spill_count: 0
    .wavefront_size: 32
  - .args:
      - .offset:         0
        .size:           1
        .value_kind:     by_value
      - .offset:         1
        .size:           1
        .value_kind:     by_value
      - .offset:         4
        .size:           4
        .value_kind:     by_value
      - .offset:         8
        .size:           8
        .value_kind:     by_value
      - .address_space:  global
        .offset:         16
        .size:           8
        .value_kind:     global_buffer
      - .address_space:  global
        .offset:         24
        .size:           8
        .value_kind:     global_buffer
      - .actual_access:  read_only
        .address_space:  global
        .offset:         32
        .size:           8
        .value_kind:     global_buffer
      - .actual_access:  read_only
        .address_space:  global
        .offset:         40
        .size:           8
        .value_kind:     global_buffer
      - .actual_access:  read_only
        .address_space:  global
        .offset:         48
        .size:           8
        .value_kind:     global_buffer
      - .address_space:  global
        .offset:         56
        .size:           8
        .value_kind:     global_buffer
      - .offset:         64
        .size:           4
        .value_kind:     by_value
      - .offset:         68
        .size:           1
        .value_kind:     by_value
      - .offset:         72
        .size:           4
        .value_kind:     hidden_block_count_x
      - .offset:         76
        .size:           4
        .value_kind:     hidden_block_count_y
      - .offset:         80
        .size:           4
        .value_kind:     hidden_block_count_z
      - .offset:         84
        .size:           2
        .value_kind:     hidden_group_size_x
      - .offset:         86
        .size:           2
        .value_kind:     hidden_group_size_y
      - .offset:         88
        .size:           2
        .value_kind:     hidden_group_size_z
      - .offset:         90
        .size:           2
        .value_kind:     hidden_remainder_x
      - .offset:         92
        .size:           2
        .value_kind:     hidden_remainder_y
      - .offset:         94
        .size:           2
        .value_kind:     hidden_remainder_z
      - .offset:         112
        .size:           8
        .value_kind:     hidden_global_offset_x
      - .offset:         120
        .size:           8
        .value_kind:     hidden_global_offset_y
      - .offset:         128
        .size:           8
        .value_kind:     hidden_global_offset_z
      - .offset:         136
        .size:           2
        .value_kind:     hidden_grid_dims
    .group_segment_fixed_size: 0
    .kernarg_segment_align: 8
    .kernarg_segment_size: 328
    .language:       OpenCL C
    .language_version:
      - 2
      - 0
    .max_flat_workgroup_size: 256
    .name:           _ZN9rocsparseL21csrmvt_general_kernelILj256ELj8EiiaaffEEvbbT2_NS_24const_host_device_scalarIT6_EEPKT1_S7_PKS1_PKT3_PKT4_PT5_21rocsparse_index_base_b
    .private_segment_fixed_size: 0
    .sgpr_count:     23
    .sgpr_spill_count: 0
    .symbol:         _ZN9rocsparseL21csrmvt_general_kernelILj256ELj8EiiaaffEEvbbT2_NS_24const_host_device_scalarIT6_EEPKT1_S7_PKS1_PKT3_PKT4_PT5_21rocsparse_index_base_b.kd
    .uniform_work_group_size: 1
    .uses_dynamic_stack: false
    .vgpr_count:     10
    .vgpr_spill_count: 0
    .wavefront_size: 32
  - .args:
      - .offset:         0
        .size:           1
        .value_kind:     by_value
      - .offset:         1
        .size:           1
        .value_kind:     by_value
      - .offset:         4
        .size:           4
        .value_kind:     by_value
      - .offset:         8
        .size:           8
        .value_kind:     by_value
      - .address_space:  global
        .offset:         16
        .size:           8
        .value_kind:     global_buffer
      - .address_space:  global
        .offset:         24
        .size:           8
        .value_kind:     global_buffer
      - .actual_access:  read_only
        .address_space:  global
        .offset:         32
        .size:           8
        .value_kind:     global_buffer
      - .actual_access:  read_only
        .address_space:  global
        .offset:         40
        .size:           8
        .value_kind:     global_buffer
      - .actual_access:  read_only
        .address_space:  global
        .offset:         48
        .size:           8
        .value_kind:     global_buffer
      - .address_space:  global
        .offset:         56
        .size:           8
        .value_kind:     global_buffer
      - .offset:         64
        .size:           4
        .value_kind:     by_value
      - .offset:         68
        .size:           1
        .value_kind:     by_value
      - .offset:         72
        .size:           4
        .value_kind:     hidden_block_count_x
      - .offset:         76
        .size:           4
        .value_kind:     hidden_block_count_y
      - .offset:         80
        .size:           4
        .value_kind:     hidden_block_count_z
      - .offset:         84
        .size:           2
        .value_kind:     hidden_group_size_x
      - .offset:         86
        .size:           2
        .value_kind:     hidden_group_size_y
      - .offset:         88
        .size:           2
        .value_kind:     hidden_group_size_z
      - .offset:         90
        .size:           2
        .value_kind:     hidden_remainder_x
      - .offset:         92
        .size:           2
        .value_kind:     hidden_remainder_y
      - .offset:         94
        .size:           2
        .value_kind:     hidden_remainder_z
      - .offset:         112
        .size:           8
        .value_kind:     hidden_global_offset_x
      - .offset:         120
        .size:           8
        .value_kind:     hidden_global_offset_y
      - .offset:         128
        .size:           8
        .value_kind:     hidden_global_offset_z
      - .offset:         136
        .size:           2
        .value_kind:     hidden_grid_dims
    .group_segment_fixed_size: 0
    .kernarg_segment_align: 8
    .kernarg_segment_size: 328
    .language:       OpenCL C
    .language_version:
      - 2
      - 0
    .max_flat_workgroup_size: 256
    .name:           _ZN9rocsparseL21csrmvt_general_kernelILj256ELj16EiiaaffEEvbbT2_NS_24const_host_device_scalarIT6_EEPKT1_S7_PKS1_PKT3_PKT4_PT5_21rocsparse_index_base_b
    .private_segment_fixed_size: 0
    .sgpr_count:     23
    .sgpr_spill_count: 0
    .symbol:         _ZN9rocsparseL21csrmvt_general_kernelILj256ELj16EiiaaffEEvbbT2_NS_24const_host_device_scalarIT6_EEPKT1_S7_PKS1_PKT3_PKT4_PT5_21rocsparse_index_base_b.kd
    .uniform_work_group_size: 1
    .uses_dynamic_stack: false
    .vgpr_count:     10
    .vgpr_spill_count: 0
    .wavefront_size: 32
  - .args:
      - .offset:         0
        .size:           1
        .value_kind:     by_value
      - .offset:         1
        .size:           1
        .value_kind:     by_value
      - .offset:         4
        .size:           4
        .value_kind:     by_value
      - .offset:         8
        .size:           8
        .value_kind:     by_value
      - .address_space:  global
        .offset:         16
        .size:           8
        .value_kind:     global_buffer
      - .address_space:  global
        .offset:         24
        .size:           8
        .value_kind:     global_buffer
      - .actual_access:  read_only
        .address_space:  global
        .offset:         32
        .size:           8
        .value_kind:     global_buffer
      - .actual_access:  read_only
        .address_space:  global
        .offset:         40
        .size:           8
        .value_kind:     global_buffer
      - .actual_access:  read_only
        .address_space:  global
        .offset:         48
        .size:           8
        .value_kind:     global_buffer
      - .address_space:  global
        .offset:         56
        .size:           8
        .value_kind:     global_buffer
      - .offset:         64
        .size:           4
        .value_kind:     by_value
      - .offset:         68
        .size:           1
        .value_kind:     by_value
      - .offset:         72
        .size:           4
        .value_kind:     hidden_block_count_x
      - .offset:         76
        .size:           4
        .value_kind:     hidden_block_count_y
      - .offset:         80
        .size:           4
        .value_kind:     hidden_block_count_z
      - .offset:         84
        .size:           2
        .value_kind:     hidden_group_size_x
      - .offset:         86
        .size:           2
        .value_kind:     hidden_group_size_y
      - .offset:         88
        .size:           2
        .value_kind:     hidden_group_size_z
      - .offset:         90
        .size:           2
        .value_kind:     hidden_remainder_x
      - .offset:         92
        .size:           2
        .value_kind:     hidden_remainder_y
      - .offset:         94
        .size:           2
        .value_kind:     hidden_remainder_z
      - .offset:         112
        .size:           8
        .value_kind:     hidden_global_offset_x
      - .offset:         120
        .size:           8
        .value_kind:     hidden_global_offset_y
      - .offset:         128
        .size:           8
        .value_kind:     hidden_global_offset_z
      - .offset:         136
        .size:           2
        .value_kind:     hidden_grid_dims
    .group_segment_fixed_size: 0
    .kernarg_segment_align: 8
    .kernarg_segment_size: 328
    .language:       OpenCL C
    .language_version:
      - 2
      - 0
    .max_flat_workgroup_size: 256
    .name:           _ZN9rocsparseL21csrmvt_general_kernelILj256ELj32EiiaaffEEvbbT2_NS_24const_host_device_scalarIT6_EEPKT1_S7_PKS1_PKT3_PKT4_PT5_21rocsparse_index_base_b
    .private_segment_fixed_size: 0
    .sgpr_count:     23
    .sgpr_spill_count: 0
    .symbol:         _ZN9rocsparseL21csrmvt_general_kernelILj256ELj32EiiaaffEEvbbT2_NS_24const_host_device_scalarIT6_EEPKT1_S7_PKS1_PKT3_PKT4_PT5_21rocsparse_index_base_b.kd
    .uniform_work_group_size: 1
    .uses_dynamic_stack: false
    .vgpr_count:     10
    .vgpr_spill_count: 0
    .wavefront_size: 32
  - .args:
      - .offset:         0
        .size:           1
        .value_kind:     by_value
      - .offset:         1
        .size:           1
        .value_kind:     by_value
      - .offset:         4
        .size:           4
        .value_kind:     by_value
      - .offset:         8
        .size:           8
        .value_kind:     by_value
      - .address_space:  global
        .offset:         16
        .size:           8
        .value_kind:     global_buffer
      - .address_space:  global
        .offset:         24
        .size:           8
        .value_kind:     global_buffer
      - .actual_access:  read_only
        .address_space:  global
        .offset:         32
        .size:           8
        .value_kind:     global_buffer
      - .actual_access:  read_only
        .address_space:  global
        .offset:         40
        .size:           8
        .value_kind:     global_buffer
      - .actual_access:  read_only
        .address_space:  global
        .offset:         48
        .size:           8
        .value_kind:     global_buffer
      - .address_space:  global
        .offset:         56
        .size:           8
        .value_kind:     global_buffer
      - .offset:         64
        .size:           4
        .value_kind:     by_value
      - .offset:         68
        .size:           1
        .value_kind:     by_value
      - .offset:         72
        .size:           4
        .value_kind:     hidden_block_count_x
      - .offset:         76
        .size:           4
        .value_kind:     hidden_block_count_y
      - .offset:         80
        .size:           4
        .value_kind:     hidden_block_count_z
      - .offset:         84
        .size:           2
        .value_kind:     hidden_group_size_x
      - .offset:         86
        .size:           2
        .value_kind:     hidden_group_size_y
      - .offset:         88
        .size:           2
        .value_kind:     hidden_group_size_z
      - .offset:         90
        .size:           2
        .value_kind:     hidden_remainder_x
      - .offset:         92
        .size:           2
        .value_kind:     hidden_remainder_y
      - .offset:         94
        .size:           2
        .value_kind:     hidden_remainder_z
      - .offset:         112
        .size:           8
        .value_kind:     hidden_global_offset_x
      - .offset:         120
        .size:           8
        .value_kind:     hidden_global_offset_y
      - .offset:         128
        .size:           8
        .value_kind:     hidden_global_offset_z
      - .offset:         136
        .size:           2
        .value_kind:     hidden_grid_dims
    .group_segment_fixed_size: 0
    .kernarg_segment_align: 8
    .kernarg_segment_size: 328
    .language:       OpenCL C
    .language_version:
      - 2
      - 0
    .max_flat_workgroup_size: 256
    .name:           _ZN9rocsparseL21csrmvt_general_kernelILj256ELj64EiiaaffEEvbbT2_NS_24const_host_device_scalarIT6_EEPKT1_S7_PKS1_PKT3_PKT4_PT5_21rocsparse_index_base_b
    .private_segment_fixed_size: 0
    .sgpr_count:     23
    .sgpr_spill_count: 0
    .symbol:         _ZN9rocsparseL21csrmvt_general_kernelILj256ELj64EiiaaffEEvbbT2_NS_24const_host_device_scalarIT6_EEPKT1_S7_PKS1_PKT3_PKT4_PT5_21rocsparse_index_base_b.kd
    .uniform_work_group_size: 1
    .uses_dynamic_stack: false
    .vgpr_count:     10
    .vgpr_spill_count: 0
    .wavefront_size: 32
  - .args:
      - .offset:         0
        .size:           1
        .value_kind:     by_value
      - .offset:         4
        .size:           4
        .value_kind:     by_value
      - .offset:         8
        .size:           8
        .value_kind:     by_value
      - .address_space:  global
        .offset:         16
        .size:           8
        .value_kind:     global_buffer
      - .address_space:  global
        .offset:         24
        .size:           8
        .value_kind:     global_buffer
      - .actual_access:  read_only
        .address_space:  global
        .offset:         32
        .size:           8
        .value_kind:     global_buffer
      - .actual_access:  read_only
        .address_space:  global
        .offset:         40
        .size:           8
        .value_kind:     global_buffer
      - .actual_access:  read_only
        .address_space:  global
        .offset:         48
        .size:           8
        .value_kind:     global_buffer
      - .offset:         56
        .size:           8
        .value_kind:     by_value
      - .address_space:  global
        .offset:         64
        .size:           8
        .value_kind:     global_buffer
      - .offset:         72
        .size:           4
        .value_kind:     by_value
      - .offset:         76
        .size:           1
        .value_kind:     by_value
      - .offset:         80
        .size:           4
        .value_kind:     hidden_block_count_x
      - .offset:         84
        .size:           4
        .value_kind:     hidden_block_count_y
      - .offset:         88
        .size:           4
        .value_kind:     hidden_block_count_z
      - .offset:         92
        .size:           2
        .value_kind:     hidden_group_size_x
      - .offset:         94
        .size:           2
        .value_kind:     hidden_group_size_y
      - .offset:         96
        .size:           2
        .value_kind:     hidden_group_size_z
      - .offset:         98
        .size:           2
        .value_kind:     hidden_remainder_x
      - .offset:         100
        .size:           2
        .value_kind:     hidden_remainder_y
      - .offset:         102
        .size:           2
        .value_kind:     hidden_remainder_z
      - .offset:         120
        .size:           8
        .value_kind:     hidden_global_offset_x
      - .offset:         128
        .size:           8
        .value_kind:     hidden_global_offset_y
      - .offset:         136
        .size:           8
        .value_kind:     hidden_global_offset_z
      - .offset:         144
        .size:           2
        .value_kind:     hidden_grid_dims
    .group_segment_fixed_size: 0
    .kernarg_segment_align: 8
    .kernarg_segment_size: 336
    .language:       OpenCL C
    .language_version:
      - 2
      - 0
    .max_flat_workgroup_size: 256
    .name:           _ZN9rocsparseL21csrmvn_general_kernelILj256ELj2EliaaffEEvbT2_NS_24const_host_device_scalarIT6_EEPKT1_S7_PKS1_PKT3_PKT4_S4_PT5_21rocsparse_index_base_b
    .private_segment_fixed_size: 0
    .sgpr_count:     25
    .sgpr_spill_count: 0
    .symbol:         _ZN9rocsparseL21csrmvn_general_kernelILj256ELj2EliaaffEEvbT2_NS_24const_host_device_scalarIT6_EEPKT1_S7_PKS1_PKT3_PKT4_S4_PT5_21rocsparse_index_base_b.kd
    .uniform_work_group_size: 1
    .uses_dynamic_stack: false
    .vgpr_count:     16
    .vgpr_spill_count: 0
    .wavefront_size: 32
  - .args:
      - .offset:         0
        .size:           1
        .value_kind:     by_value
      - .offset:         4
        .size:           4
        .value_kind:     by_value
      - .offset:         8
        .size:           8
        .value_kind:     by_value
      - .address_space:  global
        .offset:         16
        .size:           8
        .value_kind:     global_buffer
      - .address_space:  global
        .offset:         24
        .size:           8
        .value_kind:     global_buffer
      - .actual_access:  read_only
        .address_space:  global
        .offset:         32
        .size:           8
        .value_kind:     global_buffer
      - .actual_access:  read_only
        .address_space:  global
        .offset:         40
        .size:           8
        .value_kind:     global_buffer
      - .actual_access:  read_only
        .address_space:  global
        .offset:         48
        .size:           8
        .value_kind:     global_buffer
      - .offset:         56
        .size:           8
        .value_kind:     by_value
      - .address_space:  global
        .offset:         64
        .size:           8
        .value_kind:     global_buffer
      - .offset:         72
        .size:           4
        .value_kind:     by_value
      - .offset:         76
        .size:           1
        .value_kind:     by_value
      - .offset:         80
        .size:           4
        .value_kind:     hidden_block_count_x
      - .offset:         84
        .size:           4
        .value_kind:     hidden_block_count_y
      - .offset:         88
        .size:           4
        .value_kind:     hidden_block_count_z
      - .offset:         92
        .size:           2
        .value_kind:     hidden_group_size_x
      - .offset:         94
        .size:           2
        .value_kind:     hidden_group_size_y
      - .offset:         96
        .size:           2
        .value_kind:     hidden_group_size_z
      - .offset:         98
        .size:           2
        .value_kind:     hidden_remainder_x
      - .offset:         100
        .size:           2
        .value_kind:     hidden_remainder_y
      - .offset:         102
        .size:           2
        .value_kind:     hidden_remainder_z
      - .offset:         120
        .size:           8
        .value_kind:     hidden_global_offset_x
      - .offset:         128
        .size:           8
        .value_kind:     hidden_global_offset_y
      - .offset:         136
        .size:           8
        .value_kind:     hidden_global_offset_z
      - .offset:         144
        .size:           2
        .value_kind:     hidden_grid_dims
    .group_segment_fixed_size: 0
    .kernarg_segment_align: 8
    .kernarg_segment_size: 336
    .language:       OpenCL C
    .language_version:
      - 2
      - 0
    .max_flat_workgroup_size: 256
    .name:           _ZN9rocsparseL21csrmvn_general_kernelILj256ELj4EliaaffEEvbT2_NS_24const_host_device_scalarIT6_EEPKT1_S7_PKS1_PKT3_PKT4_S4_PT5_21rocsparse_index_base_b
    .private_segment_fixed_size: 0
    .sgpr_count:     25
    .sgpr_spill_count: 0
    .symbol:         _ZN9rocsparseL21csrmvn_general_kernelILj256ELj4EliaaffEEvbT2_NS_24const_host_device_scalarIT6_EEPKT1_S7_PKS1_PKT3_PKT4_S4_PT5_21rocsparse_index_base_b.kd
    .uniform_work_group_size: 1
    .uses_dynamic_stack: false
    .vgpr_count:     17
    .vgpr_spill_count: 0
    .wavefront_size: 32
  - .args:
      - .offset:         0
        .size:           1
        .value_kind:     by_value
      - .offset:         4
        .size:           4
        .value_kind:     by_value
      - .offset:         8
        .size:           8
        .value_kind:     by_value
      - .address_space:  global
        .offset:         16
        .size:           8
        .value_kind:     global_buffer
      - .address_space:  global
        .offset:         24
        .size:           8
        .value_kind:     global_buffer
      - .actual_access:  read_only
        .address_space:  global
        .offset:         32
        .size:           8
        .value_kind:     global_buffer
      - .actual_access:  read_only
        .address_space:  global
        .offset:         40
        .size:           8
        .value_kind:     global_buffer
      - .actual_access:  read_only
        .address_space:  global
        .offset:         48
        .size:           8
        .value_kind:     global_buffer
      - .offset:         56
        .size:           8
        .value_kind:     by_value
      - .address_space:  global
        .offset:         64
        .size:           8
        .value_kind:     global_buffer
      - .offset:         72
        .size:           4
        .value_kind:     by_value
      - .offset:         76
        .size:           1
        .value_kind:     by_value
      - .offset:         80
        .size:           4
        .value_kind:     hidden_block_count_x
      - .offset:         84
        .size:           4
        .value_kind:     hidden_block_count_y
      - .offset:         88
        .size:           4
        .value_kind:     hidden_block_count_z
      - .offset:         92
        .size:           2
        .value_kind:     hidden_group_size_x
      - .offset:         94
        .size:           2
        .value_kind:     hidden_group_size_y
      - .offset:         96
        .size:           2
        .value_kind:     hidden_group_size_z
      - .offset:         98
        .size:           2
        .value_kind:     hidden_remainder_x
      - .offset:         100
        .size:           2
        .value_kind:     hidden_remainder_y
      - .offset:         102
        .size:           2
        .value_kind:     hidden_remainder_z
      - .offset:         120
        .size:           8
        .value_kind:     hidden_global_offset_x
      - .offset:         128
        .size:           8
        .value_kind:     hidden_global_offset_y
      - .offset:         136
        .size:           8
        .value_kind:     hidden_global_offset_z
      - .offset:         144
        .size:           2
        .value_kind:     hidden_grid_dims
    .group_segment_fixed_size: 0
    .kernarg_segment_align: 8
    .kernarg_segment_size: 336
    .language:       OpenCL C
    .language_version:
      - 2
      - 0
    .max_flat_workgroup_size: 256
    .name:           _ZN9rocsparseL21csrmvn_general_kernelILj256ELj8EliaaffEEvbT2_NS_24const_host_device_scalarIT6_EEPKT1_S7_PKS1_PKT3_PKT4_S4_PT5_21rocsparse_index_base_b
    .private_segment_fixed_size: 0
    .sgpr_count:     25
    .sgpr_spill_count: 0
    .symbol:         _ZN9rocsparseL21csrmvn_general_kernelILj256ELj8EliaaffEEvbT2_NS_24const_host_device_scalarIT6_EEPKT1_S7_PKS1_PKT3_PKT4_S4_PT5_21rocsparse_index_base_b.kd
    .uniform_work_group_size: 1
    .uses_dynamic_stack: false
    .vgpr_count:     18
    .vgpr_spill_count: 0
    .wavefront_size: 32
  - .args:
      - .offset:         0
        .size:           1
        .value_kind:     by_value
      - .offset:         4
        .size:           4
        .value_kind:     by_value
      - .offset:         8
        .size:           8
        .value_kind:     by_value
      - .address_space:  global
        .offset:         16
        .size:           8
        .value_kind:     global_buffer
      - .address_space:  global
        .offset:         24
        .size:           8
        .value_kind:     global_buffer
      - .actual_access:  read_only
        .address_space:  global
        .offset:         32
        .size:           8
        .value_kind:     global_buffer
      - .actual_access:  read_only
        .address_space:  global
        .offset:         40
        .size:           8
        .value_kind:     global_buffer
      - .actual_access:  read_only
        .address_space:  global
        .offset:         48
        .size:           8
        .value_kind:     global_buffer
      - .offset:         56
        .size:           8
        .value_kind:     by_value
      - .address_space:  global
        .offset:         64
        .size:           8
        .value_kind:     global_buffer
      - .offset:         72
        .size:           4
        .value_kind:     by_value
      - .offset:         76
        .size:           1
        .value_kind:     by_value
      - .offset:         80
        .size:           4
        .value_kind:     hidden_block_count_x
      - .offset:         84
        .size:           4
        .value_kind:     hidden_block_count_y
      - .offset:         88
        .size:           4
        .value_kind:     hidden_block_count_z
      - .offset:         92
        .size:           2
        .value_kind:     hidden_group_size_x
      - .offset:         94
        .size:           2
        .value_kind:     hidden_group_size_y
      - .offset:         96
        .size:           2
        .value_kind:     hidden_group_size_z
      - .offset:         98
        .size:           2
        .value_kind:     hidden_remainder_x
      - .offset:         100
        .size:           2
        .value_kind:     hidden_remainder_y
      - .offset:         102
        .size:           2
        .value_kind:     hidden_remainder_z
      - .offset:         120
        .size:           8
        .value_kind:     hidden_global_offset_x
      - .offset:         128
        .size:           8
        .value_kind:     hidden_global_offset_y
      - .offset:         136
        .size:           8
        .value_kind:     hidden_global_offset_z
      - .offset:         144
        .size:           2
        .value_kind:     hidden_grid_dims
    .group_segment_fixed_size: 0
    .kernarg_segment_align: 8
    .kernarg_segment_size: 336
    .language:       OpenCL C
    .language_version:
      - 2
      - 0
    .max_flat_workgroup_size: 256
    .name:           _ZN9rocsparseL21csrmvn_general_kernelILj256ELj16EliaaffEEvbT2_NS_24const_host_device_scalarIT6_EEPKT1_S7_PKS1_PKT3_PKT4_S4_PT5_21rocsparse_index_base_b
    .private_segment_fixed_size: 0
    .sgpr_count:     25
    .sgpr_spill_count: 0
    .symbol:         _ZN9rocsparseL21csrmvn_general_kernelILj256ELj16EliaaffEEvbT2_NS_24const_host_device_scalarIT6_EEPKT1_S7_PKS1_PKT3_PKT4_S4_PT5_21rocsparse_index_base_b.kd
    .uniform_work_group_size: 1
    .uses_dynamic_stack: false
    .vgpr_count:     19
    .vgpr_spill_count: 0
    .wavefront_size: 32
  - .args:
      - .offset:         0
        .size:           1
        .value_kind:     by_value
      - .offset:         4
        .size:           4
        .value_kind:     by_value
      - .offset:         8
        .size:           8
        .value_kind:     by_value
      - .address_space:  global
        .offset:         16
        .size:           8
        .value_kind:     global_buffer
      - .address_space:  global
        .offset:         24
        .size:           8
        .value_kind:     global_buffer
      - .actual_access:  read_only
        .address_space:  global
        .offset:         32
        .size:           8
        .value_kind:     global_buffer
      - .actual_access:  read_only
        .address_space:  global
        .offset:         40
        .size:           8
        .value_kind:     global_buffer
      - .actual_access:  read_only
        .address_space:  global
        .offset:         48
        .size:           8
        .value_kind:     global_buffer
      - .offset:         56
        .size:           8
        .value_kind:     by_value
      - .address_space:  global
        .offset:         64
        .size:           8
        .value_kind:     global_buffer
      - .offset:         72
        .size:           4
        .value_kind:     by_value
      - .offset:         76
        .size:           1
        .value_kind:     by_value
      - .offset:         80
        .size:           4
        .value_kind:     hidden_block_count_x
      - .offset:         84
        .size:           4
        .value_kind:     hidden_block_count_y
      - .offset:         88
        .size:           4
        .value_kind:     hidden_block_count_z
      - .offset:         92
        .size:           2
        .value_kind:     hidden_group_size_x
      - .offset:         94
        .size:           2
        .value_kind:     hidden_group_size_y
      - .offset:         96
        .size:           2
        .value_kind:     hidden_group_size_z
      - .offset:         98
        .size:           2
        .value_kind:     hidden_remainder_x
      - .offset:         100
        .size:           2
        .value_kind:     hidden_remainder_y
      - .offset:         102
        .size:           2
        .value_kind:     hidden_remainder_z
      - .offset:         120
        .size:           8
        .value_kind:     hidden_global_offset_x
      - .offset:         128
        .size:           8
        .value_kind:     hidden_global_offset_y
      - .offset:         136
        .size:           8
        .value_kind:     hidden_global_offset_z
      - .offset:         144
        .size:           2
        .value_kind:     hidden_grid_dims
    .group_segment_fixed_size: 0
    .kernarg_segment_align: 8
    .kernarg_segment_size: 336
    .language:       OpenCL C
    .language_version:
      - 2
      - 0
    .max_flat_workgroup_size: 256
    .name:           _ZN9rocsparseL21csrmvn_general_kernelILj256ELj32EliaaffEEvbT2_NS_24const_host_device_scalarIT6_EEPKT1_S7_PKS1_PKT3_PKT4_S4_PT5_21rocsparse_index_base_b
    .private_segment_fixed_size: 0
    .sgpr_count:     25
    .sgpr_spill_count: 0
    .symbol:         _ZN9rocsparseL21csrmvn_general_kernelILj256ELj32EliaaffEEvbT2_NS_24const_host_device_scalarIT6_EEPKT1_S7_PKS1_PKT3_PKT4_S4_PT5_21rocsparse_index_base_b.kd
    .uniform_work_group_size: 1
    .uses_dynamic_stack: false
    .vgpr_count:     20
    .vgpr_spill_count: 0
    .wavefront_size: 32
  - .args:
      - .offset:         0
        .size:           1
        .value_kind:     by_value
      - .offset:         4
        .size:           4
        .value_kind:     by_value
      - .offset:         8
        .size:           8
        .value_kind:     by_value
      - .address_space:  global
        .offset:         16
        .size:           8
        .value_kind:     global_buffer
      - .address_space:  global
        .offset:         24
        .size:           8
        .value_kind:     global_buffer
      - .actual_access:  read_only
        .address_space:  global
        .offset:         32
        .size:           8
        .value_kind:     global_buffer
      - .actual_access:  read_only
        .address_space:  global
        .offset:         40
        .size:           8
        .value_kind:     global_buffer
      - .actual_access:  read_only
        .address_space:  global
        .offset:         48
        .size:           8
        .value_kind:     global_buffer
      - .offset:         56
        .size:           8
        .value_kind:     by_value
      - .address_space:  global
        .offset:         64
        .size:           8
        .value_kind:     global_buffer
      - .offset:         72
        .size:           4
        .value_kind:     by_value
      - .offset:         76
        .size:           1
        .value_kind:     by_value
      - .offset:         80
        .size:           4
        .value_kind:     hidden_block_count_x
      - .offset:         84
        .size:           4
        .value_kind:     hidden_block_count_y
      - .offset:         88
        .size:           4
        .value_kind:     hidden_block_count_z
      - .offset:         92
        .size:           2
        .value_kind:     hidden_group_size_x
      - .offset:         94
        .size:           2
        .value_kind:     hidden_group_size_y
      - .offset:         96
        .size:           2
        .value_kind:     hidden_group_size_z
      - .offset:         98
        .size:           2
        .value_kind:     hidden_remainder_x
      - .offset:         100
        .size:           2
        .value_kind:     hidden_remainder_y
      - .offset:         102
        .size:           2
        .value_kind:     hidden_remainder_z
      - .offset:         120
        .size:           8
        .value_kind:     hidden_global_offset_x
      - .offset:         128
        .size:           8
        .value_kind:     hidden_global_offset_y
      - .offset:         136
        .size:           8
        .value_kind:     hidden_global_offset_z
      - .offset:         144
        .size:           2
        .value_kind:     hidden_grid_dims
    .group_segment_fixed_size: 0
    .kernarg_segment_align: 8
    .kernarg_segment_size: 336
    .language:       OpenCL C
    .language_version:
      - 2
      - 0
    .max_flat_workgroup_size: 256
    .name:           _ZN9rocsparseL21csrmvn_general_kernelILj256ELj64EliaaffEEvbT2_NS_24const_host_device_scalarIT6_EEPKT1_S7_PKS1_PKT3_PKT4_S4_PT5_21rocsparse_index_base_b
    .private_segment_fixed_size: 0
    .sgpr_count:     25
    .sgpr_spill_count: 0
    .symbol:         _ZN9rocsparseL21csrmvn_general_kernelILj256ELj64EliaaffEEvbT2_NS_24const_host_device_scalarIT6_EEPKT1_S7_PKS1_PKT3_PKT4_S4_PT5_21rocsparse_index_base_b.kd
    .uniform_work_group_size: 1
    .uses_dynamic_stack: false
    .vgpr_count:     21
    .vgpr_spill_count: 0
    .wavefront_size: 32
  - .args:
      - .offset:         0
        .size:           1
        .value_kind:     by_value
      - .offset:         1
        .size:           1
        .value_kind:     by_value
      - .offset:         4
        .size:           4
        .value_kind:     by_value
      - .offset:         8
        .size:           8
        .value_kind:     by_value
      - .address_space:  global
        .offset:         16
        .size:           8
        .value_kind:     global_buffer
      - .address_space:  global
        .offset:         24
        .size:           8
        .value_kind:     global_buffer
      - .actual_access:  read_only
        .address_space:  global
        .offset:         32
        .size:           8
        .value_kind:     global_buffer
      - .actual_access:  read_only
        .address_space:  global
        .offset:         40
        .size:           8
        .value_kind:     global_buffer
      - .actual_access:  read_only
        .address_space:  global
        .offset:         48
        .size:           8
        .value_kind:     global_buffer
      - .address_space:  global
        .offset:         56
        .size:           8
        .value_kind:     global_buffer
      - .offset:         64
        .size:           4
        .value_kind:     by_value
      - .offset:         68
        .size:           1
        .value_kind:     by_value
      - .offset:         72
        .size:           4
        .value_kind:     hidden_block_count_x
      - .offset:         76
        .size:           4
        .value_kind:     hidden_block_count_y
      - .offset:         80
        .size:           4
        .value_kind:     hidden_block_count_z
      - .offset:         84
        .size:           2
        .value_kind:     hidden_group_size_x
      - .offset:         86
        .size:           2
        .value_kind:     hidden_group_size_y
      - .offset:         88
        .size:           2
        .value_kind:     hidden_group_size_z
      - .offset:         90
        .size:           2
        .value_kind:     hidden_remainder_x
      - .offset:         92
        .size:           2
        .value_kind:     hidden_remainder_y
      - .offset:         94
        .size:           2
        .value_kind:     hidden_remainder_z
      - .offset:         112
        .size:           8
        .value_kind:     hidden_global_offset_x
      - .offset:         120
        .size:           8
        .value_kind:     hidden_global_offset_y
      - .offset:         128
        .size:           8
        .value_kind:     hidden_global_offset_z
      - .offset:         136
        .size:           2
        .value_kind:     hidden_grid_dims
    .group_segment_fixed_size: 0
    .kernarg_segment_align: 8
    .kernarg_segment_size: 328
    .language:       OpenCL C
    .language_version:
      - 2
      - 0
    .max_flat_workgroup_size: 256
    .name:           _ZN9rocsparseL21csrmvt_general_kernelILj256ELj4EliaaffEEvbbT2_NS_24const_host_device_scalarIT6_EEPKT1_S7_PKS1_PKT3_PKT4_PT5_21rocsparse_index_base_b
    .private_segment_fixed_size: 0
    .sgpr_count:     24
    .sgpr_spill_count: 0
    .symbol:         _ZN9rocsparseL21csrmvt_general_kernelILj256ELj4EliaaffEEvbbT2_NS_24const_host_device_scalarIT6_EEPKT1_S7_PKS1_PKT3_PKT4_PT5_21rocsparse_index_base_b.kd
    .uniform_work_group_size: 1
    .uses_dynamic_stack: false
    .vgpr_count:     16
    .vgpr_spill_count: 0
    .wavefront_size: 32
  - .args:
      - .offset:         0
        .size:           1
        .value_kind:     by_value
      - .offset:         1
        .size:           1
        .value_kind:     by_value
      - .offset:         4
        .size:           4
        .value_kind:     by_value
      - .offset:         8
        .size:           8
        .value_kind:     by_value
      - .address_space:  global
        .offset:         16
        .size:           8
        .value_kind:     global_buffer
      - .address_space:  global
        .offset:         24
        .size:           8
        .value_kind:     global_buffer
      - .actual_access:  read_only
        .address_space:  global
        .offset:         32
        .size:           8
        .value_kind:     global_buffer
      - .actual_access:  read_only
        .address_space:  global
        .offset:         40
        .size:           8
        .value_kind:     global_buffer
      - .actual_access:  read_only
        .address_space:  global
        .offset:         48
        .size:           8
        .value_kind:     global_buffer
      - .address_space:  global
        .offset:         56
        .size:           8
        .value_kind:     global_buffer
      - .offset:         64
        .size:           4
        .value_kind:     by_value
      - .offset:         68
        .size:           1
        .value_kind:     by_value
      - .offset:         72
        .size:           4
        .value_kind:     hidden_block_count_x
      - .offset:         76
        .size:           4
        .value_kind:     hidden_block_count_y
      - .offset:         80
        .size:           4
        .value_kind:     hidden_block_count_z
      - .offset:         84
        .size:           2
        .value_kind:     hidden_group_size_x
      - .offset:         86
        .size:           2
        .value_kind:     hidden_group_size_y
      - .offset:         88
        .size:           2
        .value_kind:     hidden_group_size_z
      - .offset:         90
        .size:           2
        .value_kind:     hidden_remainder_x
      - .offset:         92
        .size:           2
        .value_kind:     hidden_remainder_y
      - .offset:         94
        .size:           2
        .value_kind:     hidden_remainder_z
      - .offset:         112
        .size:           8
        .value_kind:     hidden_global_offset_x
      - .offset:         120
        .size:           8
        .value_kind:     hidden_global_offset_y
      - .offset:         128
        .size:           8
        .value_kind:     hidden_global_offset_z
      - .offset:         136
        .size:           2
        .value_kind:     hidden_grid_dims
    .group_segment_fixed_size: 0
    .kernarg_segment_align: 8
    .kernarg_segment_size: 328
    .language:       OpenCL C
    .language_version:
      - 2
      - 0
    .max_flat_workgroup_size: 256
    .name:           _ZN9rocsparseL21csrmvt_general_kernelILj256ELj8EliaaffEEvbbT2_NS_24const_host_device_scalarIT6_EEPKT1_S7_PKS1_PKT3_PKT4_PT5_21rocsparse_index_base_b
    .private_segment_fixed_size: 0
    .sgpr_count:     24
    .sgpr_spill_count: 0
    .symbol:         _ZN9rocsparseL21csrmvt_general_kernelILj256ELj8EliaaffEEvbbT2_NS_24const_host_device_scalarIT6_EEPKT1_S7_PKS1_PKT3_PKT4_PT5_21rocsparse_index_base_b.kd
    .uniform_work_group_size: 1
    .uses_dynamic_stack: false
    .vgpr_count:     16
    .vgpr_spill_count: 0
    .wavefront_size: 32
  - .args:
      - .offset:         0
        .size:           1
        .value_kind:     by_value
      - .offset:         1
        .size:           1
        .value_kind:     by_value
      - .offset:         4
        .size:           4
        .value_kind:     by_value
      - .offset:         8
        .size:           8
        .value_kind:     by_value
      - .address_space:  global
        .offset:         16
        .size:           8
        .value_kind:     global_buffer
      - .address_space:  global
        .offset:         24
        .size:           8
        .value_kind:     global_buffer
      - .actual_access:  read_only
        .address_space:  global
        .offset:         32
        .size:           8
        .value_kind:     global_buffer
      - .actual_access:  read_only
        .address_space:  global
        .offset:         40
        .size:           8
        .value_kind:     global_buffer
      - .actual_access:  read_only
        .address_space:  global
        .offset:         48
        .size:           8
        .value_kind:     global_buffer
      - .address_space:  global
        .offset:         56
        .size:           8
        .value_kind:     global_buffer
      - .offset:         64
        .size:           4
        .value_kind:     by_value
      - .offset:         68
        .size:           1
        .value_kind:     by_value
      - .offset:         72
        .size:           4
        .value_kind:     hidden_block_count_x
      - .offset:         76
        .size:           4
        .value_kind:     hidden_block_count_y
      - .offset:         80
        .size:           4
        .value_kind:     hidden_block_count_z
      - .offset:         84
        .size:           2
        .value_kind:     hidden_group_size_x
      - .offset:         86
        .size:           2
        .value_kind:     hidden_group_size_y
      - .offset:         88
        .size:           2
        .value_kind:     hidden_group_size_z
      - .offset:         90
        .size:           2
        .value_kind:     hidden_remainder_x
      - .offset:         92
        .size:           2
        .value_kind:     hidden_remainder_y
      - .offset:         94
        .size:           2
        .value_kind:     hidden_remainder_z
      - .offset:         112
        .size:           8
        .value_kind:     hidden_global_offset_x
      - .offset:         120
        .size:           8
        .value_kind:     hidden_global_offset_y
      - .offset:         128
        .size:           8
        .value_kind:     hidden_global_offset_z
      - .offset:         136
        .size:           2
        .value_kind:     hidden_grid_dims
    .group_segment_fixed_size: 0
    .kernarg_segment_align: 8
    .kernarg_segment_size: 328
    .language:       OpenCL C
    .language_version:
      - 2
      - 0
    .max_flat_workgroup_size: 256
    .name:           _ZN9rocsparseL21csrmvt_general_kernelILj256ELj16EliaaffEEvbbT2_NS_24const_host_device_scalarIT6_EEPKT1_S7_PKS1_PKT3_PKT4_PT5_21rocsparse_index_base_b
    .private_segment_fixed_size: 0
    .sgpr_count:     24
    .sgpr_spill_count: 0
    .symbol:         _ZN9rocsparseL21csrmvt_general_kernelILj256ELj16EliaaffEEvbbT2_NS_24const_host_device_scalarIT6_EEPKT1_S7_PKS1_PKT3_PKT4_PT5_21rocsparse_index_base_b.kd
    .uniform_work_group_size: 1
    .uses_dynamic_stack: false
    .vgpr_count:     16
    .vgpr_spill_count: 0
    .wavefront_size: 32
  - .args:
      - .offset:         0
        .size:           1
        .value_kind:     by_value
      - .offset:         1
        .size:           1
        .value_kind:     by_value
      - .offset:         4
        .size:           4
        .value_kind:     by_value
      - .offset:         8
        .size:           8
        .value_kind:     by_value
      - .address_space:  global
        .offset:         16
        .size:           8
        .value_kind:     global_buffer
      - .address_space:  global
        .offset:         24
        .size:           8
        .value_kind:     global_buffer
      - .actual_access:  read_only
        .address_space:  global
        .offset:         32
        .size:           8
        .value_kind:     global_buffer
      - .actual_access:  read_only
        .address_space:  global
        .offset:         40
        .size:           8
        .value_kind:     global_buffer
      - .actual_access:  read_only
        .address_space:  global
        .offset:         48
        .size:           8
        .value_kind:     global_buffer
      - .address_space:  global
        .offset:         56
        .size:           8
        .value_kind:     global_buffer
      - .offset:         64
        .size:           4
        .value_kind:     by_value
      - .offset:         68
        .size:           1
        .value_kind:     by_value
      - .offset:         72
        .size:           4
        .value_kind:     hidden_block_count_x
      - .offset:         76
        .size:           4
        .value_kind:     hidden_block_count_y
      - .offset:         80
        .size:           4
        .value_kind:     hidden_block_count_z
      - .offset:         84
        .size:           2
        .value_kind:     hidden_group_size_x
      - .offset:         86
        .size:           2
        .value_kind:     hidden_group_size_y
      - .offset:         88
        .size:           2
        .value_kind:     hidden_group_size_z
      - .offset:         90
        .size:           2
        .value_kind:     hidden_remainder_x
      - .offset:         92
        .size:           2
        .value_kind:     hidden_remainder_y
      - .offset:         94
        .size:           2
        .value_kind:     hidden_remainder_z
      - .offset:         112
        .size:           8
        .value_kind:     hidden_global_offset_x
      - .offset:         120
        .size:           8
        .value_kind:     hidden_global_offset_y
      - .offset:         128
        .size:           8
        .value_kind:     hidden_global_offset_z
      - .offset:         136
        .size:           2
        .value_kind:     hidden_grid_dims
    .group_segment_fixed_size: 0
    .kernarg_segment_align: 8
    .kernarg_segment_size: 328
    .language:       OpenCL C
    .language_version:
      - 2
      - 0
    .max_flat_workgroup_size: 256
    .name:           _ZN9rocsparseL21csrmvt_general_kernelILj256ELj32EliaaffEEvbbT2_NS_24const_host_device_scalarIT6_EEPKT1_S7_PKS1_PKT3_PKT4_PT5_21rocsparse_index_base_b
    .private_segment_fixed_size: 0
    .sgpr_count:     24
    .sgpr_spill_count: 0
    .symbol:         _ZN9rocsparseL21csrmvt_general_kernelILj256ELj32EliaaffEEvbbT2_NS_24const_host_device_scalarIT6_EEPKT1_S7_PKS1_PKT3_PKT4_PT5_21rocsparse_index_base_b.kd
    .uniform_work_group_size: 1
    .uses_dynamic_stack: false
    .vgpr_count:     16
    .vgpr_spill_count: 0
    .wavefront_size: 32
  - .args:
      - .offset:         0
        .size:           1
        .value_kind:     by_value
      - .offset:         1
        .size:           1
        .value_kind:     by_value
      - .offset:         4
        .size:           4
        .value_kind:     by_value
      - .offset:         8
        .size:           8
        .value_kind:     by_value
      - .address_space:  global
        .offset:         16
        .size:           8
        .value_kind:     global_buffer
      - .address_space:  global
        .offset:         24
        .size:           8
        .value_kind:     global_buffer
      - .actual_access:  read_only
        .address_space:  global
        .offset:         32
        .size:           8
        .value_kind:     global_buffer
      - .actual_access:  read_only
        .address_space:  global
        .offset:         40
        .size:           8
        .value_kind:     global_buffer
      - .actual_access:  read_only
        .address_space:  global
        .offset:         48
        .size:           8
        .value_kind:     global_buffer
      - .address_space:  global
        .offset:         56
        .size:           8
        .value_kind:     global_buffer
      - .offset:         64
        .size:           4
        .value_kind:     by_value
      - .offset:         68
        .size:           1
        .value_kind:     by_value
      - .offset:         72
        .size:           4
        .value_kind:     hidden_block_count_x
      - .offset:         76
        .size:           4
        .value_kind:     hidden_block_count_y
      - .offset:         80
        .size:           4
        .value_kind:     hidden_block_count_z
      - .offset:         84
        .size:           2
        .value_kind:     hidden_group_size_x
      - .offset:         86
        .size:           2
        .value_kind:     hidden_group_size_y
      - .offset:         88
        .size:           2
        .value_kind:     hidden_group_size_z
      - .offset:         90
        .size:           2
        .value_kind:     hidden_remainder_x
      - .offset:         92
        .size:           2
        .value_kind:     hidden_remainder_y
      - .offset:         94
        .size:           2
        .value_kind:     hidden_remainder_z
      - .offset:         112
        .size:           8
        .value_kind:     hidden_global_offset_x
      - .offset:         120
        .size:           8
        .value_kind:     hidden_global_offset_y
      - .offset:         128
        .size:           8
        .value_kind:     hidden_global_offset_z
      - .offset:         136
        .size:           2
        .value_kind:     hidden_grid_dims
    .group_segment_fixed_size: 0
    .kernarg_segment_align: 8
    .kernarg_segment_size: 328
    .language:       OpenCL C
    .language_version:
      - 2
      - 0
    .max_flat_workgroup_size: 256
    .name:           _ZN9rocsparseL21csrmvt_general_kernelILj256ELj64EliaaffEEvbbT2_NS_24const_host_device_scalarIT6_EEPKT1_S7_PKS1_PKT3_PKT4_PT5_21rocsparse_index_base_b
    .private_segment_fixed_size: 0
    .sgpr_count:     24
    .sgpr_spill_count: 0
    .symbol:         _ZN9rocsparseL21csrmvt_general_kernelILj256ELj64EliaaffEEvbbT2_NS_24const_host_device_scalarIT6_EEPKT1_S7_PKS1_PKT3_PKT4_PT5_21rocsparse_index_base_b.kd
    .uniform_work_group_size: 1
    .uses_dynamic_stack: false
    .vgpr_count:     16
    .vgpr_spill_count: 0
    .wavefront_size: 32
  - .args:
      - .offset:         0
        .size:           1
        .value_kind:     by_value
      - .offset:         8
        .size:           8
        .value_kind:     by_value
      - .offset:         16
        .size:           8
        .value_kind:     by_value
      - .address_space:  global
        .offset:         24
        .size:           8
        .value_kind:     global_buffer
      - .address_space:  global
        .offset:         32
        .size:           8
        .value_kind:     global_buffer
      - .actual_access:  read_only
        .address_space:  global
        .offset:         40
        .size:           8
        .value_kind:     global_buffer
      - .actual_access:  read_only
        .address_space:  global
        .offset:         48
        .size:           8
        .value_kind:     global_buffer
      - .actual_access:  read_only
        .address_space:  global
        .offset:         56
        .size:           8
        .value_kind:     global_buffer
      - .offset:         64
        .size:           8
        .value_kind:     by_value
      - .address_space:  global
        .offset:         72
        .size:           8
        .value_kind:     global_buffer
      - .offset:         80
        .size:           4
        .value_kind:     by_value
      - .offset:         84
        .size:           1
        .value_kind:     by_value
      - .offset:         88
        .size:           4
        .value_kind:     hidden_block_count_x
      - .offset:         92
        .size:           4
        .value_kind:     hidden_block_count_y
      - .offset:         96
        .size:           4
        .value_kind:     hidden_block_count_z
      - .offset:         100
        .size:           2
        .value_kind:     hidden_group_size_x
      - .offset:         102
        .size:           2
        .value_kind:     hidden_group_size_y
      - .offset:         104
        .size:           2
        .value_kind:     hidden_group_size_z
      - .offset:         106
        .size:           2
        .value_kind:     hidden_remainder_x
      - .offset:         108
        .size:           2
        .value_kind:     hidden_remainder_y
      - .offset:         110
        .size:           2
        .value_kind:     hidden_remainder_z
      - .offset:         128
        .size:           8
        .value_kind:     hidden_global_offset_x
      - .offset:         136
        .size:           8
        .value_kind:     hidden_global_offset_y
      - .offset:         144
        .size:           8
        .value_kind:     hidden_global_offset_z
      - .offset:         152
        .size:           2
        .value_kind:     hidden_grid_dims
    .group_segment_fixed_size: 0
    .kernarg_segment_align: 8
    .kernarg_segment_size: 344
    .language:       OpenCL C
    .language_version:
      - 2
      - 0
    .max_flat_workgroup_size: 256
    .name:           _ZN9rocsparseL21csrmvn_general_kernelILj256ELj2EllaaffEEvbT2_NS_24const_host_device_scalarIT6_EEPKT1_S7_PKS1_PKT3_PKT4_S4_PT5_21rocsparse_index_base_b
    .private_segment_fixed_size: 0
    .sgpr_count:     28
    .sgpr_spill_count: 0
    .symbol:         _ZN9rocsparseL21csrmvn_general_kernelILj256ELj2EllaaffEEvbT2_NS_24const_host_device_scalarIT6_EEPKT1_S7_PKS1_PKT3_PKT4_S4_PT5_21rocsparse_index_base_b.kd
    .uniform_work_group_size: 1
    .uses_dynamic_stack: false
    .vgpr_count:     18
    .vgpr_spill_count: 0
    .wavefront_size: 32
  - .args:
      - .offset:         0
        .size:           1
        .value_kind:     by_value
      - .offset:         8
        .size:           8
        .value_kind:     by_value
      - .offset:         16
        .size:           8
        .value_kind:     by_value
      - .address_space:  global
        .offset:         24
        .size:           8
        .value_kind:     global_buffer
      - .address_space:  global
        .offset:         32
        .size:           8
        .value_kind:     global_buffer
      - .actual_access:  read_only
        .address_space:  global
        .offset:         40
        .size:           8
        .value_kind:     global_buffer
      - .actual_access:  read_only
        .address_space:  global
        .offset:         48
        .size:           8
        .value_kind:     global_buffer
      - .actual_access:  read_only
        .address_space:  global
        .offset:         56
        .size:           8
        .value_kind:     global_buffer
      - .offset:         64
        .size:           8
        .value_kind:     by_value
      - .address_space:  global
        .offset:         72
        .size:           8
        .value_kind:     global_buffer
      - .offset:         80
        .size:           4
        .value_kind:     by_value
      - .offset:         84
        .size:           1
        .value_kind:     by_value
      - .offset:         88
        .size:           4
        .value_kind:     hidden_block_count_x
      - .offset:         92
        .size:           4
        .value_kind:     hidden_block_count_y
      - .offset:         96
        .size:           4
        .value_kind:     hidden_block_count_z
      - .offset:         100
        .size:           2
        .value_kind:     hidden_group_size_x
      - .offset:         102
        .size:           2
        .value_kind:     hidden_group_size_y
      - .offset:         104
        .size:           2
        .value_kind:     hidden_group_size_z
      - .offset:         106
        .size:           2
        .value_kind:     hidden_remainder_x
      - .offset:         108
        .size:           2
        .value_kind:     hidden_remainder_y
      - .offset:         110
        .size:           2
        .value_kind:     hidden_remainder_z
      - .offset:         128
        .size:           8
        .value_kind:     hidden_global_offset_x
      - .offset:         136
        .size:           8
        .value_kind:     hidden_global_offset_y
      - .offset:         144
        .size:           8
        .value_kind:     hidden_global_offset_z
      - .offset:         152
        .size:           2
        .value_kind:     hidden_grid_dims
    .group_segment_fixed_size: 0
    .kernarg_segment_align: 8
    .kernarg_segment_size: 344
    .language:       OpenCL C
    .language_version:
      - 2
      - 0
    .max_flat_workgroup_size: 256
    .name:           _ZN9rocsparseL21csrmvn_general_kernelILj256ELj4EllaaffEEvbT2_NS_24const_host_device_scalarIT6_EEPKT1_S7_PKS1_PKT3_PKT4_S4_PT5_21rocsparse_index_base_b
    .private_segment_fixed_size: 0
    .sgpr_count:     28
    .sgpr_spill_count: 0
    .symbol:         _ZN9rocsparseL21csrmvn_general_kernelILj256ELj4EllaaffEEvbT2_NS_24const_host_device_scalarIT6_EEPKT1_S7_PKS1_PKT3_PKT4_S4_PT5_21rocsparse_index_base_b.kd
    .uniform_work_group_size: 1
    .uses_dynamic_stack: false
    .vgpr_count:     19
    .vgpr_spill_count: 0
    .wavefront_size: 32
  - .args:
      - .offset:         0
        .size:           1
        .value_kind:     by_value
      - .offset:         8
        .size:           8
        .value_kind:     by_value
      - .offset:         16
        .size:           8
        .value_kind:     by_value
      - .address_space:  global
        .offset:         24
        .size:           8
        .value_kind:     global_buffer
      - .address_space:  global
        .offset:         32
        .size:           8
        .value_kind:     global_buffer
      - .actual_access:  read_only
        .address_space:  global
        .offset:         40
        .size:           8
        .value_kind:     global_buffer
      - .actual_access:  read_only
        .address_space:  global
        .offset:         48
        .size:           8
        .value_kind:     global_buffer
      - .actual_access:  read_only
        .address_space:  global
        .offset:         56
        .size:           8
        .value_kind:     global_buffer
      - .offset:         64
        .size:           8
        .value_kind:     by_value
      - .address_space:  global
        .offset:         72
        .size:           8
        .value_kind:     global_buffer
      - .offset:         80
        .size:           4
        .value_kind:     by_value
      - .offset:         84
        .size:           1
        .value_kind:     by_value
      - .offset:         88
        .size:           4
        .value_kind:     hidden_block_count_x
      - .offset:         92
        .size:           4
        .value_kind:     hidden_block_count_y
      - .offset:         96
        .size:           4
        .value_kind:     hidden_block_count_z
      - .offset:         100
        .size:           2
        .value_kind:     hidden_group_size_x
      - .offset:         102
        .size:           2
        .value_kind:     hidden_group_size_y
      - .offset:         104
        .size:           2
        .value_kind:     hidden_group_size_z
      - .offset:         106
        .size:           2
        .value_kind:     hidden_remainder_x
      - .offset:         108
        .size:           2
        .value_kind:     hidden_remainder_y
      - .offset:         110
        .size:           2
        .value_kind:     hidden_remainder_z
      - .offset:         128
        .size:           8
        .value_kind:     hidden_global_offset_x
      - .offset:         136
        .size:           8
        .value_kind:     hidden_global_offset_y
      - .offset:         144
        .size:           8
        .value_kind:     hidden_global_offset_z
      - .offset:         152
        .size:           2
        .value_kind:     hidden_grid_dims
    .group_segment_fixed_size: 0
    .kernarg_segment_align: 8
    .kernarg_segment_size: 344
    .language:       OpenCL C
    .language_version:
      - 2
      - 0
    .max_flat_workgroup_size: 256
    .name:           _ZN9rocsparseL21csrmvn_general_kernelILj256ELj8EllaaffEEvbT2_NS_24const_host_device_scalarIT6_EEPKT1_S7_PKS1_PKT3_PKT4_S4_PT5_21rocsparse_index_base_b
    .private_segment_fixed_size: 0
    .sgpr_count:     28
    .sgpr_spill_count: 0
    .symbol:         _ZN9rocsparseL21csrmvn_general_kernelILj256ELj8EllaaffEEvbT2_NS_24const_host_device_scalarIT6_EEPKT1_S7_PKS1_PKT3_PKT4_S4_PT5_21rocsparse_index_base_b.kd
    .uniform_work_group_size: 1
    .uses_dynamic_stack: false
    .vgpr_count:     20
    .vgpr_spill_count: 0
    .wavefront_size: 32
  - .args:
      - .offset:         0
        .size:           1
        .value_kind:     by_value
      - .offset:         8
        .size:           8
        .value_kind:     by_value
      - .offset:         16
        .size:           8
        .value_kind:     by_value
      - .address_space:  global
        .offset:         24
        .size:           8
        .value_kind:     global_buffer
      - .address_space:  global
        .offset:         32
        .size:           8
        .value_kind:     global_buffer
      - .actual_access:  read_only
        .address_space:  global
        .offset:         40
        .size:           8
        .value_kind:     global_buffer
      - .actual_access:  read_only
        .address_space:  global
        .offset:         48
        .size:           8
        .value_kind:     global_buffer
      - .actual_access:  read_only
        .address_space:  global
        .offset:         56
        .size:           8
        .value_kind:     global_buffer
      - .offset:         64
        .size:           8
        .value_kind:     by_value
      - .address_space:  global
        .offset:         72
        .size:           8
        .value_kind:     global_buffer
      - .offset:         80
        .size:           4
        .value_kind:     by_value
      - .offset:         84
        .size:           1
        .value_kind:     by_value
      - .offset:         88
        .size:           4
        .value_kind:     hidden_block_count_x
      - .offset:         92
        .size:           4
        .value_kind:     hidden_block_count_y
      - .offset:         96
        .size:           4
        .value_kind:     hidden_block_count_z
      - .offset:         100
        .size:           2
        .value_kind:     hidden_group_size_x
      - .offset:         102
        .size:           2
        .value_kind:     hidden_group_size_y
      - .offset:         104
        .size:           2
        .value_kind:     hidden_group_size_z
      - .offset:         106
        .size:           2
        .value_kind:     hidden_remainder_x
      - .offset:         108
        .size:           2
        .value_kind:     hidden_remainder_y
      - .offset:         110
        .size:           2
        .value_kind:     hidden_remainder_z
      - .offset:         128
        .size:           8
        .value_kind:     hidden_global_offset_x
      - .offset:         136
        .size:           8
        .value_kind:     hidden_global_offset_y
      - .offset:         144
        .size:           8
        .value_kind:     hidden_global_offset_z
      - .offset:         152
        .size:           2
        .value_kind:     hidden_grid_dims
    .group_segment_fixed_size: 0
    .kernarg_segment_align: 8
    .kernarg_segment_size: 344
    .language:       OpenCL C
    .language_version:
      - 2
      - 0
    .max_flat_workgroup_size: 256
    .name:           _ZN9rocsparseL21csrmvn_general_kernelILj256ELj16EllaaffEEvbT2_NS_24const_host_device_scalarIT6_EEPKT1_S7_PKS1_PKT3_PKT4_S4_PT5_21rocsparse_index_base_b
    .private_segment_fixed_size: 0
    .sgpr_count:     28
    .sgpr_spill_count: 0
    .symbol:         _ZN9rocsparseL21csrmvn_general_kernelILj256ELj16EllaaffEEvbT2_NS_24const_host_device_scalarIT6_EEPKT1_S7_PKS1_PKT3_PKT4_S4_PT5_21rocsparse_index_base_b.kd
    .uniform_work_group_size: 1
    .uses_dynamic_stack: false
    .vgpr_count:     21
    .vgpr_spill_count: 0
    .wavefront_size: 32
  - .args:
      - .offset:         0
        .size:           1
        .value_kind:     by_value
      - .offset:         8
        .size:           8
        .value_kind:     by_value
      - .offset:         16
        .size:           8
        .value_kind:     by_value
      - .address_space:  global
        .offset:         24
        .size:           8
        .value_kind:     global_buffer
      - .address_space:  global
        .offset:         32
        .size:           8
        .value_kind:     global_buffer
      - .actual_access:  read_only
        .address_space:  global
        .offset:         40
        .size:           8
        .value_kind:     global_buffer
      - .actual_access:  read_only
        .address_space:  global
        .offset:         48
        .size:           8
        .value_kind:     global_buffer
      - .actual_access:  read_only
        .address_space:  global
        .offset:         56
        .size:           8
        .value_kind:     global_buffer
      - .offset:         64
        .size:           8
        .value_kind:     by_value
      - .address_space:  global
        .offset:         72
        .size:           8
        .value_kind:     global_buffer
      - .offset:         80
        .size:           4
        .value_kind:     by_value
      - .offset:         84
        .size:           1
        .value_kind:     by_value
      - .offset:         88
        .size:           4
        .value_kind:     hidden_block_count_x
      - .offset:         92
        .size:           4
        .value_kind:     hidden_block_count_y
      - .offset:         96
        .size:           4
        .value_kind:     hidden_block_count_z
      - .offset:         100
        .size:           2
        .value_kind:     hidden_group_size_x
      - .offset:         102
        .size:           2
        .value_kind:     hidden_group_size_y
      - .offset:         104
        .size:           2
        .value_kind:     hidden_group_size_z
      - .offset:         106
        .size:           2
        .value_kind:     hidden_remainder_x
      - .offset:         108
        .size:           2
        .value_kind:     hidden_remainder_y
      - .offset:         110
        .size:           2
        .value_kind:     hidden_remainder_z
      - .offset:         128
        .size:           8
        .value_kind:     hidden_global_offset_x
      - .offset:         136
        .size:           8
        .value_kind:     hidden_global_offset_y
      - .offset:         144
        .size:           8
        .value_kind:     hidden_global_offset_z
      - .offset:         152
        .size:           2
        .value_kind:     hidden_grid_dims
    .group_segment_fixed_size: 0
    .kernarg_segment_align: 8
    .kernarg_segment_size: 344
    .language:       OpenCL C
    .language_version:
      - 2
      - 0
    .max_flat_workgroup_size: 256
    .name:           _ZN9rocsparseL21csrmvn_general_kernelILj256ELj32EllaaffEEvbT2_NS_24const_host_device_scalarIT6_EEPKT1_S7_PKS1_PKT3_PKT4_S4_PT5_21rocsparse_index_base_b
    .private_segment_fixed_size: 0
    .sgpr_count:     28
    .sgpr_spill_count: 0
    .symbol:         _ZN9rocsparseL21csrmvn_general_kernelILj256ELj32EllaaffEEvbT2_NS_24const_host_device_scalarIT6_EEPKT1_S7_PKS1_PKT3_PKT4_S4_PT5_21rocsparse_index_base_b.kd
    .uniform_work_group_size: 1
    .uses_dynamic_stack: false
    .vgpr_count:     22
    .vgpr_spill_count: 0
    .wavefront_size: 32
  - .args:
      - .offset:         0
        .size:           1
        .value_kind:     by_value
      - .offset:         8
        .size:           8
        .value_kind:     by_value
      - .offset:         16
        .size:           8
        .value_kind:     by_value
      - .address_space:  global
        .offset:         24
        .size:           8
        .value_kind:     global_buffer
      - .address_space:  global
        .offset:         32
        .size:           8
        .value_kind:     global_buffer
      - .actual_access:  read_only
        .address_space:  global
        .offset:         40
        .size:           8
        .value_kind:     global_buffer
      - .actual_access:  read_only
        .address_space:  global
        .offset:         48
        .size:           8
        .value_kind:     global_buffer
      - .actual_access:  read_only
        .address_space:  global
        .offset:         56
        .size:           8
        .value_kind:     global_buffer
      - .offset:         64
        .size:           8
        .value_kind:     by_value
      - .address_space:  global
        .offset:         72
        .size:           8
        .value_kind:     global_buffer
      - .offset:         80
        .size:           4
        .value_kind:     by_value
      - .offset:         84
        .size:           1
        .value_kind:     by_value
      - .offset:         88
        .size:           4
        .value_kind:     hidden_block_count_x
      - .offset:         92
        .size:           4
        .value_kind:     hidden_block_count_y
      - .offset:         96
        .size:           4
        .value_kind:     hidden_block_count_z
      - .offset:         100
        .size:           2
        .value_kind:     hidden_group_size_x
      - .offset:         102
        .size:           2
        .value_kind:     hidden_group_size_y
      - .offset:         104
        .size:           2
        .value_kind:     hidden_group_size_z
      - .offset:         106
        .size:           2
        .value_kind:     hidden_remainder_x
      - .offset:         108
        .size:           2
        .value_kind:     hidden_remainder_y
      - .offset:         110
        .size:           2
        .value_kind:     hidden_remainder_z
      - .offset:         128
        .size:           8
        .value_kind:     hidden_global_offset_x
      - .offset:         136
        .size:           8
        .value_kind:     hidden_global_offset_y
      - .offset:         144
        .size:           8
        .value_kind:     hidden_global_offset_z
      - .offset:         152
        .size:           2
        .value_kind:     hidden_grid_dims
    .group_segment_fixed_size: 0
    .kernarg_segment_align: 8
    .kernarg_segment_size: 344
    .language:       OpenCL C
    .language_version:
      - 2
      - 0
    .max_flat_workgroup_size: 256
    .name:           _ZN9rocsparseL21csrmvn_general_kernelILj256ELj64EllaaffEEvbT2_NS_24const_host_device_scalarIT6_EEPKT1_S7_PKS1_PKT3_PKT4_S4_PT5_21rocsparse_index_base_b
    .private_segment_fixed_size: 0
    .sgpr_count:     28
    .sgpr_spill_count: 0
    .symbol:         _ZN9rocsparseL21csrmvn_general_kernelILj256ELj64EllaaffEEvbT2_NS_24const_host_device_scalarIT6_EEPKT1_S7_PKS1_PKT3_PKT4_S4_PT5_21rocsparse_index_base_b.kd
    .uniform_work_group_size: 1
    .uses_dynamic_stack: false
    .vgpr_count:     23
    .vgpr_spill_count: 0
    .wavefront_size: 32
  - .args:
      - .offset:         0
        .size:           1
        .value_kind:     by_value
      - .offset:         1
        .size:           1
        .value_kind:     by_value
      - .offset:         8
        .size:           8
        .value_kind:     by_value
      - .offset:         16
        .size:           8
        .value_kind:     by_value
      - .address_space:  global
        .offset:         24
        .size:           8
        .value_kind:     global_buffer
      - .address_space:  global
        .offset:         32
        .size:           8
        .value_kind:     global_buffer
      - .actual_access:  read_only
        .address_space:  global
        .offset:         40
        .size:           8
        .value_kind:     global_buffer
      - .actual_access:  read_only
        .address_space:  global
        .offset:         48
        .size:           8
        .value_kind:     global_buffer
      - .actual_access:  read_only
        .address_space:  global
        .offset:         56
        .size:           8
        .value_kind:     global_buffer
      - .address_space:  global
        .offset:         64
        .size:           8
        .value_kind:     global_buffer
      - .offset:         72
        .size:           4
        .value_kind:     by_value
      - .offset:         76
        .size:           1
        .value_kind:     by_value
      - .offset:         80
        .size:           4
        .value_kind:     hidden_block_count_x
      - .offset:         84
        .size:           4
        .value_kind:     hidden_block_count_y
      - .offset:         88
        .size:           4
        .value_kind:     hidden_block_count_z
      - .offset:         92
        .size:           2
        .value_kind:     hidden_group_size_x
      - .offset:         94
        .size:           2
        .value_kind:     hidden_group_size_y
      - .offset:         96
        .size:           2
        .value_kind:     hidden_group_size_z
      - .offset:         98
        .size:           2
        .value_kind:     hidden_remainder_x
      - .offset:         100
        .size:           2
        .value_kind:     hidden_remainder_y
      - .offset:         102
        .size:           2
        .value_kind:     hidden_remainder_z
      - .offset:         120
        .size:           8
        .value_kind:     hidden_global_offset_x
      - .offset:         128
        .size:           8
        .value_kind:     hidden_global_offset_y
      - .offset:         136
        .size:           8
        .value_kind:     hidden_global_offset_z
      - .offset:         144
        .size:           2
        .value_kind:     hidden_grid_dims
    .group_segment_fixed_size: 0
    .kernarg_segment_align: 8
    .kernarg_segment_size: 336
    .language:       OpenCL C
    .language_version:
      - 2
      - 0
    .max_flat_workgroup_size: 256
    .name:           _ZN9rocsparseL21csrmvt_general_kernelILj256ELj4EllaaffEEvbbT2_NS_24const_host_device_scalarIT6_EEPKT1_S7_PKS1_PKT3_PKT4_PT5_21rocsparse_index_base_b
    .private_segment_fixed_size: 0
    .sgpr_count:     26
    .sgpr_spill_count: 0
    .symbol:         _ZN9rocsparseL21csrmvt_general_kernelILj256ELj4EllaaffEEvbbT2_NS_24const_host_device_scalarIT6_EEPKT1_S7_PKS1_PKT3_PKT4_PT5_21rocsparse_index_base_b.kd
    .uniform_work_group_size: 1
    .uses_dynamic_stack: false
    .vgpr_count:     19
    .vgpr_spill_count: 0
    .wavefront_size: 32
  - .args:
      - .offset:         0
        .size:           1
        .value_kind:     by_value
      - .offset:         1
        .size:           1
        .value_kind:     by_value
      - .offset:         8
        .size:           8
        .value_kind:     by_value
      - .offset:         16
        .size:           8
        .value_kind:     by_value
      - .address_space:  global
        .offset:         24
        .size:           8
        .value_kind:     global_buffer
      - .address_space:  global
        .offset:         32
        .size:           8
        .value_kind:     global_buffer
      - .actual_access:  read_only
        .address_space:  global
        .offset:         40
        .size:           8
        .value_kind:     global_buffer
      - .actual_access:  read_only
        .address_space:  global
        .offset:         48
        .size:           8
        .value_kind:     global_buffer
      - .actual_access:  read_only
        .address_space:  global
        .offset:         56
        .size:           8
        .value_kind:     global_buffer
      - .address_space:  global
        .offset:         64
        .size:           8
        .value_kind:     global_buffer
      - .offset:         72
        .size:           4
        .value_kind:     by_value
      - .offset:         76
        .size:           1
        .value_kind:     by_value
      - .offset:         80
        .size:           4
        .value_kind:     hidden_block_count_x
      - .offset:         84
        .size:           4
        .value_kind:     hidden_block_count_y
      - .offset:         88
        .size:           4
        .value_kind:     hidden_block_count_z
      - .offset:         92
        .size:           2
        .value_kind:     hidden_group_size_x
      - .offset:         94
        .size:           2
        .value_kind:     hidden_group_size_y
      - .offset:         96
        .size:           2
        .value_kind:     hidden_group_size_z
      - .offset:         98
        .size:           2
        .value_kind:     hidden_remainder_x
      - .offset:         100
        .size:           2
        .value_kind:     hidden_remainder_y
      - .offset:         102
        .size:           2
        .value_kind:     hidden_remainder_z
      - .offset:         120
        .size:           8
        .value_kind:     hidden_global_offset_x
      - .offset:         128
        .size:           8
        .value_kind:     hidden_global_offset_y
      - .offset:         136
        .size:           8
        .value_kind:     hidden_global_offset_z
      - .offset:         144
        .size:           2
        .value_kind:     hidden_grid_dims
    .group_segment_fixed_size: 0
    .kernarg_segment_align: 8
    .kernarg_segment_size: 336
    .language:       OpenCL C
    .language_version:
      - 2
      - 0
    .max_flat_workgroup_size: 256
    .name:           _ZN9rocsparseL21csrmvt_general_kernelILj256ELj8EllaaffEEvbbT2_NS_24const_host_device_scalarIT6_EEPKT1_S7_PKS1_PKT3_PKT4_PT5_21rocsparse_index_base_b
    .private_segment_fixed_size: 0
    .sgpr_count:     26
    .sgpr_spill_count: 0
    .symbol:         _ZN9rocsparseL21csrmvt_general_kernelILj256ELj8EllaaffEEvbbT2_NS_24const_host_device_scalarIT6_EEPKT1_S7_PKS1_PKT3_PKT4_PT5_21rocsparse_index_base_b.kd
    .uniform_work_group_size: 1
    .uses_dynamic_stack: false
    .vgpr_count:     19
    .vgpr_spill_count: 0
    .wavefront_size: 32
  - .args:
      - .offset:         0
        .size:           1
        .value_kind:     by_value
      - .offset:         1
        .size:           1
        .value_kind:     by_value
      - .offset:         8
        .size:           8
        .value_kind:     by_value
      - .offset:         16
        .size:           8
        .value_kind:     by_value
      - .address_space:  global
        .offset:         24
        .size:           8
        .value_kind:     global_buffer
      - .address_space:  global
        .offset:         32
        .size:           8
        .value_kind:     global_buffer
      - .actual_access:  read_only
        .address_space:  global
        .offset:         40
        .size:           8
        .value_kind:     global_buffer
      - .actual_access:  read_only
        .address_space:  global
        .offset:         48
        .size:           8
        .value_kind:     global_buffer
      - .actual_access:  read_only
        .address_space:  global
        .offset:         56
        .size:           8
        .value_kind:     global_buffer
      - .address_space:  global
        .offset:         64
        .size:           8
        .value_kind:     global_buffer
      - .offset:         72
        .size:           4
        .value_kind:     by_value
      - .offset:         76
        .size:           1
        .value_kind:     by_value
      - .offset:         80
        .size:           4
        .value_kind:     hidden_block_count_x
      - .offset:         84
        .size:           4
        .value_kind:     hidden_block_count_y
      - .offset:         88
        .size:           4
        .value_kind:     hidden_block_count_z
      - .offset:         92
        .size:           2
        .value_kind:     hidden_group_size_x
      - .offset:         94
        .size:           2
        .value_kind:     hidden_group_size_y
      - .offset:         96
        .size:           2
        .value_kind:     hidden_group_size_z
      - .offset:         98
        .size:           2
        .value_kind:     hidden_remainder_x
      - .offset:         100
        .size:           2
        .value_kind:     hidden_remainder_y
      - .offset:         102
        .size:           2
        .value_kind:     hidden_remainder_z
      - .offset:         120
        .size:           8
        .value_kind:     hidden_global_offset_x
      - .offset:         128
        .size:           8
        .value_kind:     hidden_global_offset_y
      - .offset:         136
        .size:           8
        .value_kind:     hidden_global_offset_z
      - .offset:         144
        .size:           2
        .value_kind:     hidden_grid_dims
    .group_segment_fixed_size: 0
    .kernarg_segment_align: 8
    .kernarg_segment_size: 336
    .language:       OpenCL C
    .language_version:
      - 2
      - 0
    .max_flat_workgroup_size: 256
    .name:           _ZN9rocsparseL21csrmvt_general_kernelILj256ELj16EllaaffEEvbbT2_NS_24const_host_device_scalarIT6_EEPKT1_S7_PKS1_PKT3_PKT4_PT5_21rocsparse_index_base_b
    .private_segment_fixed_size: 0
    .sgpr_count:     26
    .sgpr_spill_count: 0
    .symbol:         _ZN9rocsparseL21csrmvt_general_kernelILj256ELj16EllaaffEEvbbT2_NS_24const_host_device_scalarIT6_EEPKT1_S7_PKS1_PKT3_PKT4_PT5_21rocsparse_index_base_b.kd
    .uniform_work_group_size: 1
    .uses_dynamic_stack: false
    .vgpr_count:     19
    .vgpr_spill_count: 0
    .wavefront_size: 32
  - .args:
      - .offset:         0
        .size:           1
        .value_kind:     by_value
      - .offset:         1
        .size:           1
        .value_kind:     by_value
      - .offset:         8
        .size:           8
        .value_kind:     by_value
      - .offset:         16
        .size:           8
        .value_kind:     by_value
      - .address_space:  global
        .offset:         24
        .size:           8
        .value_kind:     global_buffer
      - .address_space:  global
        .offset:         32
        .size:           8
        .value_kind:     global_buffer
      - .actual_access:  read_only
        .address_space:  global
        .offset:         40
        .size:           8
        .value_kind:     global_buffer
      - .actual_access:  read_only
        .address_space:  global
        .offset:         48
        .size:           8
        .value_kind:     global_buffer
      - .actual_access:  read_only
        .address_space:  global
        .offset:         56
        .size:           8
        .value_kind:     global_buffer
      - .address_space:  global
        .offset:         64
        .size:           8
        .value_kind:     global_buffer
      - .offset:         72
        .size:           4
        .value_kind:     by_value
      - .offset:         76
        .size:           1
        .value_kind:     by_value
      - .offset:         80
        .size:           4
        .value_kind:     hidden_block_count_x
      - .offset:         84
        .size:           4
        .value_kind:     hidden_block_count_y
      - .offset:         88
        .size:           4
        .value_kind:     hidden_block_count_z
      - .offset:         92
        .size:           2
        .value_kind:     hidden_group_size_x
      - .offset:         94
        .size:           2
        .value_kind:     hidden_group_size_y
      - .offset:         96
        .size:           2
        .value_kind:     hidden_group_size_z
      - .offset:         98
        .size:           2
        .value_kind:     hidden_remainder_x
      - .offset:         100
        .size:           2
        .value_kind:     hidden_remainder_y
      - .offset:         102
        .size:           2
        .value_kind:     hidden_remainder_z
      - .offset:         120
        .size:           8
        .value_kind:     hidden_global_offset_x
      - .offset:         128
        .size:           8
        .value_kind:     hidden_global_offset_y
      - .offset:         136
        .size:           8
        .value_kind:     hidden_global_offset_z
      - .offset:         144
        .size:           2
        .value_kind:     hidden_grid_dims
    .group_segment_fixed_size: 0
    .kernarg_segment_align: 8
    .kernarg_segment_size: 336
    .language:       OpenCL C
    .language_version:
      - 2
      - 0
    .max_flat_workgroup_size: 256
    .name:           _ZN9rocsparseL21csrmvt_general_kernelILj256ELj32EllaaffEEvbbT2_NS_24const_host_device_scalarIT6_EEPKT1_S7_PKS1_PKT3_PKT4_PT5_21rocsparse_index_base_b
    .private_segment_fixed_size: 0
    .sgpr_count:     26
    .sgpr_spill_count: 0
    .symbol:         _ZN9rocsparseL21csrmvt_general_kernelILj256ELj32EllaaffEEvbbT2_NS_24const_host_device_scalarIT6_EEPKT1_S7_PKS1_PKT3_PKT4_PT5_21rocsparse_index_base_b.kd
    .uniform_work_group_size: 1
    .uses_dynamic_stack: false
    .vgpr_count:     19
    .vgpr_spill_count: 0
    .wavefront_size: 32
  - .args:
      - .offset:         0
        .size:           1
        .value_kind:     by_value
      - .offset:         1
        .size:           1
        .value_kind:     by_value
      - .offset:         8
        .size:           8
        .value_kind:     by_value
      - .offset:         16
        .size:           8
        .value_kind:     by_value
      - .address_space:  global
        .offset:         24
        .size:           8
        .value_kind:     global_buffer
      - .address_space:  global
        .offset:         32
        .size:           8
        .value_kind:     global_buffer
      - .actual_access:  read_only
        .address_space:  global
        .offset:         40
        .size:           8
        .value_kind:     global_buffer
      - .actual_access:  read_only
        .address_space:  global
        .offset:         48
        .size:           8
        .value_kind:     global_buffer
      - .actual_access:  read_only
        .address_space:  global
        .offset:         56
        .size:           8
        .value_kind:     global_buffer
      - .address_space:  global
        .offset:         64
        .size:           8
        .value_kind:     global_buffer
      - .offset:         72
        .size:           4
        .value_kind:     by_value
      - .offset:         76
        .size:           1
        .value_kind:     by_value
      - .offset:         80
        .size:           4
        .value_kind:     hidden_block_count_x
      - .offset:         84
        .size:           4
        .value_kind:     hidden_block_count_y
      - .offset:         88
        .size:           4
        .value_kind:     hidden_block_count_z
      - .offset:         92
        .size:           2
        .value_kind:     hidden_group_size_x
      - .offset:         94
        .size:           2
        .value_kind:     hidden_group_size_y
      - .offset:         96
        .size:           2
        .value_kind:     hidden_group_size_z
      - .offset:         98
        .size:           2
        .value_kind:     hidden_remainder_x
      - .offset:         100
        .size:           2
        .value_kind:     hidden_remainder_y
      - .offset:         102
        .size:           2
        .value_kind:     hidden_remainder_z
      - .offset:         120
        .size:           8
        .value_kind:     hidden_global_offset_x
      - .offset:         128
        .size:           8
        .value_kind:     hidden_global_offset_y
      - .offset:         136
        .size:           8
        .value_kind:     hidden_global_offset_z
      - .offset:         144
        .size:           2
        .value_kind:     hidden_grid_dims
    .group_segment_fixed_size: 0
    .kernarg_segment_align: 8
    .kernarg_segment_size: 336
    .language:       OpenCL C
    .language_version:
      - 2
      - 0
    .max_flat_workgroup_size: 256
    .name:           _ZN9rocsparseL21csrmvt_general_kernelILj256ELj64EllaaffEEvbbT2_NS_24const_host_device_scalarIT6_EEPKT1_S7_PKS1_PKT3_PKT4_PT5_21rocsparse_index_base_b
    .private_segment_fixed_size: 0
    .sgpr_count:     26
    .sgpr_spill_count: 0
    .symbol:         _ZN9rocsparseL21csrmvt_general_kernelILj256ELj64EllaaffEEvbbT2_NS_24const_host_device_scalarIT6_EEPKT1_S7_PKS1_PKT3_PKT4_PT5_21rocsparse_index_base_b.kd
    .uniform_work_group_size: 1
    .uses_dynamic_stack: false
    .vgpr_count:     19
    .vgpr_spill_count: 0
    .wavefront_size: 32
  - .args:
      - .offset:         0
        .size:           1
        .value_kind:     by_value
      - .offset:         4
        .size:           4
        .value_kind:     by_value
      - .offset:         8
        .size:           8
        .value_kind:     by_value
      - .address_space:  global
        .offset:         16
        .size:           8
        .value_kind:     global_buffer
      - .address_space:  global
        .offset:         24
        .size:           8
        .value_kind:     global_buffer
      - .actual_access:  read_only
        .address_space:  global
        .offset:         32
        .size:           8
        .value_kind:     global_buffer
      - .actual_access:  read_only
        .address_space:  global
        .offset:         40
        .size:           8
        .value_kind:     global_buffer
      - .actual_access:  read_only
        .address_space:  global
        .offset:         48
        .size:           8
        .value_kind:     global_buffer
      - .offset:         56
        .size:           8
        .value_kind:     by_value
      - .address_space:  global
        .offset:         64
        .size:           8
        .value_kind:     global_buffer
      - .offset:         72
        .size:           4
        .value_kind:     by_value
      - .offset:         76
        .size:           1
        .value_kind:     by_value
      - .offset:         80
        .size:           4
        .value_kind:     hidden_block_count_x
      - .offset:         84
        .size:           4
        .value_kind:     hidden_block_count_y
      - .offset:         88
        .size:           4
        .value_kind:     hidden_block_count_z
      - .offset:         92
        .size:           2
        .value_kind:     hidden_group_size_x
      - .offset:         94
        .size:           2
        .value_kind:     hidden_group_size_y
      - .offset:         96
        .size:           2
        .value_kind:     hidden_group_size_z
      - .offset:         98
        .size:           2
        .value_kind:     hidden_remainder_x
      - .offset:         100
        .size:           2
        .value_kind:     hidden_remainder_y
      - .offset:         102
        .size:           2
        .value_kind:     hidden_remainder_z
      - .offset:         120
        .size:           8
        .value_kind:     hidden_global_offset_x
      - .offset:         128
        .size:           8
        .value_kind:     hidden_global_offset_y
      - .offset:         136
        .size:           8
        .value_kind:     hidden_global_offset_z
      - .offset:         144
        .size:           2
        .value_kind:     hidden_grid_dims
    .group_segment_fixed_size: 0
    .kernarg_segment_align: 8
    .kernarg_segment_size: 336
    .language:       OpenCL C
    .language_version:
      - 2
      - 0
    .max_flat_workgroup_size: 256
    .name:           _ZN9rocsparseL21csrmvn_general_kernelILj256ELj2EiiDF16_DF16_ffEEvbT2_NS_24const_host_device_scalarIT6_EEPKT1_S7_PKS1_PKT3_PKT4_S4_PT5_21rocsparse_index_base_b
    .private_segment_fixed_size: 0
    .sgpr_count:     24
    .sgpr_spill_count: 0
    .symbol:         _ZN9rocsparseL21csrmvn_general_kernelILj256ELj2EiiDF16_DF16_ffEEvbT2_NS_24const_host_device_scalarIT6_EEPKT1_S7_PKS1_PKT3_PKT4_S4_PT5_21rocsparse_index_base_b.kd
    .uniform_work_group_size: 1
    .uses_dynamic_stack: false
    .vgpr_count:     8
    .vgpr_spill_count: 0
    .wavefront_size: 32
  - .args:
      - .offset:         0
        .size:           1
        .value_kind:     by_value
      - .offset:         4
        .size:           4
        .value_kind:     by_value
      - .offset:         8
        .size:           8
        .value_kind:     by_value
      - .address_space:  global
        .offset:         16
        .size:           8
        .value_kind:     global_buffer
      - .address_space:  global
        .offset:         24
        .size:           8
        .value_kind:     global_buffer
      - .actual_access:  read_only
        .address_space:  global
        .offset:         32
        .size:           8
        .value_kind:     global_buffer
      - .actual_access:  read_only
        .address_space:  global
        .offset:         40
        .size:           8
        .value_kind:     global_buffer
      - .actual_access:  read_only
        .address_space:  global
        .offset:         48
        .size:           8
        .value_kind:     global_buffer
      - .offset:         56
        .size:           8
        .value_kind:     by_value
      - .address_space:  global
        .offset:         64
        .size:           8
        .value_kind:     global_buffer
      - .offset:         72
        .size:           4
        .value_kind:     by_value
      - .offset:         76
        .size:           1
        .value_kind:     by_value
      - .offset:         80
        .size:           4
        .value_kind:     hidden_block_count_x
      - .offset:         84
        .size:           4
        .value_kind:     hidden_block_count_y
      - .offset:         88
        .size:           4
        .value_kind:     hidden_block_count_z
      - .offset:         92
        .size:           2
        .value_kind:     hidden_group_size_x
      - .offset:         94
        .size:           2
        .value_kind:     hidden_group_size_y
      - .offset:         96
        .size:           2
        .value_kind:     hidden_group_size_z
      - .offset:         98
        .size:           2
        .value_kind:     hidden_remainder_x
      - .offset:         100
        .size:           2
        .value_kind:     hidden_remainder_y
      - .offset:         102
        .size:           2
        .value_kind:     hidden_remainder_z
      - .offset:         120
        .size:           8
        .value_kind:     hidden_global_offset_x
      - .offset:         128
        .size:           8
        .value_kind:     hidden_global_offset_y
      - .offset:         136
        .size:           8
        .value_kind:     hidden_global_offset_z
      - .offset:         144
        .size:           2
        .value_kind:     hidden_grid_dims
    .group_segment_fixed_size: 0
    .kernarg_segment_align: 8
    .kernarg_segment_size: 336
    .language:       OpenCL C
    .language_version:
      - 2
      - 0
    .max_flat_workgroup_size: 256
    .name:           _ZN9rocsparseL21csrmvn_general_kernelILj256ELj4EiiDF16_DF16_ffEEvbT2_NS_24const_host_device_scalarIT6_EEPKT1_S7_PKS1_PKT3_PKT4_S4_PT5_21rocsparse_index_base_b
    .private_segment_fixed_size: 0
    .sgpr_count:     24
    .sgpr_spill_count: 0
    .symbol:         _ZN9rocsparseL21csrmvn_general_kernelILj256ELj4EiiDF16_DF16_ffEEvbT2_NS_24const_host_device_scalarIT6_EEPKT1_S7_PKS1_PKT3_PKT4_S4_PT5_21rocsparse_index_base_b.kd
    .uniform_work_group_size: 1
    .uses_dynamic_stack: false
    .vgpr_count:     9
    .vgpr_spill_count: 0
    .wavefront_size: 32
  - .args:
      - .offset:         0
        .size:           1
        .value_kind:     by_value
      - .offset:         4
        .size:           4
        .value_kind:     by_value
      - .offset:         8
        .size:           8
        .value_kind:     by_value
      - .address_space:  global
        .offset:         16
        .size:           8
        .value_kind:     global_buffer
      - .address_space:  global
        .offset:         24
        .size:           8
        .value_kind:     global_buffer
      - .actual_access:  read_only
        .address_space:  global
        .offset:         32
        .size:           8
        .value_kind:     global_buffer
      - .actual_access:  read_only
        .address_space:  global
        .offset:         40
        .size:           8
        .value_kind:     global_buffer
      - .actual_access:  read_only
        .address_space:  global
        .offset:         48
        .size:           8
        .value_kind:     global_buffer
      - .offset:         56
        .size:           8
        .value_kind:     by_value
      - .address_space:  global
        .offset:         64
        .size:           8
        .value_kind:     global_buffer
      - .offset:         72
        .size:           4
        .value_kind:     by_value
      - .offset:         76
        .size:           1
        .value_kind:     by_value
      - .offset:         80
        .size:           4
        .value_kind:     hidden_block_count_x
      - .offset:         84
        .size:           4
        .value_kind:     hidden_block_count_y
      - .offset:         88
        .size:           4
        .value_kind:     hidden_block_count_z
      - .offset:         92
        .size:           2
        .value_kind:     hidden_group_size_x
      - .offset:         94
        .size:           2
        .value_kind:     hidden_group_size_y
      - .offset:         96
        .size:           2
        .value_kind:     hidden_group_size_z
      - .offset:         98
        .size:           2
        .value_kind:     hidden_remainder_x
      - .offset:         100
        .size:           2
        .value_kind:     hidden_remainder_y
      - .offset:         102
        .size:           2
        .value_kind:     hidden_remainder_z
      - .offset:         120
        .size:           8
        .value_kind:     hidden_global_offset_x
      - .offset:         128
        .size:           8
        .value_kind:     hidden_global_offset_y
      - .offset:         136
        .size:           8
        .value_kind:     hidden_global_offset_z
      - .offset:         144
        .size:           2
        .value_kind:     hidden_grid_dims
    .group_segment_fixed_size: 0
    .kernarg_segment_align: 8
    .kernarg_segment_size: 336
    .language:       OpenCL C
    .language_version:
      - 2
      - 0
    .max_flat_workgroup_size: 256
    .name:           _ZN9rocsparseL21csrmvn_general_kernelILj256ELj8EiiDF16_DF16_ffEEvbT2_NS_24const_host_device_scalarIT6_EEPKT1_S7_PKS1_PKT3_PKT4_S4_PT5_21rocsparse_index_base_b
    .private_segment_fixed_size: 0
    .sgpr_count:     24
    .sgpr_spill_count: 0
    .symbol:         _ZN9rocsparseL21csrmvn_general_kernelILj256ELj8EiiDF16_DF16_ffEEvbT2_NS_24const_host_device_scalarIT6_EEPKT1_S7_PKS1_PKT3_PKT4_S4_PT5_21rocsparse_index_base_b.kd
    .uniform_work_group_size: 1
    .uses_dynamic_stack: false
    .vgpr_count:     10
    .vgpr_spill_count: 0
    .wavefront_size: 32
  - .args:
      - .offset:         0
        .size:           1
        .value_kind:     by_value
      - .offset:         4
        .size:           4
        .value_kind:     by_value
      - .offset:         8
        .size:           8
        .value_kind:     by_value
      - .address_space:  global
        .offset:         16
        .size:           8
        .value_kind:     global_buffer
      - .address_space:  global
        .offset:         24
        .size:           8
        .value_kind:     global_buffer
      - .actual_access:  read_only
        .address_space:  global
        .offset:         32
        .size:           8
        .value_kind:     global_buffer
      - .actual_access:  read_only
        .address_space:  global
        .offset:         40
        .size:           8
        .value_kind:     global_buffer
      - .actual_access:  read_only
        .address_space:  global
        .offset:         48
        .size:           8
        .value_kind:     global_buffer
      - .offset:         56
        .size:           8
        .value_kind:     by_value
      - .address_space:  global
        .offset:         64
        .size:           8
        .value_kind:     global_buffer
      - .offset:         72
        .size:           4
        .value_kind:     by_value
      - .offset:         76
        .size:           1
        .value_kind:     by_value
      - .offset:         80
        .size:           4
        .value_kind:     hidden_block_count_x
      - .offset:         84
        .size:           4
        .value_kind:     hidden_block_count_y
      - .offset:         88
        .size:           4
        .value_kind:     hidden_block_count_z
      - .offset:         92
        .size:           2
        .value_kind:     hidden_group_size_x
      - .offset:         94
        .size:           2
        .value_kind:     hidden_group_size_y
      - .offset:         96
        .size:           2
        .value_kind:     hidden_group_size_z
      - .offset:         98
        .size:           2
        .value_kind:     hidden_remainder_x
      - .offset:         100
        .size:           2
        .value_kind:     hidden_remainder_y
      - .offset:         102
        .size:           2
        .value_kind:     hidden_remainder_z
      - .offset:         120
        .size:           8
        .value_kind:     hidden_global_offset_x
      - .offset:         128
        .size:           8
        .value_kind:     hidden_global_offset_y
      - .offset:         136
        .size:           8
        .value_kind:     hidden_global_offset_z
      - .offset:         144
        .size:           2
        .value_kind:     hidden_grid_dims
    .group_segment_fixed_size: 0
    .kernarg_segment_align: 8
    .kernarg_segment_size: 336
    .language:       OpenCL C
    .language_version:
      - 2
      - 0
    .max_flat_workgroup_size: 256
    .name:           _ZN9rocsparseL21csrmvn_general_kernelILj256ELj16EiiDF16_DF16_ffEEvbT2_NS_24const_host_device_scalarIT6_EEPKT1_S7_PKS1_PKT3_PKT4_S4_PT5_21rocsparse_index_base_b
    .private_segment_fixed_size: 0
    .sgpr_count:     24
    .sgpr_spill_count: 0
    .symbol:         _ZN9rocsparseL21csrmvn_general_kernelILj256ELj16EiiDF16_DF16_ffEEvbT2_NS_24const_host_device_scalarIT6_EEPKT1_S7_PKS1_PKT3_PKT4_S4_PT5_21rocsparse_index_base_b.kd
    .uniform_work_group_size: 1
    .uses_dynamic_stack: false
    .vgpr_count:     11
    .vgpr_spill_count: 0
    .wavefront_size: 32
  - .args:
      - .offset:         0
        .size:           1
        .value_kind:     by_value
      - .offset:         4
        .size:           4
        .value_kind:     by_value
      - .offset:         8
        .size:           8
        .value_kind:     by_value
      - .address_space:  global
        .offset:         16
        .size:           8
        .value_kind:     global_buffer
      - .address_space:  global
        .offset:         24
        .size:           8
        .value_kind:     global_buffer
      - .actual_access:  read_only
        .address_space:  global
        .offset:         32
        .size:           8
        .value_kind:     global_buffer
      - .actual_access:  read_only
        .address_space:  global
        .offset:         40
        .size:           8
        .value_kind:     global_buffer
      - .actual_access:  read_only
        .address_space:  global
        .offset:         48
        .size:           8
        .value_kind:     global_buffer
      - .offset:         56
        .size:           8
        .value_kind:     by_value
      - .address_space:  global
        .offset:         64
        .size:           8
        .value_kind:     global_buffer
      - .offset:         72
        .size:           4
        .value_kind:     by_value
      - .offset:         76
        .size:           1
        .value_kind:     by_value
      - .offset:         80
        .size:           4
        .value_kind:     hidden_block_count_x
      - .offset:         84
        .size:           4
        .value_kind:     hidden_block_count_y
      - .offset:         88
        .size:           4
        .value_kind:     hidden_block_count_z
      - .offset:         92
        .size:           2
        .value_kind:     hidden_group_size_x
      - .offset:         94
        .size:           2
        .value_kind:     hidden_group_size_y
      - .offset:         96
        .size:           2
        .value_kind:     hidden_group_size_z
      - .offset:         98
        .size:           2
        .value_kind:     hidden_remainder_x
      - .offset:         100
        .size:           2
        .value_kind:     hidden_remainder_y
      - .offset:         102
        .size:           2
        .value_kind:     hidden_remainder_z
      - .offset:         120
        .size:           8
        .value_kind:     hidden_global_offset_x
      - .offset:         128
        .size:           8
        .value_kind:     hidden_global_offset_y
      - .offset:         136
        .size:           8
        .value_kind:     hidden_global_offset_z
      - .offset:         144
        .size:           2
        .value_kind:     hidden_grid_dims
    .group_segment_fixed_size: 0
    .kernarg_segment_align: 8
    .kernarg_segment_size: 336
    .language:       OpenCL C
    .language_version:
      - 2
      - 0
    .max_flat_workgroup_size: 256
    .name:           _ZN9rocsparseL21csrmvn_general_kernelILj256ELj32EiiDF16_DF16_ffEEvbT2_NS_24const_host_device_scalarIT6_EEPKT1_S7_PKS1_PKT3_PKT4_S4_PT5_21rocsparse_index_base_b
    .private_segment_fixed_size: 0
    .sgpr_count:     24
    .sgpr_spill_count: 0
    .symbol:         _ZN9rocsparseL21csrmvn_general_kernelILj256ELj32EiiDF16_DF16_ffEEvbT2_NS_24const_host_device_scalarIT6_EEPKT1_S7_PKS1_PKT3_PKT4_S4_PT5_21rocsparse_index_base_b.kd
    .uniform_work_group_size: 1
    .uses_dynamic_stack: false
    .vgpr_count:     12
    .vgpr_spill_count: 0
    .wavefront_size: 32
  - .args:
      - .offset:         0
        .size:           1
        .value_kind:     by_value
      - .offset:         4
        .size:           4
        .value_kind:     by_value
      - .offset:         8
        .size:           8
        .value_kind:     by_value
      - .address_space:  global
        .offset:         16
        .size:           8
        .value_kind:     global_buffer
      - .address_space:  global
        .offset:         24
        .size:           8
        .value_kind:     global_buffer
      - .actual_access:  read_only
        .address_space:  global
        .offset:         32
        .size:           8
        .value_kind:     global_buffer
      - .actual_access:  read_only
        .address_space:  global
        .offset:         40
        .size:           8
        .value_kind:     global_buffer
      - .actual_access:  read_only
        .address_space:  global
        .offset:         48
        .size:           8
        .value_kind:     global_buffer
      - .offset:         56
        .size:           8
        .value_kind:     by_value
      - .address_space:  global
        .offset:         64
        .size:           8
        .value_kind:     global_buffer
      - .offset:         72
        .size:           4
        .value_kind:     by_value
      - .offset:         76
        .size:           1
        .value_kind:     by_value
      - .offset:         80
        .size:           4
        .value_kind:     hidden_block_count_x
      - .offset:         84
        .size:           4
        .value_kind:     hidden_block_count_y
      - .offset:         88
        .size:           4
        .value_kind:     hidden_block_count_z
      - .offset:         92
        .size:           2
        .value_kind:     hidden_group_size_x
      - .offset:         94
        .size:           2
        .value_kind:     hidden_group_size_y
      - .offset:         96
        .size:           2
        .value_kind:     hidden_group_size_z
      - .offset:         98
        .size:           2
        .value_kind:     hidden_remainder_x
      - .offset:         100
        .size:           2
        .value_kind:     hidden_remainder_y
      - .offset:         102
        .size:           2
        .value_kind:     hidden_remainder_z
      - .offset:         120
        .size:           8
        .value_kind:     hidden_global_offset_x
      - .offset:         128
        .size:           8
        .value_kind:     hidden_global_offset_y
      - .offset:         136
        .size:           8
        .value_kind:     hidden_global_offset_z
      - .offset:         144
        .size:           2
        .value_kind:     hidden_grid_dims
    .group_segment_fixed_size: 0
    .kernarg_segment_align: 8
    .kernarg_segment_size: 336
    .language:       OpenCL C
    .language_version:
      - 2
      - 0
    .max_flat_workgroup_size: 256
    .name:           _ZN9rocsparseL21csrmvn_general_kernelILj256ELj64EiiDF16_DF16_ffEEvbT2_NS_24const_host_device_scalarIT6_EEPKT1_S7_PKS1_PKT3_PKT4_S4_PT5_21rocsparse_index_base_b
    .private_segment_fixed_size: 0
    .sgpr_count:     24
    .sgpr_spill_count: 0
    .symbol:         _ZN9rocsparseL21csrmvn_general_kernelILj256ELj64EiiDF16_DF16_ffEEvbT2_NS_24const_host_device_scalarIT6_EEPKT1_S7_PKS1_PKT3_PKT4_S4_PT5_21rocsparse_index_base_b.kd
    .uniform_work_group_size: 1
    .uses_dynamic_stack: false
    .vgpr_count:     13
    .vgpr_spill_count: 0
    .wavefront_size: 32
  - .args:
      - .offset:         0
        .size:           1
        .value_kind:     by_value
      - .offset:         1
        .size:           1
        .value_kind:     by_value
      - .offset:         4
        .size:           4
        .value_kind:     by_value
      - .offset:         8
        .size:           8
        .value_kind:     by_value
      - .address_space:  global
        .offset:         16
        .size:           8
        .value_kind:     global_buffer
      - .address_space:  global
        .offset:         24
        .size:           8
        .value_kind:     global_buffer
      - .actual_access:  read_only
        .address_space:  global
        .offset:         32
        .size:           8
        .value_kind:     global_buffer
      - .actual_access:  read_only
        .address_space:  global
        .offset:         40
        .size:           8
        .value_kind:     global_buffer
      - .actual_access:  read_only
        .address_space:  global
        .offset:         48
        .size:           8
        .value_kind:     global_buffer
      - .address_space:  global
        .offset:         56
        .size:           8
        .value_kind:     global_buffer
      - .offset:         64
        .size:           4
        .value_kind:     by_value
      - .offset:         68
        .size:           1
        .value_kind:     by_value
      - .offset:         72
        .size:           4
        .value_kind:     hidden_block_count_x
      - .offset:         76
        .size:           4
        .value_kind:     hidden_block_count_y
      - .offset:         80
        .size:           4
        .value_kind:     hidden_block_count_z
      - .offset:         84
        .size:           2
        .value_kind:     hidden_group_size_x
      - .offset:         86
        .size:           2
        .value_kind:     hidden_group_size_y
      - .offset:         88
        .size:           2
        .value_kind:     hidden_group_size_z
      - .offset:         90
        .size:           2
        .value_kind:     hidden_remainder_x
      - .offset:         92
        .size:           2
        .value_kind:     hidden_remainder_y
      - .offset:         94
        .size:           2
        .value_kind:     hidden_remainder_z
      - .offset:         112
        .size:           8
        .value_kind:     hidden_global_offset_x
      - .offset:         120
        .size:           8
        .value_kind:     hidden_global_offset_y
      - .offset:         128
        .size:           8
        .value_kind:     hidden_global_offset_z
      - .offset:         136
        .size:           2
        .value_kind:     hidden_grid_dims
    .group_segment_fixed_size: 0
    .kernarg_segment_align: 8
    .kernarg_segment_size: 328
    .language:       OpenCL C
    .language_version:
      - 2
      - 0
    .max_flat_workgroup_size: 256
    .name:           _ZN9rocsparseL21csrmvt_general_kernelILj256ELj4EiiDF16_DF16_ffEEvbbT2_NS_24const_host_device_scalarIT6_EEPKT1_S7_PKS1_PKT3_PKT4_PT5_21rocsparse_index_base_b
    .private_segment_fixed_size: 0
    .sgpr_count:     23
    .sgpr_spill_count: 0
    .symbol:         _ZN9rocsparseL21csrmvt_general_kernelILj256ELj4EiiDF16_DF16_ffEEvbbT2_NS_24const_host_device_scalarIT6_EEPKT1_S7_PKS1_PKT3_PKT4_PT5_21rocsparse_index_base_b.kd
    .uniform_work_group_size: 1
    .uses_dynamic_stack: false
    .vgpr_count:     10
    .vgpr_spill_count: 0
    .wavefront_size: 32
  - .args:
      - .offset:         0
        .size:           1
        .value_kind:     by_value
      - .offset:         1
        .size:           1
        .value_kind:     by_value
      - .offset:         4
        .size:           4
        .value_kind:     by_value
      - .offset:         8
        .size:           8
        .value_kind:     by_value
      - .address_space:  global
        .offset:         16
        .size:           8
        .value_kind:     global_buffer
      - .address_space:  global
        .offset:         24
        .size:           8
        .value_kind:     global_buffer
      - .actual_access:  read_only
        .address_space:  global
        .offset:         32
        .size:           8
        .value_kind:     global_buffer
      - .actual_access:  read_only
        .address_space:  global
        .offset:         40
        .size:           8
        .value_kind:     global_buffer
      - .actual_access:  read_only
        .address_space:  global
        .offset:         48
        .size:           8
        .value_kind:     global_buffer
      - .address_space:  global
        .offset:         56
        .size:           8
        .value_kind:     global_buffer
      - .offset:         64
        .size:           4
        .value_kind:     by_value
      - .offset:         68
        .size:           1
        .value_kind:     by_value
      - .offset:         72
        .size:           4
        .value_kind:     hidden_block_count_x
      - .offset:         76
        .size:           4
        .value_kind:     hidden_block_count_y
      - .offset:         80
        .size:           4
        .value_kind:     hidden_block_count_z
      - .offset:         84
        .size:           2
        .value_kind:     hidden_group_size_x
      - .offset:         86
        .size:           2
        .value_kind:     hidden_group_size_y
      - .offset:         88
        .size:           2
        .value_kind:     hidden_group_size_z
      - .offset:         90
        .size:           2
        .value_kind:     hidden_remainder_x
      - .offset:         92
        .size:           2
        .value_kind:     hidden_remainder_y
      - .offset:         94
        .size:           2
        .value_kind:     hidden_remainder_z
      - .offset:         112
        .size:           8
        .value_kind:     hidden_global_offset_x
      - .offset:         120
        .size:           8
        .value_kind:     hidden_global_offset_y
      - .offset:         128
        .size:           8
        .value_kind:     hidden_global_offset_z
      - .offset:         136
        .size:           2
        .value_kind:     hidden_grid_dims
    .group_segment_fixed_size: 0
    .kernarg_segment_align: 8
    .kernarg_segment_size: 328
    .language:       OpenCL C
    .language_version:
      - 2
      - 0
    .max_flat_workgroup_size: 256
    .name:           _ZN9rocsparseL21csrmvt_general_kernelILj256ELj8EiiDF16_DF16_ffEEvbbT2_NS_24const_host_device_scalarIT6_EEPKT1_S7_PKS1_PKT3_PKT4_PT5_21rocsparse_index_base_b
    .private_segment_fixed_size: 0
    .sgpr_count:     23
    .sgpr_spill_count: 0
    .symbol:         _ZN9rocsparseL21csrmvt_general_kernelILj256ELj8EiiDF16_DF16_ffEEvbbT2_NS_24const_host_device_scalarIT6_EEPKT1_S7_PKS1_PKT3_PKT4_PT5_21rocsparse_index_base_b.kd
    .uniform_work_group_size: 1
    .uses_dynamic_stack: false
    .vgpr_count:     10
    .vgpr_spill_count: 0
    .wavefront_size: 32
  - .args:
      - .offset:         0
        .size:           1
        .value_kind:     by_value
      - .offset:         1
        .size:           1
        .value_kind:     by_value
      - .offset:         4
        .size:           4
        .value_kind:     by_value
      - .offset:         8
        .size:           8
        .value_kind:     by_value
      - .address_space:  global
        .offset:         16
        .size:           8
        .value_kind:     global_buffer
      - .address_space:  global
        .offset:         24
        .size:           8
        .value_kind:     global_buffer
      - .actual_access:  read_only
        .address_space:  global
        .offset:         32
        .size:           8
        .value_kind:     global_buffer
      - .actual_access:  read_only
        .address_space:  global
        .offset:         40
        .size:           8
        .value_kind:     global_buffer
      - .actual_access:  read_only
        .address_space:  global
        .offset:         48
        .size:           8
        .value_kind:     global_buffer
      - .address_space:  global
        .offset:         56
        .size:           8
        .value_kind:     global_buffer
      - .offset:         64
        .size:           4
        .value_kind:     by_value
      - .offset:         68
        .size:           1
        .value_kind:     by_value
      - .offset:         72
        .size:           4
        .value_kind:     hidden_block_count_x
      - .offset:         76
        .size:           4
        .value_kind:     hidden_block_count_y
      - .offset:         80
        .size:           4
        .value_kind:     hidden_block_count_z
      - .offset:         84
        .size:           2
        .value_kind:     hidden_group_size_x
      - .offset:         86
        .size:           2
        .value_kind:     hidden_group_size_y
      - .offset:         88
        .size:           2
        .value_kind:     hidden_group_size_z
      - .offset:         90
        .size:           2
        .value_kind:     hidden_remainder_x
      - .offset:         92
        .size:           2
        .value_kind:     hidden_remainder_y
      - .offset:         94
        .size:           2
        .value_kind:     hidden_remainder_z
      - .offset:         112
        .size:           8
        .value_kind:     hidden_global_offset_x
      - .offset:         120
        .size:           8
        .value_kind:     hidden_global_offset_y
      - .offset:         128
        .size:           8
        .value_kind:     hidden_global_offset_z
      - .offset:         136
        .size:           2
        .value_kind:     hidden_grid_dims
    .group_segment_fixed_size: 0
    .kernarg_segment_align: 8
    .kernarg_segment_size: 328
    .language:       OpenCL C
    .language_version:
      - 2
      - 0
    .max_flat_workgroup_size: 256
    .name:           _ZN9rocsparseL21csrmvt_general_kernelILj256ELj16EiiDF16_DF16_ffEEvbbT2_NS_24const_host_device_scalarIT6_EEPKT1_S7_PKS1_PKT3_PKT4_PT5_21rocsparse_index_base_b
    .private_segment_fixed_size: 0
    .sgpr_count:     23
    .sgpr_spill_count: 0
    .symbol:         _ZN9rocsparseL21csrmvt_general_kernelILj256ELj16EiiDF16_DF16_ffEEvbbT2_NS_24const_host_device_scalarIT6_EEPKT1_S7_PKS1_PKT3_PKT4_PT5_21rocsparse_index_base_b.kd
    .uniform_work_group_size: 1
    .uses_dynamic_stack: false
    .vgpr_count:     10
    .vgpr_spill_count: 0
    .wavefront_size: 32
  - .args:
      - .offset:         0
        .size:           1
        .value_kind:     by_value
      - .offset:         1
        .size:           1
        .value_kind:     by_value
      - .offset:         4
        .size:           4
        .value_kind:     by_value
      - .offset:         8
        .size:           8
        .value_kind:     by_value
      - .address_space:  global
        .offset:         16
        .size:           8
        .value_kind:     global_buffer
      - .address_space:  global
        .offset:         24
        .size:           8
        .value_kind:     global_buffer
      - .actual_access:  read_only
        .address_space:  global
        .offset:         32
        .size:           8
        .value_kind:     global_buffer
      - .actual_access:  read_only
        .address_space:  global
        .offset:         40
        .size:           8
        .value_kind:     global_buffer
      - .actual_access:  read_only
        .address_space:  global
        .offset:         48
        .size:           8
        .value_kind:     global_buffer
      - .address_space:  global
        .offset:         56
        .size:           8
        .value_kind:     global_buffer
      - .offset:         64
        .size:           4
        .value_kind:     by_value
      - .offset:         68
        .size:           1
        .value_kind:     by_value
      - .offset:         72
        .size:           4
        .value_kind:     hidden_block_count_x
      - .offset:         76
        .size:           4
        .value_kind:     hidden_block_count_y
      - .offset:         80
        .size:           4
        .value_kind:     hidden_block_count_z
      - .offset:         84
        .size:           2
        .value_kind:     hidden_group_size_x
      - .offset:         86
        .size:           2
        .value_kind:     hidden_group_size_y
      - .offset:         88
        .size:           2
        .value_kind:     hidden_group_size_z
      - .offset:         90
        .size:           2
        .value_kind:     hidden_remainder_x
      - .offset:         92
        .size:           2
        .value_kind:     hidden_remainder_y
      - .offset:         94
        .size:           2
        .value_kind:     hidden_remainder_z
      - .offset:         112
        .size:           8
        .value_kind:     hidden_global_offset_x
      - .offset:         120
        .size:           8
        .value_kind:     hidden_global_offset_y
      - .offset:         128
        .size:           8
        .value_kind:     hidden_global_offset_z
      - .offset:         136
        .size:           2
        .value_kind:     hidden_grid_dims
    .group_segment_fixed_size: 0
    .kernarg_segment_align: 8
    .kernarg_segment_size: 328
    .language:       OpenCL C
    .language_version:
      - 2
      - 0
    .max_flat_workgroup_size: 256
    .name:           _ZN9rocsparseL21csrmvt_general_kernelILj256ELj32EiiDF16_DF16_ffEEvbbT2_NS_24const_host_device_scalarIT6_EEPKT1_S7_PKS1_PKT3_PKT4_PT5_21rocsparse_index_base_b
    .private_segment_fixed_size: 0
    .sgpr_count:     23
    .sgpr_spill_count: 0
    .symbol:         _ZN9rocsparseL21csrmvt_general_kernelILj256ELj32EiiDF16_DF16_ffEEvbbT2_NS_24const_host_device_scalarIT6_EEPKT1_S7_PKS1_PKT3_PKT4_PT5_21rocsparse_index_base_b.kd
    .uniform_work_group_size: 1
    .uses_dynamic_stack: false
    .vgpr_count:     10
    .vgpr_spill_count: 0
    .wavefront_size: 32
  - .args:
      - .offset:         0
        .size:           1
        .value_kind:     by_value
      - .offset:         1
        .size:           1
        .value_kind:     by_value
      - .offset:         4
        .size:           4
        .value_kind:     by_value
      - .offset:         8
        .size:           8
        .value_kind:     by_value
      - .address_space:  global
        .offset:         16
        .size:           8
        .value_kind:     global_buffer
      - .address_space:  global
        .offset:         24
        .size:           8
        .value_kind:     global_buffer
      - .actual_access:  read_only
        .address_space:  global
        .offset:         32
        .size:           8
        .value_kind:     global_buffer
      - .actual_access:  read_only
        .address_space:  global
        .offset:         40
        .size:           8
        .value_kind:     global_buffer
      - .actual_access:  read_only
        .address_space:  global
        .offset:         48
        .size:           8
        .value_kind:     global_buffer
      - .address_space:  global
        .offset:         56
        .size:           8
        .value_kind:     global_buffer
      - .offset:         64
        .size:           4
        .value_kind:     by_value
      - .offset:         68
        .size:           1
        .value_kind:     by_value
      - .offset:         72
        .size:           4
        .value_kind:     hidden_block_count_x
      - .offset:         76
        .size:           4
        .value_kind:     hidden_block_count_y
      - .offset:         80
        .size:           4
        .value_kind:     hidden_block_count_z
      - .offset:         84
        .size:           2
        .value_kind:     hidden_group_size_x
      - .offset:         86
        .size:           2
        .value_kind:     hidden_group_size_y
      - .offset:         88
        .size:           2
        .value_kind:     hidden_group_size_z
      - .offset:         90
        .size:           2
        .value_kind:     hidden_remainder_x
      - .offset:         92
        .size:           2
        .value_kind:     hidden_remainder_y
      - .offset:         94
        .size:           2
        .value_kind:     hidden_remainder_z
      - .offset:         112
        .size:           8
        .value_kind:     hidden_global_offset_x
      - .offset:         120
        .size:           8
        .value_kind:     hidden_global_offset_y
      - .offset:         128
        .size:           8
        .value_kind:     hidden_global_offset_z
      - .offset:         136
        .size:           2
        .value_kind:     hidden_grid_dims
    .group_segment_fixed_size: 0
    .kernarg_segment_align: 8
    .kernarg_segment_size: 328
    .language:       OpenCL C
    .language_version:
      - 2
      - 0
    .max_flat_workgroup_size: 256
    .name:           _ZN9rocsparseL21csrmvt_general_kernelILj256ELj64EiiDF16_DF16_ffEEvbbT2_NS_24const_host_device_scalarIT6_EEPKT1_S7_PKS1_PKT3_PKT4_PT5_21rocsparse_index_base_b
    .private_segment_fixed_size: 0
    .sgpr_count:     23
    .sgpr_spill_count: 0
    .symbol:         _ZN9rocsparseL21csrmvt_general_kernelILj256ELj64EiiDF16_DF16_ffEEvbbT2_NS_24const_host_device_scalarIT6_EEPKT1_S7_PKS1_PKT3_PKT4_PT5_21rocsparse_index_base_b.kd
    .uniform_work_group_size: 1
    .uses_dynamic_stack: false
    .vgpr_count:     10
    .vgpr_spill_count: 0
    .wavefront_size: 32
  - .args:
      - .offset:         0
        .size:           1
        .value_kind:     by_value
      - .offset:         4
        .size:           4
        .value_kind:     by_value
      - .offset:         8
        .size:           8
        .value_kind:     by_value
      - .address_space:  global
        .offset:         16
        .size:           8
        .value_kind:     global_buffer
      - .address_space:  global
        .offset:         24
        .size:           8
        .value_kind:     global_buffer
      - .actual_access:  read_only
        .address_space:  global
        .offset:         32
        .size:           8
        .value_kind:     global_buffer
      - .actual_access:  read_only
        .address_space:  global
        .offset:         40
        .size:           8
        .value_kind:     global_buffer
      - .actual_access:  read_only
        .address_space:  global
        .offset:         48
        .size:           8
        .value_kind:     global_buffer
      - .offset:         56
        .size:           8
        .value_kind:     by_value
      - .address_space:  global
        .offset:         64
        .size:           8
        .value_kind:     global_buffer
      - .offset:         72
        .size:           4
        .value_kind:     by_value
      - .offset:         76
        .size:           1
        .value_kind:     by_value
      - .offset:         80
        .size:           4
        .value_kind:     hidden_block_count_x
      - .offset:         84
        .size:           4
        .value_kind:     hidden_block_count_y
      - .offset:         88
        .size:           4
        .value_kind:     hidden_block_count_z
      - .offset:         92
        .size:           2
        .value_kind:     hidden_group_size_x
      - .offset:         94
        .size:           2
        .value_kind:     hidden_group_size_y
      - .offset:         96
        .size:           2
        .value_kind:     hidden_group_size_z
      - .offset:         98
        .size:           2
        .value_kind:     hidden_remainder_x
      - .offset:         100
        .size:           2
        .value_kind:     hidden_remainder_y
      - .offset:         102
        .size:           2
        .value_kind:     hidden_remainder_z
      - .offset:         120
        .size:           8
        .value_kind:     hidden_global_offset_x
      - .offset:         128
        .size:           8
        .value_kind:     hidden_global_offset_y
      - .offset:         136
        .size:           8
        .value_kind:     hidden_global_offset_z
      - .offset:         144
        .size:           2
        .value_kind:     hidden_grid_dims
    .group_segment_fixed_size: 0
    .kernarg_segment_align: 8
    .kernarg_segment_size: 336
    .language:       OpenCL C
    .language_version:
      - 2
      - 0
    .max_flat_workgroup_size: 256
    .name:           _ZN9rocsparseL21csrmvn_general_kernelILj256ELj2EliDF16_DF16_ffEEvbT2_NS_24const_host_device_scalarIT6_EEPKT1_S7_PKS1_PKT3_PKT4_S4_PT5_21rocsparse_index_base_b
    .private_segment_fixed_size: 0
    .sgpr_count:     25
    .sgpr_spill_count: 0
    .symbol:         _ZN9rocsparseL21csrmvn_general_kernelILj256ELj2EliDF16_DF16_ffEEvbT2_NS_24const_host_device_scalarIT6_EEPKT1_S7_PKS1_PKT3_PKT4_S4_PT5_21rocsparse_index_base_b.kd
    .uniform_work_group_size: 1
    .uses_dynamic_stack: false
    .vgpr_count:     15
    .vgpr_spill_count: 0
    .wavefront_size: 32
  - .args:
      - .offset:         0
        .size:           1
        .value_kind:     by_value
      - .offset:         4
        .size:           4
        .value_kind:     by_value
      - .offset:         8
        .size:           8
        .value_kind:     by_value
      - .address_space:  global
        .offset:         16
        .size:           8
        .value_kind:     global_buffer
      - .address_space:  global
        .offset:         24
        .size:           8
        .value_kind:     global_buffer
      - .actual_access:  read_only
        .address_space:  global
        .offset:         32
        .size:           8
        .value_kind:     global_buffer
      - .actual_access:  read_only
        .address_space:  global
        .offset:         40
        .size:           8
        .value_kind:     global_buffer
      - .actual_access:  read_only
        .address_space:  global
        .offset:         48
        .size:           8
        .value_kind:     global_buffer
      - .offset:         56
        .size:           8
        .value_kind:     by_value
      - .address_space:  global
        .offset:         64
        .size:           8
        .value_kind:     global_buffer
      - .offset:         72
        .size:           4
        .value_kind:     by_value
      - .offset:         76
        .size:           1
        .value_kind:     by_value
      - .offset:         80
        .size:           4
        .value_kind:     hidden_block_count_x
      - .offset:         84
        .size:           4
        .value_kind:     hidden_block_count_y
      - .offset:         88
        .size:           4
        .value_kind:     hidden_block_count_z
      - .offset:         92
        .size:           2
        .value_kind:     hidden_group_size_x
      - .offset:         94
        .size:           2
        .value_kind:     hidden_group_size_y
      - .offset:         96
        .size:           2
        .value_kind:     hidden_group_size_z
      - .offset:         98
        .size:           2
        .value_kind:     hidden_remainder_x
      - .offset:         100
        .size:           2
        .value_kind:     hidden_remainder_y
      - .offset:         102
        .size:           2
        .value_kind:     hidden_remainder_z
      - .offset:         120
        .size:           8
        .value_kind:     hidden_global_offset_x
      - .offset:         128
        .size:           8
        .value_kind:     hidden_global_offset_y
      - .offset:         136
        .size:           8
        .value_kind:     hidden_global_offset_z
      - .offset:         144
        .size:           2
        .value_kind:     hidden_grid_dims
    .group_segment_fixed_size: 0
    .kernarg_segment_align: 8
    .kernarg_segment_size: 336
    .language:       OpenCL C
    .language_version:
      - 2
      - 0
    .max_flat_workgroup_size: 256
    .name:           _ZN9rocsparseL21csrmvn_general_kernelILj256ELj4EliDF16_DF16_ffEEvbT2_NS_24const_host_device_scalarIT6_EEPKT1_S7_PKS1_PKT3_PKT4_S4_PT5_21rocsparse_index_base_b
    .private_segment_fixed_size: 0
    .sgpr_count:     25
    .sgpr_spill_count: 0
    .symbol:         _ZN9rocsparseL21csrmvn_general_kernelILj256ELj4EliDF16_DF16_ffEEvbT2_NS_24const_host_device_scalarIT6_EEPKT1_S7_PKS1_PKT3_PKT4_S4_PT5_21rocsparse_index_base_b.kd
    .uniform_work_group_size: 1
    .uses_dynamic_stack: false
    .vgpr_count:     16
    .vgpr_spill_count: 0
    .wavefront_size: 32
  - .args:
      - .offset:         0
        .size:           1
        .value_kind:     by_value
      - .offset:         4
        .size:           4
        .value_kind:     by_value
      - .offset:         8
        .size:           8
        .value_kind:     by_value
      - .address_space:  global
        .offset:         16
        .size:           8
        .value_kind:     global_buffer
      - .address_space:  global
        .offset:         24
        .size:           8
        .value_kind:     global_buffer
      - .actual_access:  read_only
        .address_space:  global
        .offset:         32
        .size:           8
        .value_kind:     global_buffer
      - .actual_access:  read_only
        .address_space:  global
        .offset:         40
        .size:           8
        .value_kind:     global_buffer
      - .actual_access:  read_only
        .address_space:  global
        .offset:         48
        .size:           8
        .value_kind:     global_buffer
      - .offset:         56
        .size:           8
        .value_kind:     by_value
      - .address_space:  global
        .offset:         64
        .size:           8
        .value_kind:     global_buffer
      - .offset:         72
        .size:           4
        .value_kind:     by_value
      - .offset:         76
        .size:           1
        .value_kind:     by_value
      - .offset:         80
        .size:           4
        .value_kind:     hidden_block_count_x
      - .offset:         84
        .size:           4
        .value_kind:     hidden_block_count_y
      - .offset:         88
        .size:           4
        .value_kind:     hidden_block_count_z
      - .offset:         92
        .size:           2
        .value_kind:     hidden_group_size_x
      - .offset:         94
        .size:           2
        .value_kind:     hidden_group_size_y
      - .offset:         96
        .size:           2
        .value_kind:     hidden_group_size_z
      - .offset:         98
        .size:           2
        .value_kind:     hidden_remainder_x
      - .offset:         100
        .size:           2
        .value_kind:     hidden_remainder_y
      - .offset:         102
        .size:           2
        .value_kind:     hidden_remainder_z
      - .offset:         120
        .size:           8
        .value_kind:     hidden_global_offset_x
      - .offset:         128
        .size:           8
        .value_kind:     hidden_global_offset_y
      - .offset:         136
        .size:           8
        .value_kind:     hidden_global_offset_z
      - .offset:         144
        .size:           2
        .value_kind:     hidden_grid_dims
    .group_segment_fixed_size: 0
    .kernarg_segment_align: 8
    .kernarg_segment_size: 336
    .language:       OpenCL C
    .language_version:
      - 2
      - 0
    .max_flat_workgroup_size: 256
    .name:           _ZN9rocsparseL21csrmvn_general_kernelILj256ELj8EliDF16_DF16_ffEEvbT2_NS_24const_host_device_scalarIT6_EEPKT1_S7_PKS1_PKT3_PKT4_S4_PT5_21rocsparse_index_base_b
    .private_segment_fixed_size: 0
    .sgpr_count:     25
    .sgpr_spill_count: 0
    .symbol:         _ZN9rocsparseL21csrmvn_general_kernelILj256ELj8EliDF16_DF16_ffEEvbT2_NS_24const_host_device_scalarIT6_EEPKT1_S7_PKS1_PKT3_PKT4_S4_PT5_21rocsparse_index_base_b.kd
    .uniform_work_group_size: 1
    .uses_dynamic_stack: false
    .vgpr_count:     17
    .vgpr_spill_count: 0
    .wavefront_size: 32
  - .args:
      - .offset:         0
        .size:           1
        .value_kind:     by_value
      - .offset:         4
        .size:           4
        .value_kind:     by_value
      - .offset:         8
        .size:           8
        .value_kind:     by_value
      - .address_space:  global
        .offset:         16
        .size:           8
        .value_kind:     global_buffer
      - .address_space:  global
        .offset:         24
        .size:           8
        .value_kind:     global_buffer
      - .actual_access:  read_only
        .address_space:  global
        .offset:         32
        .size:           8
        .value_kind:     global_buffer
      - .actual_access:  read_only
        .address_space:  global
        .offset:         40
        .size:           8
        .value_kind:     global_buffer
      - .actual_access:  read_only
        .address_space:  global
        .offset:         48
        .size:           8
        .value_kind:     global_buffer
      - .offset:         56
        .size:           8
        .value_kind:     by_value
      - .address_space:  global
        .offset:         64
        .size:           8
        .value_kind:     global_buffer
      - .offset:         72
        .size:           4
        .value_kind:     by_value
      - .offset:         76
        .size:           1
        .value_kind:     by_value
      - .offset:         80
        .size:           4
        .value_kind:     hidden_block_count_x
      - .offset:         84
        .size:           4
        .value_kind:     hidden_block_count_y
      - .offset:         88
        .size:           4
        .value_kind:     hidden_block_count_z
      - .offset:         92
        .size:           2
        .value_kind:     hidden_group_size_x
      - .offset:         94
        .size:           2
        .value_kind:     hidden_group_size_y
      - .offset:         96
        .size:           2
        .value_kind:     hidden_group_size_z
      - .offset:         98
        .size:           2
        .value_kind:     hidden_remainder_x
      - .offset:         100
        .size:           2
        .value_kind:     hidden_remainder_y
      - .offset:         102
        .size:           2
        .value_kind:     hidden_remainder_z
      - .offset:         120
        .size:           8
        .value_kind:     hidden_global_offset_x
      - .offset:         128
        .size:           8
        .value_kind:     hidden_global_offset_y
      - .offset:         136
        .size:           8
        .value_kind:     hidden_global_offset_z
      - .offset:         144
        .size:           2
        .value_kind:     hidden_grid_dims
    .group_segment_fixed_size: 0
    .kernarg_segment_align: 8
    .kernarg_segment_size: 336
    .language:       OpenCL C
    .language_version:
      - 2
      - 0
    .max_flat_workgroup_size: 256
    .name:           _ZN9rocsparseL21csrmvn_general_kernelILj256ELj16EliDF16_DF16_ffEEvbT2_NS_24const_host_device_scalarIT6_EEPKT1_S7_PKS1_PKT3_PKT4_S4_PT5_21rocsparse_index_base_b
    .private_segment_fixed_size: 0
    .sgpr_count:     25
    .sgpr_spill_count: 0
    .symbol:         _ZN9rocsparseL21csrmvn_general_kernelILj256ELj16EliDF16_DF16_ffEEvbT2_NS_24const_host_device_scalarIT6_EEPKT1_S7_PKS1_PKT3_PKT4_S4_PT5_21rocsparse_index_base_b.kd
    .uniform_work_group_size: 1
    .uses_dynamic_stack: false
    .vgpr_count:     18
    .vgpr_spill_count: 0
    .wavefront_size: 32
  - .args:
      - .offset:         0
        .size:           1
        .value_kind:     by_value
      - .offset:         4
        .size:           4
        .value_kind:     by_value
      - .offset:         8
        .size:           8
        .value_kind:     by_value
      - .address_space:  global
        .offset:         16
        .size:           8
        .value_kind:     global_buffer
      - .address_space:  global
        .offset:         24
        .size:           8
        .value_kind:     global_buffer
      - .actual_access:  read_only
        .address_space:  global
        .offset:         32
        .size:           8
        .value_kind:     global_buffer
      - .actual_access:  read_only
        .address_space:  global
        .offset:         40
        .size:           8
        .value_kind:     global_buffer
      - .actual_access:  read_only
        .address_space:  global
        .offset:         48
        .size:           8
        .value_kind:     global_buffer
      - .offset:         56
        .size:           8
        .value_kind:     by_value
      - .address_space:  global
        .offset:         64
        .size:           8
        .value_kind:     global_buffer
      - .offset:         72
        .size:           4
        .value_kind:     by_value
      - .offset:         76
        .size:           1
        .value_kind:     by_value
      - .offset:         80
        .size:           4
        .value_kind:     hidden_block_count_x
      - .offset:         84
        .size:           4
        .value_kind:     hidden_block_count_y
      - .offset:         88
        .size:           4
        .value_kind:     hidden_block_count_z
      - .offset:         92
        .size:           2
        .value_kind:     hidden_group_size_x
      - .offset:         94
        .size:           2
        .value_kind:     hidden_group_size_y
      - .offset:         96
        .size:           2
        .value_kind:     hidden_group_size_z
      - .offset:         98
        .size:           2
        .value_kind:     hidden_remainder_x
      - .offset:         100
        .size:           2
        .value_kind:     hidden_remainder_y
      - .offset:         102
        .size:           2
        .value_kind:     hidden_remainder_z
      - .offset:         120
        .size:           8
        .value_kind:     hidden_global_offset_x
      - .offset:         128
        .size:           8
        .value_kind:     hidden_global_offset_y
      - .offset:         136
        .size:           8
        .value_kind:     hidden_global_offset_z
      - .offset:         144
        .size:           2
        .value_kind:     hidden_grid_dims
    .group_segment_fixed_size: 0
    .kernarg_segment_align: 8
    .kernarg_segment_size: 336
    .language:       OpenCL C
    .language_version:
      - 2
      - 0
    .max_flat_workgroup_size: 256
    .name:           _ZN9rocsparseL21csrmvn_general_kernelILj256ELj32EliDF16_DF16_ffEEvbT2_NS_24const_host_device_scalarIT6_EEPKT1_S7_PKS1_PKT3_PKT4_S4_PT5_21rocsparse_index_base_b
    .private_segment_fixed_size: 0
    .sgpr_count:     25
    .sgpr_spill_count: 0
    .symbol:         _ZN9rocsparseL21csrmvn_general_kernelILj256ELj32EliDF16_DF16_ffEEvbT2_NS_24const_host_device_scalarIT6_EEPKT1_S7_PKS1_PKT3_PKT4_S4_PT5_21rocsparse_index_base_b.kd
    .uniform_work_group_size: 1
    .uses_dynamic_stack: false
    .vgpr_count:     19
    .vgpr_spill_count: 0
    .wavefront_size: 32
  - .args:
      - .offset:         0
        .size:           1
        .value_kind:     by_value
      - .offset:         4
        .size:           4
        .value_kind:     by_value
      - .offset:         8
        .size:           8
        .value_kind:     by_value
      - .address_space:  global
        .offset:         16
        .size:           8
        .value_kind:     global_buffer
      - .address_space:  global
        .offset:         24
        .size:           8
        .value_kind:     global_buffer
      - .actual_access:  read_only
        .address_space:  global
        .offset:         32
        .size:           8
        .value_kind:     global_buffer
      - .actual_access:  read_only
        .address_space:  global
        .offset:         40
        .size:           8
        .value_kind:     global_buffer
      - .actual_access:  read_only
        .address_space:  global
        .offset:         48
        .size:           8
        .value_kind:     global_buffer
      - .offset:         56
        .size:           8
        .value_kind:     by_value
      - .address_space:  global
        .offset:         64
        .size:           8
        .value_kind:     global_buffer
      - .offset:         72
        .size:           4
        .value_kind:     by_value
      - .offset:         76
        .size:           1
        .value_kind:     by_value
      - .offset:         80
        .size:           4
        .value_kind:     hidden_block_count_x
      - .offset:         84
        .size:           4
        .value_kind:     hidden_block_count_y
      - .offset:         88
        .size:           4
        .value_kind:     hidden_block_count_z
      - .offset:         92
        .size:           2
        .value_kind:     hidden_group_size_x
      - .offset:         94
        .size:           2
        .value_kind:     hidden_group_size_y
      - .offset:         96
        .size:           2
        .value_kind:     hidden_group_size_z
      - .offset:         98
        .size:           2
        .value_kind:     hidden_remainder_x
      - .offset:         100
        .size:           2
        .value_kind:     hidden_remainder_y
      - .offset:         102
        .size:           2
        .value_kind:     hidden_remainder_z
      - .offset:         120
        .size:           8
        .value_kind:     hidden_global_offset_x
      - .offset:         128
        .size:           8
        .value_kind:     hidden_global_offset_y
      - .offset:         136
        .size:           8
        .value_kind:     hidden_global_offset_z
      - .offset:         144
        .size:           2
        .value_kind:     hidden_grid_dims
    .group_segment_fixed_size: 0
    .kernarg_segment_align: 8
    .kernarg_segment_size: 336
    .language:       OpenCL C
    .language_version:
      - 2
      - 0
    .max_flat_workgroup_size: 256
    .name:           _ZN9rocsparseL21csrmvn_general_kernelILj256ELj64EliDF16_DF16_ffEEvbT2_NS_24const_host_device_scalarIT6_EEPKT1_S7_PKS1_PKT3_PKT4_S4_PT5_21rocsparse_index_base_b
    .private_segment_fixed_size: 0
    .sgpr_count:     25
    .sgpr_spill_count: 0
    .symbol:         _ZN9rocsparseL21csrmvn_general_kernelILj256ELj64EliDF16_DF16_ffEEvbT2_NS_24const_host_device_scalarIT6_EEPKT1_S7_PKS1_PKT3_PKT4_S4_PT5_21rocsparse_index_base_b.kd
    .uniform_work_group_size: 1
    .uses_dynamic_stack: false
    .vgpr_count:     20
    .vgpr_spill_count: 0
    .wavefront_size: 32
  - .args:
      - .offset:         0
        .size:           1
        .value_kind:     by_value
      - .offset:         1
        .size:           1
        .value_kind:     by_value
      - .offset:         4
        .size:           4
        .value_kind:     by_value
      - .offset:         8
        .size:           8
        .value_kind:     by_value
      - .address_space:  global
        .offset:         16
        .size:           8
        .value_kind:     global_buffer
      - .address_space:  global
        .offset:         24
        .size:           8
        .value_kind:     global_buffer
      - .actual_access:  read_only
        .address_space:  global
        .offset:         32
        .size:           8
        .value_kind:     global_buffer
      - .actual_access:  read_only
        .address_space:  global
        .offset:         40
        .size:           8
        .value_kind:     global_buffer
      - .actual_access:  read_only
        .address_space:  global
        .offset:         48
        .size:           8
        .value_kind:     global_buffer
      - .address_space:  global
        .offset:         56
        .size:           8
        .value_kind:     global_buffer
      - .offset:         64
        .size:           4
        .value_kind:     by_value
      - .offset:         68
        .size:           1
        .value_kind:     by_value
      - .offset:         72
        .size:           4
        .value_kind:     hidden_block_count_x
      - .offset:         76
        .size:           4
        .value_kind:     hidden_block_count_y
      - .offset:         80
        .size:           4
        .value_kind:     hidden_block_count_z
      - .offset:         84
        .size:           2
        .value_kind:     hidden_group_size_x
      - .offset:         86
        .size:           2
        .value_kind:     hidden_group_size_y
      - .offset:         88
        .size:           2
        .value_kind:     hidden_group_size_z
      - .offset:         90
        .size:           2
        .value_kind:     hidden_remainder_x
      - .offset:         92
        .size:           2
        .value_kind:     hidden_remainder_y
      - .offset:         94
        .size:           2
        .value_kind:     hidden_remainder_z
      - .offset:         112
        .size:           8
        .value_kind:     hidden_global_offset_x
      - .offset:         120
        .size:           8
        .value_kind:     hidden_global_offset_y
      - .offset:         128
        .size:           8
        .value_kind:     hidden_global_offset_z
      - .offset:         136
        .size:           2
        .value_kind:     hidden_grid_dims
    .group_segment_fixed_size: 0
    .kernarg_segment_align: 8
    .kernarg_segment_size: 328
    .language:       OpenCL C
    .language_version:
      - 2
      - 0
    .max_flat_workgroup_size: 256
    .name:           _ZN9rocsparseL21csrmvt_general_kernelILj256ELj4EliDF16_DF16_ffEEvbbT2_NS_24const_host_device_scalarIT6_EEPKT1_S7_PKS1_PKT3_PKT4_PT5_21rocsparse_index_base_b
    .private_segment_fixed_size: 0
    .sgpr_count:     24
    .sgpr_spill_count: 0
    .symbol:         _ZN9rocsparseL21csrmvt_general_kernelILj256ELj4EliDF16_DF16_ffEEvbbT2_NS_24const_host_device_scalarIT6_EEPKT1_S7_PKS1_PKT3_PKT4_PT5_21rocsparse_index_base_b.kd
    .uniform_work_group_size: 1
    .uses_dynamic_stack: false
    .vgpr_count:     16
    .vgpr_spill_count: 0
    .wavefront_size: 32
  - .args:
      - .offset:         0
        .size:           1
        .value_kind:     by_value
      - .offset:         1
        .size:           1
        .value_kind:     by_value
      - .offset:         4
        .size:           4
        .value_kind:     by_value
      - .offset:         8
        .size:           8
        .value_kind:     by_value
      - .address_space:  global
        .offset:         16
        .size:           8
        .value_kind:     global_buffer
      - .address_space:  global
        .offset:         24
        .size:           8
        .value_kind:     global_buffer
      - .actual_access:  read_only
        .address_space:  global
        .offset:         32
        .size:           8
        .value_kind:     global_buffer
      - .actual_access:  read_only
        .address_space:  global
        .offset:         40
        .size:           8
        .value_kind:     global_buffer
      - .actual_access:  read_only
        .address_space:  global
        .offset:         48
        .size:           8
        .value_kind:     global_buffer
      - .address_space:  global
        .offset:         56
        .size:           8
        .value_kind:     global_buffer
      - .offset:         64
        .size:           4
        .value_kind:     by_value
      - .offset:         68
        .size:           1
        .value_kind:     by_value
      - .offset:         72
        .size:           4
        .value_kind:     hidden_block_count_x
      - .offset:         76
        .size:           4
        .value_kind:     hidden_block_count_y
      - .offset:         80
        .size:           4
        .value_kind:     hidden_block_count_z
      - .offset:         84
        .size:           2
        .value_kind:     hidden_group_size_x
      - .offset:         86
        .size:           2
        .value_kind:     hidden_group_size_y
      - .offset:         88
        .size:           2
        .value_kind:     hidden_group_size_z
      - .offset:         90
        .size:           2
        .value_kind:     hidden_remainder_x
      - .offset:         92
        .size:           2
        .value_kind:     hidden_remainder_y
      - .offset:         94
        .size:           2
        .value_kind:     hidden_remainder_z
      - .offset:         112
        .size:           8
        .value_kind:     hidden_global_offset_x
      - .offset:         120
        .size:           8
        .value_kind:     hidden_global_offset_y
      - .offset:         128
        .size:           8
        .value_kind:     hidden_global_offset_z
      - .offset:         136
        .size:           2
        .value_kind:     hidden_grid_dims
    .group_segment_fixed_size: 0
    .kernarg_segment_align: 8
    .kernarg_segment_size: 328
    .language:       OpenCL C
    .language_version:
      - 2
      - 0
    .max_flat_workgroup_size: 256
    .name:           _ZN9rocsparseL21csrmvt_general_kernelILj256ELj8EliDF16_DF16_ffEEvbbT2_NS_24const_host_device_scalarIT6_EEPKT1_S7_PKS1_PKT3_PKT4_PT5_21rocsparse_index_base_b
    .private_segment_fixed_size: 0
    .sgpr_count:     24
    .sgpr_spill_count: 0
    .symbol:         _ZN9rocsparseL21csrmvt_general_kernelILj256ELj8EliDF16_DF16_ffEEvbbT2_NS_24const_host_device_scalarIT6_EEPKT1_S7_PKS1_PKT3_PKT4_PT5_21rocsparse_index_base_b.kd
    .uniform_work_group_size: 1
    .uses_dynamic_stack: false
    .vgpr_count:     16
    .vgpr_spill_count: 0
    .wavefront_size: 32
  - .args:
      - .offset:         0
        .size:           1
        .value_kind:     by_value
      - .offset:         1
        .size:           1
        .value_kind:     by_value
      - .offset:         4
        .size:           4
        .value_kind:     by_value
      - .offset:         8
        .size:           8
        .value_kind:     by_value
      - .address_space:  global
        .offset:         16
        .size:           8
        .value_kind:     global_buffer
      - .address_space:  global
        .offset:         24
        .size:           8
        .value_kind:     global_buffer
      - .actual_access:  read_only
        .address_space:  global
        .offset:         32
        .size:           8
        .value_kind:     global_buffer
      - .actual_access:  read_only
        .address_space:  global
        .offset:         40
        .size:           8
        .value_kind:     global_buffer
      - .actual_access:  read_only
        .address_space:  global
        .offset:         48
        .size:           8
        .value_kind:     global_buffer
      - .address_space:  global
        .offset:         56
        .size:           8
        .value_kind:     global_buffer
      - .offset:         64
        .size:           4
        .value_kind:     by_value
      - .offset:         68
        .size:           1
        .value_kind:     by_value
      - .offset:         72
        .size:           4
        .value_kind:     hidden_block_count_x
      - .offset:         76
        .size:           4
        .value_kind:     hidden_block_count_y
      - .offset:         80
        .size:           4
        .value_kind:     hidden_block_count_z
      - .offset:         84
        .size:           2
        .value_kind:     hidden_group_size_x
      - .offset:         86
        .size:           2
        .value_kind:     hidden_group_size_y
      - .offset:         88
        .size:           2
        .value_kind:     hidden_group_size_z
      - .offset:         90
        .size:           2
        .value_kind:     hidden_remainder_x
      - .offset:         92
        .size:           2
        .value_kind:     hidden_remainder_y
      - .offset:         94
        .size:           2
        .value_kind:     hidden_remainder_z
      - .offset:         112
        .size:           8
        .value_kind:     hidden_global_offset_x
      - .offset:         120
        .size:           8
        .value_kind:     hidden_global_offset_y
      - .offset:         128
        .size:           8
        .value_kind:     hidden_global_offset_z
      - .offset:         136
        .size:           2
        .value_kind:     hidden_grid_dims
    .group_segment_fixed_size: 0
    .kernarg_segment_align: 8
    .kernarg_segment_size: 328
    .language:       OpenCL C
    .language_version:
      - 2
      - 0
    .max_flat_workgroup_size: 256
    .name:           _ZN9rocsparseL21csrmvt_general_kernelILj256ELj16EliDF16_DF16_ffEEvbbT2_NS_24const_host_device_scalarIT6_EEPKT1_S7_PKS1_PKT3_PKT4_PT5_21rocsparse_index_base_b
    .private_segment_fixed_size: 0
    .sgpr_count:     24
    .sgpr_spill_count: 0
    .symbol:         _ZN9rocsparseL21csrmvt_general_kernelILj256ELj16EliDF16_DF16_ffEEvbbT2_NS_24const_host_device_scalarIT6_EEPKT1_S7_PKS1_PKT3_PKT4_PT5_21rocsparse_index_base_b.kd
    .uniform_work_group_size: 1
    .uses_dynamic_stack: false
    .vgpr_count:     16
    .vgpr_spill_count: 0
    .wavefront_size: 32
  - .args:
      - .offset:         0
        .size:           1
        .value_kind:     by_value
      - .offset:         1
        .size:           1
        .value_kind:     by_value
      - .offset:         4
        .size:           4
        .value_kind:     by_value
      - .offset:         8
        .size:           8
        .value_kind:     by_value
      - .address_space:  global
        .offset:         16
        .size:           8
        .value_kind:     global_buffer
      - .address_space:  global
        .offset:         24
        .size:           8
        .value_kind:     global_buffer
      - .actual_access:  read_only
        .address_space:  global
        .offset:         32
        .size:           8
        .value_kind:     global_buffer
      - .actual_access:  read_only
        .address_space:  global
        .offset:         40
        .size:           8
        .value_kind:     global_buffer
      - .actual_access:  read_only
        .address_space:  global
        .offset:         48
        .size:           8
        .value_kind:     global_buffer
      - .address_space:  global
        .offset:         56
        .size:           8
        .value_kind:     global_buffer
      - .offset:         64
        .size:           4
        .value_kind:     by_value
      - .offset:         68
        .size:           1
        .value_kind:     by_value
      - .offset:         72
        .size:           4
        .value_kind:     hidden_block_count_x
      - .offset:         76
        .size:           4
        .value_kind:     hidden_block_count_y
      - .offset:         80
        .size:           4
        .value_kind:     hidden_block_count_z
      - .offset:         84
        .size:           2
        .value_kind:     hidden_group_size_x
      - .offset:         86
        .size:           2
        .value_kind:     hidden_group_size_y
      - .offset:         88
        .size:           2
        .value_kind:     hidden_group_size_z
      - .offset:         90
        .size:           2
        .value_kind:     hidden_remainder_x
      - .offset:         92
        .size:           2
        .value_kind:     hidden_remainder_y
      - .offset:         94
        .size:           2
        .value_kind:     hidden_remainder_z
      - .offset:         112
        .size:           8
        .value_kind:     hidden_global_offset_x
      - .offset:         120
        .size:           8
        .value_kind:     hidden_global_offset_y
      - .offset:         128
        .size:           8
        .value_kind:     hidden_global_offset_z
      - .offset:         136
        .size:           2
        .value_kind:     hidden_grid_dims
    .group_segment_fixed_size: 0
    .kernarg_segment_align: 8
    .kernarg_segment_size: 328
    .language:       OpenCL C
    .language_version:
      - 2
      - 0
    .max_flat_workgroup_size: 256
    .name:           _ZN9rocsparseL21csrmvt_general_kernelILj256ELj32EliDF16_DF16_ffEEvbbT2_NS_24const_host_device_scalarIT6_EEPKT1_S7_PKS1_PKT3_PKT4_PT5_21rocsparse_index_base_b
    .private_segment_fixed_size: 0
    .sgpr_count:     24
    .sgpr_spill_count: 0
    .symbol:         _ZN9rocsparseL21csrmvt_general_kernelILj256ELj32EliDF16_DF16_ffEEvbbT2_NS_24const_host_device_scalarIT6_EEPKT1_S7_PKS1_PKT3_PKT4_PT5_21rocsparse_index_base_b.kd
    .uniform_work_group_size: 1
    .uses_dynamic_stack: false
    .vgpr_count:     16
    .vgpr_spill_count: 0
    .wavefront_size: 32
  - .args:
      - .offset:         0
        .size:           1
        .value_kind:     by_value
      - .offset:         1
        .size:           1
        .value_kind:     by_value
      - .offset:         4
        .size:           4
        .value_kind:     by_value
      - .offset:         8
        .size:           8
        .value_kind:     by_value
      - .address_space:  global
        .offset:         16
        .size:           8
        .value_kind:     global_buffer
      - .address_space:  global
        .offset:         24
        .size:           8
        .value_kind:     global_buffer
      - .actual_access:  read_only
        .address_space:  global
        .offset:         32
        .size:           8
        .value_kind:     global_buffer
      - .actual_access:  read_only
        .address_space:  global
        .offset:         40
        .size:           8
        .value_kind:     global_buffer
      - .actual_access:  read_only
        .address_space:  global
        .offset:         48
        .size:           8
        .value_kind:     global_buffer
      - .address_space:  global
        .offset:         56
        .size:           8
        .value_kind:     global_buffer
      - .offset:         64
        .size:           4
        .value_kind:     by_value
      - .offset:         68
        .size:           1
        .value_kind:     by_value
      - .offset:         72
        .size:           4
        .value_kind:     hidden_block_count_x
      - .offset:         76
        .size:           4
        .value_kind:     hidden_block_count_y
      - .offset:         80
        .size:           4
        .value_kind:     hidden_block_count_z
      - .offset:         84
        .size:           2
        .value_kind:     hidden_group_size_x
      - .offset:         86
        .size:           2
        .value_kind:     hidden_group_size_y
      - .offset:         88
        .size:           2
        .value_kind:     hidden_group_size_z
      - .offset:         90
        .size:           2
        .value_kind:     hidden_remainder_x
      - .offset:         92
        .size:           2
        .value_kind:     hidden_remainder_y
      - .offset:         94
        .size:           2
        .value_kind:     hidden_remainder_z
      - .offset:         112
        .size:           8
        .value_kind:     hidden_global_offset_x
      - .offset:         120
        .size:           8
        .value_kind:     hidden_global_offset_y
      - .offset:         128
        .size:           8
        .value_kind:     hidden_global_offset_z
      - .offset:         136
        .size:           2
        .value_kind:     hidden_grid_dims
    .group_segment_fixed_size: 0
    .kernarg_segment_align: 8
    .kernarg_segment_size: 328
    .language:       OpenCL C
    .language_version:
      - 2
      - 0
    .max_flat_workgroup_size: 256
    .name:           _ZN9rocsparseL21csrmvt_general_kernelILj256ELj64EliDF16_DF16_ffEEvbbT2_NS_24const_host_device_scalarIT6_EEPKT1_S7_PKS1_PKT3_PKT4_PT5_21rocsparse_index_base_b
    .private_segment_fixed_size: 0
    .sgpr_count:     24
    .sgpr_spill_count: 0
    .symbol:         _ZN9rocsparseL21csrmvt_general_kernelILj256ELj64EliDF16_DF16_ffEEvbbT2_NS_24const_host_device_scalarIT6_EEPKT1_S7_PKS1_PKT3_PKT4_PT5_21rocsparse_index_base_b.kd
    .uniform_work_group_size: 1
    .uses_dynamic_stack: false
    .vgpr_count:     16
    .vgpr_spill_count: 0
    .wavefront_size: 32
  - .args:
      - .offset:         0
        .size:           1
        .value_kind:     by_value
      - .offset:         8
        .size:           8
        .value_kind:     by_value
      - .offset:         16
        .size:           8
        .value_kind:     by_value
      - .address_space:  global
        .offset:         24
        .size:           8
        .value_kind:     global_buffer
      - .address_space:  global
        .offset:         32
        .size:           8
        .value_kind:     global_buffer
      - .actual_access:  read_only
        .address_space:  global
        .offset:         40
        .size:           8
        .value_kind:     global_buffer
      - .actual_access:  read_only
        .address_space:  global
        .offset:         48
        .size:           8
        .value_kind:     global_buffer
      - .actual_access:  read_only
        .address_space:  global
        .offset:         56
        .size:           8
        .value_kind:     global_buffer
      - .offset:         64
        .size:           8
        .value_kind:     by_value
      - .address_space:  global
        .offset:         72
        .size:           8
        .value_kind:     global_buffer
      - .offset:         80
        .size:           4
        .value_kind:     by_value
      - .offset:         84
        .size:           1
        .value_kind:     by_value
      - .offset:         88
        .size:           4
        .value_kind:     hidden_block_count_x
      - .offset:         92
        .size:           4
        .value_kind:     hidden_block_count_y
      - .offset:         96
        .size:           4
        .value_kind:     hidden_block_count_z
      - .offset:         100
        .size:           2
        .value_kind:     hidden_group_size_x
      - .offset:         102
        .size:           2
        .value_kind:     hidden_group_size_y
      - .offset:         104
        .size:           2
        .value_kind:     hidden_group_size_z
      - .offset:         106
        .size:           2
        .value_kind:     hidden_remainder_x
      - .offset:         108
        .size:           2
        .value_kind:     hidden_remainder_y
      - .offset:         110
        .size:           2
        .value_kind:     hidden_remainder_z
      - .offset:         128
        .size:           8
        .value_kind:     hidden_global_offset_x
      - .offset:         136
        .size:           8
        .value_kind:     hidden_global_offset_y
      - .offset:         144
        .size:           8
        .value_kind:     hidden_global_offset_z
      - .offset:         152
        .size:           2
        .value_kind:     hidden_grid_dims
    .group_segment_fixed_size: 0
    .kernarg_segment_align: 8
    .kernarg_segment_size: 344
    .language:       OpenCL C
    .language_version:
      - 2
      - 0
    .max_flat_workgroup_size: 256
    .name:           _ZN9rocsparseL21csrmvn_general_kernelILj256ELj2EllDF16_DF16_ffEEvbT2_NS_24const_host_device_scalarIT6_EEPKT1_S7_PKS1_PKT3_PKT4_S4_PT5_21rocsparse_index_base_b
    .private_segment_fixed_size: 0
    .sgpr_count:     28
    .sgpr_spill_count: 0
    .symbol:         _ZN9rocsparseL21csrmvn_general_kernelILj256ELj2EllDF16_DF16_ffEEvbT2_NS_24const_host_device_scalarIT6_EEPKT1_S7_PKS1_PKT3_PKT4_S4_PT5_21rocsparse_index_base_b.kd
    .uniform_work_group_size: 1
    .uses_dynamic_stack: false
    .vgpr_count:     17
    .vgpr_spill_count: 0
    .wavefront_size: 32
  - .args:
      - .offset:         0
        .size:           1
        .value_kind:     by_value
      - .offset:         8
        .size:           8
        .value_kind:     by_value
      - .offset:         16
        .size:           8
        .value_kind:     by_value
      - .address_space:  global
        .offset:         24
        .size:           8
        .value_kind:     global_buffer
      - .address_space:  global
        .offset:         32
        .size:           8
        .value_kind:     global_buffer
      - .actual_access:  read_only
        .address_space:  global
        .offset:         40
        .size:           8
        .value_kind:     global_buffer
      - .actual_access:  read_only
        .address_space:  global
        .offset:         48
        .size:           8
        .value_kind:     global_buffer
      - .actual_access:  read_only
        .address_space:  global
        .offset:         56
        .size:           8
        .value_kind:     global_buffer
      - .offset:         64
        .size:           8
        .value_kind:     by_value
      - .address_space:  global
        .offset:         72
        .size:           8
        .value_kind:     global_buffer
      - .offset:         80
        .size:           4
        .value_kind:     by_value
      - .offset:         84
        .size:           1
        .value_kind:     by_value
      - .offset:         88
        .size:           4
        .value_kind:     hidden_block_count_x
      - .offset:         92
        .size:           4
        .value_kind:     hidden_block_count_y
      - .offset:         96
        .size:           4
        .value_kind:     hidden_block_count_z
      - .offset:         100
        .size:           2
        .value_kind:     hidden_group_size_x
      - .offset:         102
        .size:           2
        .value_kind:     hidden_group_size_y
      - .offset:         104
        .size:           2
        .value_kind:     hidden_group_size_z
      - .offset:         106
        .size:           2
        .value_kind:     hidden_remainder_x
      - .offset:         108
        .size:           2
        .value_kind:     hidden_remainder_y
      - .offset:         110
        .size:           2
        .value_kind:     hidden_remainder_z
      - .offset:         128
        .size:           8
        .value_kind:     hidden_global_offset_x
      - .offset:         136
        .size:           8
        .value_kind:     hidden_global_offset_y
      - .offset:         144
        .size:           8
        .value_kind:     hidden_global_offset_z
      - .offset:         152
        .size:           2
        .value_kind:     hidden_grid_dims
    .group_segment_fixed_size: 0
    .kernarg_segment_align: 8
    .kernarg_segment_size: 344
    .language:       OpenCL C
    .language_version:
      - 2
      - 0
    .max_flat_workgroup_size: 256
    .name:           _ZN9rocsparseL21csrmvn_general_kernelILj256ELj4EllDF16_DF16_ffEEvbT2_NS_24const_host_device_scalarIT6_EEPKT1_S7_PKS1_PKT3_PKT4_S4_PT5_21rocsparse_index_base_b
    .private_segment_fixed_size: 0
    .sgpr_count:     28
    .sgpr_spill_count: 0
    .symbol:         _ZN9rocsparseL21csrmvn_general_kernelILj256ELj4EllDF16_DF16_ffEEvbT2_NS_24const_host_device_scalarIT6_EEPKT1_S7_PKS1_PKT3_PKT4_S4_PT5_21rocsparse_index_base_b.kd
    .uniform_work_group_size: 1
    .uses_dynamic_stack: false
    .vgpr_count:     18
    .vgpr_spill_count: 0
    .wavefront_size: 32
  - .args:
      - .offset:         0
        .size:           1
        .value_kind:     by_value
      - .offset:         8
        .size:           8
        .value_kind:     by_value
      - .offset:         16
        .size:           8
        .value_kind:     by_value
      - .address_space:  global
        .offset:         24
        .size:           8
        .value_kind:     global_buffer
      - .address_space:  global
        .offset:         32
        .size:           8
        .value_kind:     global_buffer
      - .actual_access:  read_only
        .address_space:  global
        .offset:         40
        .size:           8
        .value_kind:     global_buffer
      - .actual_access:  read_only
        .address_space:  global
        .offset:         48
        .size:           8
        .value_kind:     global_buffer
      - .actual_access:  read_only
        .address_space:  global
        .offset:         56
        .size:           8
        .value_kind:     global_buffer
      - .offset:         64
        .size:           8
        .value_kind:     by_value
      - .address_space:  global
        .offset:         72
        .size:           8
        .value_kind:     global_buffer
      - .offset:         80
        .size:           4
        .value_kind:     by_value
      - .offset:         84
        .size:           1
        .value_kind:     by_value
      - .offset:         88
        .size:           4
        .value_kind:     hidden_block_count_x
      - .offset:         92
        .size:           4
        .value_kind:     hidden_block_count_y
      - .offset:         96
        .size:           4
        .value_kind:     hidden_block_count_z
      - .offset:         100
        .size:           2
        .value_kind:     hidden_group_size_x
      - .offset:         102
        .size:           2
        .value_kind:     hidden_group_size_y
      - .offset:         104
        .size:           2
        .value_kind:     hidden_group_size_z
      - .offset:         106
        .size:           2
        .value_kind:     hidden_remainder_x
      - .offset:         108
        .size:           2
        .value_kind:     hidden_remainder_y
      - .offset:         110
        .size:           2
        .value_kind:     hidden_remainder_z
      - .offset:         128
        .size:           8
        .value_kind:     hidden_global_offset_x
      - .offset:         136
        .size:           8
        .value_kind:     hidden_global_offset_y
      - .offset:         144
        .size:           8
        .value_kind:     hidden_global_offset_z
      - .offset:         152
        .size:           2
        .value_kind:     hidden_grid_dims
    .group_segment_fixed_size: 0
    .kernarg_segment_align: 8
    .kernarg_segment_size: 344
    .language:       OpenCL C
    .language_version:
      - 2
      - 0
    .max_flat_workgroup_size: 256
    .name:           _ZN9rocsparseL21csrmvn_general_kernelILj256ELj8EllDF16_DF16_ffEEvbT2_NS_24const_host_device_scalarIT6_EEPKT1_S7_PKS1_PKT3_PKT4_S4_PT5_21rocsparse_index_base_b
    .private_segment_fixed_size: 0
    .sgpr_count:     28
    .sgpr_spill_count: 0
    .symbol:         _ZN9rocsparseL21csrmvn_general_kernelILj256ELj8EllDF16_DF16_ffEEvbT2_NS_24const_host_device_scalarIT6_EEPKT1_S7_PKS1_PKT3_PKT4_S4_PT5_21rocsparse_index_base_b.kd
    .uniform_work_group_size: 1
    .uses_dynamic_stack: false
    .vgpr_count:     19
    .vgpr_spill_count: 0
    .wavefront_size: 32
  - .args:
      - .offset:         0
        .size:           1
        .value_kind:     by_value
      - .offset:         8
        .size:           8
        .value_kind:     by_value
      - .offset:         16
        .size:           8
        .value_kind:     by_value
      - .address_space:  global
        .offset:         24
        .size:           8
        .value_kind:     global_buffer
      - .address_space:  global
        .offset:         32
        .size:           8
        .value_kind:     global_buffer
      - .actual_access:  read_only
        .address_space:  global
        .offset:         40
        .size:           8
        .value_kind:     global_buffer
      - .actual_access:  read_only
        .address_space:  global
        .offset:         48
        .size:           8
        .value_kind:     global_buffer
      - .actual_access:  read_only
        .address_space:  global
        .offset:         56
        .size:           8
        .value_kind:     global_buffer
      - .offset:         64
        .size:           8
        .value_kind:     by_value
      - .address_space:  global
        .offset:         72
        .size:           8
        .value_kind:     global_buffer
      - .offset:         80
        .size:           4
        .value_kind:     by_value
      - .offset:         84
        .size:           1
        .value_kind:     by_value
      - .offset:         88
        .size:           4
        .value_kind:     hidden_block_count_x
      - .offset:         92
        .size:           4
        .value_kind:     hidden_block_count_y
      - .offset:         96
        .size:           4
        .value_kind:     hidden_block_count_z
      - .offset:         100
        .size:           2
        .value_kind:     hidden_group_size_x
      - .offset:         102
        .size:           2
        .value_kind:     hidden_group_size_y
      - .offset:         104
        .size:           2
        .value_kind:     hidden_group_size_z
      - .offset:         106
        .size:           2
        .value_kind:     hidden_remainder_x
      - .offset:         108
        .size:           2
        .value_kind:     hidden_remainder_y
      - .offset:         110
        .size:           2
        .value_kind:     hidden_remainder_z
      - .offset:         128
        .size:           8
        .value_kind:     hidden_global_offset_x
      - .offset:         136
        .size:           8
        .value_kind:     hidden_global_offset_y
      - .offset:         144
        .size:           8
        .value_kind:     hidden_global_offset_z
      - .offset:         152
        .size:           2
        .value_kind:     hidden_grid_dims
    .group_segment_fixed_size: 0
    .kernarg_segment_align: 8
    .kernarg_segment_size: 344
    .language:       OpenCL C
    .language_version:
      - 2
      - 0
    .max_flat_workgroup_size: 256
    .name:           _ZN9rocsparseL21csrmvn_general_kernelILj256ELj16EllDF16_DF16_ffEEvbT2_NS_24const_host_device_scalarIT6_EEPKT1_S7_PKS1_PKT3_PKT4_S4_PT5_21rocsparse_index_base_b
    .private_segment_fixed_size: 0
    .sgpr_count:     28
    .sgpr_spill_count: 0
    .symbol:         _ZN9rocsparseL21csrmvn_general_kernelILj256ELj16EllDF16_DF16_ffEEvbT2_NS_24const_host_device_scalarIT6_EEPKT1_S7_PKS1_PKT3_PKT4_S4_PT5_21rocsparse_index_base_b.kd
    .uniform_work_group_size: 1
    .uses_dynamic_stack: false
    .vgpr_count:     20
    .vgpr_spill_count: 0
    .wavefront_size: 32
  - .args:
      - .offset:         0
        .size:           1
        .value_kind:     by_value
      - .offset:         8
        .size:           8
        .value_kind:     by_value
      - .offset:         16
        .size:           8
        .value_kind:     by_value
      - .address_space:  global
        .offset:         24
        .size:           8
        .value_kind:     global_buffer
      - .address_space:  global
        .offset:         32
        .size:           8
        .value_kind:     global_buffer
      - .actual_access:  read_only
        .address_space:  global
        .offset:         40
        .size:           8
        .value_kind:     global_buffer
      - .actual_access:  read_only
        .address_space:  global
        .offset:         48
        .size:           8
        .value_kind:     global_buffer
      - .actual_access:  read_only
        .address_space:  global
        .offset:         56
        .size:           8
        .value_kind:     global_buffer
      - .offset:         64
        .size:           8
        .value_kind:     by_value
      - .address_space:  global
        .offset:         72
        .size:           8
        .value_kind:     global_buffer
      - .offset:         80
        .size:           4
        .value_kind:     by_value
      - .offset:         84
        .size:           1
        .value_kind:     by_value
      - .offset:         88
        .size:           4
        .value_kind:     hidden_block_count_x
      - .offset:         92
        .size:           4
        .value_kind:     hidden_block_count_y
      - .offset:         96
        .size:           4
        .value_kind:     hidden_block_count_z
      - .offset:         100
        .size:           2
        .value_kind:     hidden_group_size_x
      - .offset:         102
        .size:           2
        .value_kind:     hidden_group_size_y
      - .offset:         104
        .size:           2
        .value_kind:     hidden_group_size_z
      - .offset:         106
        .size:           2
        .value_kind:     hidden_remainder_x
      - .offset:         108
        .size:           2
        .value_kind:     hidden_remainder_y
      - .offset:         110
        .size:           2
        .value_kind:     hidden_remainder_z
      - .offset:         128
        .size:           8
        .value_kind:     hidden_global_offset_x
      - .offset:         136
        .size:           8
        .value_kind:     hidden_global_offset_y
      - .offset:         144
        .size:           8
        .value_kind:     hidden_global_offset_z
      - .offset:         152
        .size:           2
        .value_kind:     hidden_grid_dims
    .group_segment_fixed_size: 0
    .kernarg_segment_align: 8
    .kernarg_segment_size: 344
    .language:       OpenCL C
    .language_version:
      - 2
      - 0
    .max_flat_workgroup_size: 256
    .name:           _ZN9rocsparseL21csrmvn_general_kernelILj256ELj32EllDF16_DF16_ffEEvbT2_NS_24const_host_device_scalarIT6_EEPKT1_S7_PKS1_PKT3_PKT4_S4_PT5_21rocsparse_index_base_b
    .private_segment_fixed_size: 0
    .sgpr_count:     28
    .sgpr_spill_count: 0
    .symbol:         _ZN9rocsparseL21csrmvn_general_kernelILj256ELj32EllDF16_DF16_ffEEvbT2_NS_24const_host_device_scalarIT6_EEPKT1_S7_PKS1_PKT3_PKT4_S4_PT5_21rocsparse_index_base_b.kd
    .uniform_work_group_size: 1
    .uses_dynamic_stack: false
    .vgpr_count:     21
    .vgpr_spill_count: 0
    .wavefront_size: 32
  - .args:
      - .offset:         0
        .size:           1
        .value_kind:     by_value
      - .offset:         8
        .size:           8
        .value_kind:     by_value
      - .offset:         16
        .size:           8
        .value_kind:     by_value
      - .address_space:  global
        .offset:         24
        .size:           8
        .value_kind:     global_buffer
      - .address_space:  global
        .offset:         32
        .size:           8
        .value_kind:     global_buffer
      - .actual_access:  read_only
        .address_space:  global
        .offset:         40
        .size:           8
        .value_kind:     global_buffer
      - .actual_access:  read_only
        .address_space:  global
        .offset:         48
        .size:           8
        .value_kind:     global_buffer
      - .actual_access:  read_only
        .address_space:  global
        .offset:         56
        .size:           8
        .value_kind:     global_buffer
      - .offset:         64
        .size:           8
        .value_kind:     by_value
      - .address_space:  global
        .offset:         72
        .size:           8
        .value_kind:     global_buffer
      - .offset:         80
        .size:           4
        .value_kind:     by_value
      - .offset:         84
        .size:           1
        .value_kind:     by_value
      - .offset:         88
        .size:           4
        .value_kind:     hidden_block_count_x
      - .offset:         92
        .size:           4
        .value_kind:     hidden_block_count_y
      - .offset:         96
        .size:           4
        .value_kind:     hidden_block_count_z
      - .offset:         100
        .size:           2
        .value_kind:     hidden_group_size_x
      - .offset:         102
        .size:           2
        .value_kind:     hidden_group_size_y
      - .offset:         104
        .size:           2
        .value_kind:     hidden_group_size_z
      - .offset:         106
        .size:           2
        .value_kind:     hidden_remainder_x
      - .offset:         108
        .size:           2
        .value_kind:     hidden_remainder_y
      - .offset:         110
        .size:           2
        .value_kind:     hidden_remainder_z
      - .offset:         128
        .size:           8
        .value_kind:     hidden_global_offset_x
      - .offset:         136
        .size:           8
        .value_kind:     hidden_global_offset_y
      - .offset:         144
        .size:           8
        .value_kind:     hidden_global_offset_z
      - .offset:         152
        .size:           2
        .value_kind:     hidden_grid_dims
    .group_segment_fixed_size: 0
    .kernarg_segment_align: 8
    .kernarg_segment_size: 344
    .language:       OpenCL C
    .language_version:
      - 2
      - 0
    .max_flat_workgroup_size: 256
    .name:           _ZN9rocsparseL21csrmvn_general_kernelILj256ELj64EllDF16_DF16_ffEEvbT2_NS_24const_host_device_scalarIT6_EEPKT1_S7_PKS1_PKT3_PKT4_S4_PT5_21rocsparse_index_base_b
    .private_segment_fixed_size: 0
    .sgpr_count:     28
    .sgpr_spill_count: 0
    .symbol:         _ZN9rocsparseL21csrmvn_general_kernelILj256ELj64EllDF16_DF16_ffEEvbT2_NS_24const_host_device_scalarIT6_EEPKT1_S7_PKS1_PKT3_PKT4_S4_PT5_21rocsparse_index_base_b.kd
    .uniform_work_group_size: 1
    .uses_dynamic_stack: false
    .vgpr_count:     22
    .vgpr_spill_count: 0
    .wavefront_size: 32
  - .args:
      - .offset:         0
        .size:           1
        .value_kind:     by_value
      - .offset:         1
        .size:           1
        .value_kind:     by_value
      - .offset:         8
        .size:           8
        .value_kind:     by_value
      - .offset:         16
        .size:           8
        .value_kind:     by_value
      - .address_space:  global
        .offset:         24
        .size:           8
        .value_kind:     global_buffer
      - .address_space:  global
        .offset:         32
        .size:           8
        .value_kind:     global_buffer
      - .actual_access:  read_only
        .address_space:  global
        .offset:         40
        .size:           8
        .value_kind:     global_buffer
      - .actual_access:  read_only
        .address_space:  global
        .offset:         48
        .size:           8
        .value_kind:     global_buffer
      - .actual_access:  read_only
        .address_space:  global
        .offset:         56
        .size:           8
        .value_kind:     global_buffer
      - .address_space:  global
        .offset:         64
        .size:           8
        .value_kind:     global_buffer
      - .offset:         72
        .size:           4
        .value_kind:     by_value
      - .offset:         76
        .size:           1
        .value_kind:     by_value
      - .offset:         80
        .size:           4
        .value_kind:     hidden_block_count_x
      - .offset:         84
        .size:           4
        .value_kind:     hidden_block_count_y
      - .offset:         88
        .size:           4
        .value_kind:     hidden_block_count_z
      - .offset:         92
        .size:           2
        .value_kind:     hidden_group_size_x
      - .offset:         94
        .size:           2
        .value_kind:     hidden_group_size_y
      - .offset:         96
        .size:           2
        .value_kind:     hidden_group_size_z
      - .offset:         98
        .size:           2
        .value_kind:     hidden_remainder_x
      - .offset:         100
        .size:           2
        .value_kind:     hidden_remainder_y
      - .offset:         102
        .size:           2
        .value_kind:     hidden_remainder_z
      - .offset:         120
        .size:           8
        .value_kind:     hidden_global_offset_x
      - .offset:         128
        .size:           8
        .value_kind:     hidden_global_offset_y
      - .offset:         136
        .size:           8
        .value_kind:     hidden_global_offset_z
      - .offset:         144
        .size:           2
        .value_kind:     hidden_grid_dims
    .group_segment_fixed_size: 0
    .kernarg_segment_align: 8
    .kernarg_segment_size: 336
    .language:       OpenCL C
    .language_version:
      - 2
      - 0
    .max_flat_workgroup_size: 256
    .name:           _ZN9rocsparseL21csrmvt_general_kernelILj256ELj4EllDF16_DF16_ffEEvbbT2_NS_24const_host_device_scalarIT6_EEPKT1_S7_PKS1_PKT3_PKT4_PT5_21rocsparse_index_base_b
    .private_segment_fixed_size: 0
    .sgpr_count:     26
    .sgpr_spill_count: 0
    .symbol:         _ZN9rocsparseL21csrmvt_general_kernelILj256ELj4EllDF16_DF16_ffEEvbbT2_NS_24const_host_device_scalarIT6_EEPKT1_S7_PKS1_PKT3_PKT4_PT5_21rocsparse_index_base_b.kd
    .uniform_work_group_size: 1
    .uses_dynamic_stack: false
    .vgpr_count:     19
    .vgpr_spill_count: 0
    .wavefront_size: 32
  - .args:
      - .offset:         0
        .size:           1
        .value_kind:     by_value
      - .offset:         1
        .size:           1
        .value_kind:     by_value
      - .offset:         8
        .size:           8
        .value_kind:     by_value
      - .offset:         16
        .size:           8
        .value_kind:     by_value
      - .address_space:  global
        .offset:         24
        .size:           8
        .value_kind:     global_buffer
      - .address_space:  global
        .offset:         32
        .size:           8
        .value_kind:     global_buffer
      - .actual_access:  read_only
        .address_space:  global
        .offset:         40
        .size:           8
        .value_kind:     global_buffer
      - .actual_access:  read_only
        .address_space:  global
        .offset:         48
        .size:           8
        .value_kind:     global_buffer
      - .actual_access:  read_only
        .address_space:  global
        .offset:         56
        .size:           8
        .value_kind:     global_buffer
      - .address_space:  global
        .offset:         64
        .size:           8
        .value_kind:     global_buffer
      - .offset:         72
        .size:           4
        .value_kind:     by_value
      - .offset:         76
        .size:           1
        .value_kind:     by_value
      - .offset:         80
        .size:           4
        .value_kind:     hidden_block_count_x
      - .offset:         84
        .size:           4
        .value_kind:     hidden_block_count_y
      - .offset:         88
        .size:           4
        .value_kind:     hidden_block_count_z
      - .offset:         92
        .size:           2
        .value_kind:     hidden_group_size_x
      - .offset:         94
        .size:           2
        .value_kind:     hidden_group_size_y
      - .offset:         96
        .size:           2
        .value_kind:     hidden_group_size_z
      - .offset:         98
        .size:           2
        .value_kind:     hidden_remainder_x
      - .offset:         100
        .size:           2
        .value_kind:     hidden_remainder_y
      - .offset:         102
        .size:           2
        .value_kind:     hidden_remainder_z
      - .offset:         120
        .size:           8
        .value_kind:     hidden_global_offset_x
      - .offset:         128
        .size:           8
        .value_kind:     hidden_global_offset_y
      - .offset:         136
        .size:           8
        .value_kind:     hidden_global_offset_z
      - .offset:         144
        .size:           2
        .value_kind:     hidden_grid_dims
    .group_segment_fixed_size: 0
    .kernarg_segment_align: 8
    .kernarg_segment_size: 336
    .language:       OpenCL C
    .language_version:
      - 2
      - 0
    .max_flat_workgroup_size: 256
    .name:           _ZN9rocsparseL21csrmvt_general_kernelILj256ELj8EllDF16_DF16_ffEEvbbT2_NS_24const_host_device_scalarIT6_EEPKT1_S7_PKS1_PKT3_PKT4_PT5_21rocsparse_index_base_b
    .private_segment_fixed_size: 0
    .sgpr_count:     26
    .sgpr_spill_count: 0
    .symbol:         _ZN9rocsparseL21csrmvt_general_kernelILj256ELj8EllDF16_DF16_ffEEvbbT2_NS_24const_host_device_scalarIT6_EEPKT1_S7_PKS1_PKT3_PKT4_PT5_21rocsparse_index_base_b.kd
    .uniform_work_group_size: 1
    .uses_dynamic_stack: false
    .vgpr_count:     19
    .vgpr_spill_count: 0
    .wavefront_size: 32
  - .args:
      - .offset:         0
        .size:           1
        .value_kind:     by_value
      - .offset:         1
        .size:           1
        .value_kind:     by_value
      - .offset:         8
        .size:           8
        .value_kind:     by_value
      - .offset:         16
        .size:           8
        .value_kind:     by_value
      - .address_space:  global
        .offset:         24
        .size:           8
        .value_kind:     global_buffer
      - .address_space:  global
        .offset:         32
        .size:           8
        .value_kind:     global_buffer
      - .actual_access:  read_only
        .address_space:  global
        .offset:         40
        .size:           8
        .value_kind:     global_buffer
      - .actual_access:  read_only
        .address_space:  global
        .offset:         48
        .size:           8
        .value_kind:     global_buffer
      - .actual_access:  read_only
        .address_space:  global
        .offset:         56
        .size:           8
        .value_kind:     global_buffer
      - .address_space:  global
        .offset:         64
        .size:           8
        .value_kind:     global_buffer
      - .offset:         72
        .size:           4
        .value_kind:     by_value
      - .offset:         76
        .size:           1
        .value_kind:     by_value
      - .offset:         80
        .size:           4
        .value_kind:     hidden_block_count_x
      - .offset:         84
        .size:           4
        .value_kind:     hidden_block_count_y
      - .offset:         88
        .size:           4
        .value_kind:     hidden_block_count_z
      - .offset:         92
        .size:           2
        .value_kind:     hidden_group_size_x
      - .offset:         94
        .size:           2
        .value_kind:     hidden_group_size_y
      - .offset:         96
        .size:           2
        .value_kind:     hidden_group_size_z
      - .offset:         98
        .size:           2
        .value_kind:     hidden_remainder_x
      - .offset:         100
        .size:           2
        .value_kind:     hidden_remainder_y
      - .offset:         102
        .size:           2
        .value_kind:     hidden_remainder_z
      - .offset:         120
        .size:           8
        .value_kind:     hidden_global_offset_x
      - .offset:         128
        .size:           8
        .value_kind:     hidden_global_offset_y
      - .offset:         136
        .size:           8
        .value_kind:     hidden_global_offset_z
      - .offset:         144
        .size:           2
        .value_kind:     hidden_grid_dims
    .group_segment_fixed_size: 0
    .kernarg_segment_align: 8
    .kernarg_segment_size: 336
    .language:       OpenCL C
    .language_version:
      - 2
      - 0
    .max_flat_workgroup_size: 256
    .name:           _ZN9rocsparseL21csrmvt_general_kernelILj256ELj16EllDF16_DF16_ffEEvbbT2_NS_24const_host_device_scalarIT6_EEPKT1_S7_PKS1_PKT3_PKT4_PT5_21rocsparse_index_base_b
    .private_segment_fixed_size: 0
    .sgpr_count:     26
    .sgpr_spill_count: 0
    .symbol:         _ZN9rocsparseL21csrmvt_general_kernelILj256ELj16EllDF16_DF16_ffEEvbbT2_NS_24const_host_device_scalarIT6_EEPKT1_S7_PKS1_PKT3_PKT4_PT5_21rocsparse_index_base_b.kd
    .uniform_work_group_size: 1
    .uses_dynamic_stack: false
    .vgpr_count:     19
    .vgpr_spill_count: 0
    .wavefront_size: 32
  - .args:
      - .offset:         0
        .size:           1
        .value_kind:     by_value
      - .offset:         1
        .size:           1
        .value_kind:     by_value
      - .offset:         8
        .size:           8
        .value_kind:     by_value
      - .offset:         16
        .size:           8
        .value_kind:     by_value
      - .address_space:  global
        .offset:         24
        .size:           8
        .value_kind:     global_buffer
      - .address_space:  global
        .offset:         32
        .size:           8
        .value_kind:     global_buffer
      - .actual_access:  read_only
        .address_space:  global
        .offset:         40
        .size:           8
        .value_kind:     global_buffer
      - .actual_access:  read_only
        .address_space:  global
        .offset:         48
        .size:           8
        .value_kind:     global_buffer
      - .actual_access:  read_only
        .address_space:  global
        .offset:         56
        .size:           8
        .value_kind:     global_buffer
      - .address_space:  global
        .offset:         64
        .size:           8
        .value_kind:     global_buffer
      - .offset:         72
        .size:           4
        .value_kind:     by_value
      - .offset:         76
        .size:           1
        .value_kind:     by_value
      - .offset:         80
        .size:           4
        .value_kind:     hidden_block_count_x
      - .offset:         84
        .size:           4
        .value_kind:     hidden_block_count_y
      - .offset:         88
        .size:           4
        .value_kind:     hidden_block_count_z
      - .offset:         92
        .size:           2
        .value_kind:     hidden_group_size_x
      - .offset:         94
        .size:           2
        .value_kind:     hidden_group_size_y
      - .offset:         96
        .size:           2
        .value_kind:     hidden_group_size_z
      - .offset:         98
        .size:           2
        .value_kind:     hidden_remainder_x
      - .offset:         100
        .size:           2
        .value_kind:     hidden_remainder_y
      - .offset:         102
        .size:           2
        .value_kind:     hidden_remainder_z
      - .offset:         120
        .size:           8
        .value_kind:     hidden_global_offset_x
      - .offset:         128
        .size:           8
        .value_kind:     hidden_global_offset_y
      - .offset:         136
        .size:           8
        .value_kind:     hidden_global_offset_z
      - .offset:         144
        .size:           2
        .value_kind:     hidden_grid_dims
    .group_segment_fixed_size: 0
    .kernarg_segment_align: 8
    .kernarg_segment_size: 336
    .language:       OpenCL C
    .language_version:
      - 2
      - 0
    .max_flat_workgroup_size: 256
    .name:           _ZN9rocsparseL21csrmvt_general_kernelILj256ELj32EllDF16_DF16_ffEEvbbT2_NS_24const_host_device_scalarIT6_EEPKT1_S7_PKS1_PKT3_PKT4_PT5_21rocsparse_index_base_b
    .private_segment_fixed_size: 0
    .sgpr_count:     26
    .sgpr_spill_count: 0
    .symbol:         _ZN9rocsparseL21csrmvt_general_kernelILj256ELj32EllDF16_DF16_ffEEvbbT2_NS_24const_host_device_scalarIT6_EEPKT1_S7_PKS1_PKT3_PKT4_PT5_21rocsparse_index_base_b.kd
    .uniform_work_group_size: 1
    .uses_dynamic_stack: false
    .vgpr_count:     19
    .vgpr_spill_count: 0
    .wavefront_size: 32
  - .args:
      - .offset:         0
        .size:           1
        .value_kind:     by_value
      - .offset:         1
        .size:           1
        .value_kind:     by_value
      - .offset:         8
        .size:           8
        .value_kind:     by_value
      - .offset:         16
        .size:           8
        .value_kind:     by_value
      - .address_space:  global
        .offset:         24
        .size:           8
        .value_kind:     global_buffer
      - .address_space:  global
        .offset:         32
        .size:           8
        .value_kind:     global_buffer
      - .actual_access:  read_only
        .address_space:  global
        .offset:         40
        .size:           8
        .value_kind:     global_buffer
      - .actual_access:  read_only
        .address_space:  global
        .offset:         48
        .size:           8
        .value_kind:     global_buffer
      - .actual_access:  read_only
        .address_space:  global
        .offset:         56
        .size:           8
        .value_kind:     global_buffer
      - .address_space:  global
        .offset:         64
        .size:           8
        .value_kind:     global_buffer
      - .offset:         72
        .size:           4
        .value_kind:     by_value
      - .offset:         76
        .size:           1
        .value_kind:     by_value
      - .offset:         80
        .size:           4
        .value_kind:     hidden_block_count_x
      - .offset:         84
        .size:           4
        .value_kind:     hidden_block_count_y
      - .offset:         88
        .size:           4
        .value_kind:     hidden_block_count_z
      - .offset:         92
        .size:           2
        .value_kind:     hidden_group_size_x
      - .offset:         94
        .size:           2
        .value_kind:     hidden_group_size_y
      - .offset:         96
        .size:           2
        .value_kind:     hidden_group_size_z
      - .offset:         98
        .size:           2
        .value_kind:     hidden_remainder_x
      - .offset:         100
        .size:           2
        .value_kind:     hidden_remainder_y
      - .offset:         102
        .size:           2
        .value_kind:     hidden_remainder_z
      - .offset:         120
        .size:           8
        .value_kind:     hidden_global_offset_x
      - .offset:         128
        .size:           8
        .value_kind:     hidden_global_offset_y
      - .offset:         136
        .size:           8
        .value_kind:     hidden_global_offset_z
      - .offset:         144
        .size:           2
        .value_kind:     hidden_grid_dims
    .group_segment_fixed_size: 0
    .kernarg_segment_align: 8
    .kernarg_segment_size: 336
    .language:       OpenCL C
    .language_version:
      - 2
      - 0
    .max_flat_workgroup_size: 256
    .name:           _ZN9rocsparseL21csrmvt_general_kernelILj256ELj64EllDF16_DF16_ffEEvbbT2_NS_24const_host_device_scalarIT6_EEPKT1_S7_PKS1_PKT3_PKT4_PT5_21rocsparse_index_base_b
    .private_segment_fixed_size: 0
    .sgpr_count:     26
    .sgpr_spill_count: 0
    .symbol:         _ZN9rocsparseL21csrmvt_general_kernelILj256ELj64EllDF16_DF16_ffEEvbbT2_NS_24const_host_device_scalarIT6_EEPKT1_S7_PKS1_PKT3_PKT4_PT5_21rocsparse_index_base_b.kd
    .uniform_work_group_size: 1
    .uses_dynamic_stack: false
    .vgpr_count:     19
    .vgpr_spill_count: 0
    .wavefront_size: 32
  - .args:
      - .offset:         0
        .size:           1
        .value_kind:     by_value
      - .offset:         4
        .size:           4
        .value_kind:     by_value
      - .offset:         8
        .size:           8
        .value_kind:     by_value
      - .address_space:  global
        .offset:         16
        .size:           8
        .value_kind:     global_buffer
      - .address_space:  global
        .offset:         24
        .size:           8
        .value_kind:     global_buffer
      - .actual_access:  read_only
        .address_space:  global
        .offset:         32
        .size:           8
        .value_kind:     global_buffer
      - .actual_access:  read_only
        .address_space:  global
        .offset:         40
        .size:           8
        .value_kind:     global_buffer
      - .actual_access:  read_only
        .address_space:  global
        .offset:         48
        .size:           8
        .value_kind:     global_buffer
      - .offset:         56
        .size:           8
        .value_kind:     by_value
      - .address_space:  global
        .offset:         64
        .size:           8
        .value_kind:     global_buffer
      - .offset:         72
        .size:           4
        .value_kind:     by_value
      - .offset:         76
        .size:           1
        .value_kind:     by_value
      - .offset:         80
        .size:           4
        .value_kind:     hidden_block_count_x
      - .offset:         84
        .size:           4
        .value_kind:     hidden_block_count_y
      - .offset:         88
        .size:           4
        .value_kind:     hidden_block_count_z
      - .offset:         92
        .size:           2
        .value_kind:     hidden_group_size_x
      - .offset:         94
        .size:           2
        .value_kind:     hidden_group_size_y
      - .offset:         96
        .size:           2
        .value_kind:     hidden_group_size_z
      - .offset:         98
        .size:           2
        .value_kind:     hidden_remainder_x
      - .offset:         100
        .size:           2
        .value_kind:     hidden_remainder_y
      - .offset:         102
        .size:           2
        .value_kind:     hidden_remainder_z
      - .offset:         120
        .size:           8
        .value_kind:     hidden_global_offset_x
      - .offset:         128
        .size:           8
        .value_kind:     hidden_global_offset_y
      - .offset:         136
        .size:           8
        .value_kind:     hidden_global_offset_z
      - .offset:         144
        .size:           2
        .value_kind:     hidden_grid_dims
    .group_segment_fixed_size: 0
    .kernarg_segment_align: 8
    .kernarg_segment_size: 336
    .language:       OpenCL C
    .language_version:
      - 2
      - 0
    .max_flat_workgroup_size: 256
    .name:           _ZN9rocsparseL21csrmvn_general_kernelILj256ELj2Eii18rocsparse_bfloat16S1_ffEEvbT2_NS_24const_host_device_scalarIT6_EEPKT1_S8_PKS2_PKT3_PKT4_S5_PT5_21rocsparse_index_base_b
    .private_segment_fixed_size: 0
    .sgpr_count:     24
    .sgpr_spill_count: 0
    .symbol:         _ZN9rocsparseL21csrmvn_general_kernelILj256ELj2Eii18rocsparse_bfloat16S1_ffEEvbT2_NS_24const_host_device_scalarIT6_EEPKT1_S8_PKS2_PKT3_PKT4_S5_PT5_21rocsparse_index_base_b.kd
    .uniform_work_group_size: 1
    .uses_dynamic_stack: false
    .vgpr_count:     8
    .vgpr_spill_count: 0
    .wavefront_size: 32
  - .args:
      - .offset:         0
        .size:           1
        .value_kind:     by_value
      - .offset:         4
        .size:           4
        .value_kind:     by_value
      - .offset:         8
        .size:           8
        .value_kind:     by_value
      - .address_space:  global
        .offset:         16
        .size:           8
        .value_kind:     global_buffer
      - .address_space:  global
        .offset:         24
        .size:           8
        .value_kind:     global_buffer
      - .actual_access:  read_only
        .address_space:  global
        .offset:         32
        .size:           8
        .value_kind:     global_buffer
      - .actual_access:  read_only
        .address_space:  global
        .offset:         40
        .size:           8
        .value_kind:     global_buffer
      - .actual_access:  read_only
        .address_space:  global
        .offset:         48
        .size:           8
        .value_kind:     global_buffer
      - .offset:         56
        .size:           8
        .value_kind:     by_value
      - .address_space:  global
        .offset:         64
        .size:           8
        .value_kind:     global_buffer
      - .offset:         72
        .size:           4
        .value_kind:     by_value
      - .offset:         76
        .size:           1
        .value_kind:     by_value
      - .offset:         80
        .size:           4
        .value_kind:     hidden_block_count_x
      - .offset:         84
        .size:           4
        .value_kind:     hidden_block_count_y
      - .offset:         88
        .size:           4
        .value_kind:     hidden_block_count_z
      - .offset:         92
        .size:           2
        .value_kind:     hidden_group_size_x
      - .offset:         94
        .size:           2
        .value_kind:     hidden_group_size_y
      - .offset:         96
        .size:           2
        .value_kind:     hidden_group_size_z
      - .offset:         98
        .size:           2
        .value_kind:     hidden_remainder_x
      - .offset:         100
        .size:           2
        .value_kind:     hidden_remainder_y
      - .offset:         102
        .size:           2
        .value_kind:     hidden_remainder_z
      - .offset:         120
        .size:           8
        .value_kind:     hidden_global_offset_x
      - .offset:         128
        .size:           8
        .value_kind:     hidden_global_offset_y
      - .offset:         136
        .size:           8
        .value_kind:     hidden_global_offset_z
      - .offset:         144
        .size:           2
        .value_kind:     hidden_grid_dims
    .group_segment_fixed_size: 0
    .kernarg_segment_align: 8
    .kernarg_segment_size: 336
    .language:       OpenCL C
    .language_version:
      - 2
      - 0
    .max_flat_workgroup_size: 256
    .name:           _ZN9rocsparseL21csrmvn_general_kernelILj256ELj4Eii18rocsparse_bfloat16S1_ffEEvbT2_NS_24const_host_device_scalarIT6_EEPKT1_S8_PKS2_PKT3_PKT4_S5_PT5_21rocsparse_index_base_b
    .private_segment_fixed_size: 0
    .sgpr_count:     24
    .sgpr_spill_count: 0
    .symbol:         _ZN9rocsparseL21csrmvn_general_kernelILj256ELj4Eii18rocsparse_bfloat16S1_ffEEvbT2_NS_24const_host_device_scalarIT6_EEPKT1_S8_PKS2_PKT3_PKT4_S5_PT5_21rocsparse_index_base_b.kd
    .uniform_work_group_size: 1
    .uses_dynamic_stack: false
    .vgpr_count:     9
    .vgpr_spill_count: 0
    .wavefront_size: 32
  - .args:
      - .offset:         0
        .size:           1
        .value_kind:     by_value
      - .offset:         4
        .size:           4
        .value_kind:     by_value
      - .offset:         8
        .size:           8
        .value_kind:     by_value
      - .address_space:  global
        .offset:         16
        .size:           8
        .value_kind:     global_buffer
      - .address_space:  global
        .offset:         24
        .size:           8
        .value_kind:     global_buffer
      - .actual_access:  read_only
        .address_space:  global
        .offset:         32
        .size:           8
        .value_kind:     global_buffer
      - .actual_access:  read_only
        .address_space:  global
        .offset:         40
        .size:           8
        .value_kind:     global_buffer
      - .actual_access:  read_only
        .address_space:  global
        .offset:         48
        .size:           8
        .value_kind:     global_buffer
      - .offset:         56
        .size:           8
        .value_kind:     by_value
      - .address_space:  global
        .offset:         64
        .size:           8
        .value_kind:     global_buffer
      - .offset:         72
        .size:           4
        .value_kind:     by_value
      - .offset:         76
        .size:           1
        .value_kind:     by_value
      - .offset:         80
        .size:           4
        .value_kind:     hidden_block_count_x
      - .offset:         84
        .size:           4
        .value_kind:     hidden_block_count_y
      - .offset:         88
        .size:           4
        .value_kind:     hidden_block_count_z
      - .offset:         92
        .size:           2
        .value_kind:     hidden_group_size_x
      - .offset:         94
        .size:           2
        .value_kind:     hidden_group_size_y
      - .offset:         96
        .size:           2
        .value_kind:     hidden_group_size_z
      - .offset:         98
        .size:           2
        .value_kind:     hidden_remainder_x
      - .offset:         100
        .size:           2
        .value_kind:     hidden_remainder_y
      - .offset:         102
        .size:           2
        .value_kind:     hidden_remainder_z
      - .offset:         120
        .size:           8
        .value_kind:     hidden_global_offset_x
      - .offset:         128
        .size:           8
        .value_kind:     hidden_global_offset_y
      - .offset:         136
        .size:           8
        .value_kind:     hidden_global_offset_z
      - .offset:         144
        .size:           2
        .value_kind:     hidden_grid_dims
    .group_segment_fixed_size: 0
    .kernarg_segment_align: 8
    .kernarg_segment_size: 336
    .language:       OpenCL C
    .language_version:
      - 2
      - 0
    .max_flat_workgroup_size: 256
    .name:           _ZN9rocsparseL21csrmvn_general_kernelILj256ELj8Eii18rocsparse_bfloat16S1_ffEEvbT2_NS_24const_host_device_scalarIT6_EEPKT1_S8_PKS2_PKT3_PKT4_S5_PT5_21rocsparse_index_base_b
    .private_segment_fixed_size: 0
    .sgpr_count:     24
    .sgpr_spill_count: 0
    .symbol:         _ZN9rocsparseL21csrmvn_general_kernelILj256ELj8Eii18rocsparse_bfloat16S1_ffEEvbT2_NS_24const_host_device_scalarIT6_EEPKT1_S8_PKS2_PKT3_PKT4_S5_PT5_21rocsparse_index_base_b.kd
    .uniform_work_group_size: 1
    .uses_dynamic_stack: false
    .vgpr_count:     10
    .vgpr_spill_count: 0
    .wavefront_size: 32
  - .args:
      - .offset:         0
        .size:           1
        .value_kind:     by_value
      - .offset:         4
        .size:           4
        .value_kind:     by_value
      - .offset:         8
        .size:           8
        .value_kind:     by_value
      - .address_space:  global
        .offset:         16
        .size:           8
        .value_kind:     global_buffer
      - .address_space:  global
        .offset:         24
        .size:           8
        .value_kind:     global_buffer
      - .actual_access:  read_only
        .address_space:  global
        .offset:         32
        .size:           8
        .value_kind:     global_buffer
      - .actual_access:  read_only
        .address_space:  global
        .offset:         40
        .size:           8
        .value_kind:     global_buffer
      - .actual_access:  read_only
        .address_space:  global
        .offset:         48
        .size:           8
        .value_kind:     global_buffer
      - .offset:         56
        .size:           8
        .value_kind:     by_value
      - .address_space:  global
        .offset:         64
        .size:           8
        .value_kind:     global_buffer
      - .offset:         72
        .size:           4
        .value_kind:     by_value
      - .offset:         76
        .size:           1
        .value_kind:     by_value
      - .offset:         80
        .size:           4
        .value_kind:     hidden_block_count_x
      - .offset:         84
        .size:           4
        .value_kind:     hidden_block_count_y
      - .offset:         88
        .size:           4
        .value_kind:     hidden_block_count_z
      - .offset:         92
        .size:           2
        .value_kind:     hidden_group_size_x
      - .offset:         94
        .size:           2
        .value_kind:     hidden_group_size_y
      - .offset:         96
        .size:           2
        .value_kind:     hidden_group_size_z
      - .offset:         98
        .size:           2
        .value_kind:     hidden_remainder_x
      - .offset:         100
        .size:           2
        .value_kind:     hidden_remainder_y
      - .offset:         102
        .size:           2
        .value_kind:     hidden_remainder_z
      - .offset:         120
        .size:           8
        .value_kind:     hidden_global_offset_x
      - .offset:         128
        .size:           8
        .value_kind:     hidden_global_offset_y
      - .offset:         136
        .size:           8
        .value_kind:     hidden_global_offset_z
      - .offset:         144
        .size:           2
        .value_kind:     hidden_grid_dims
    .group_segment_fixed_size: 0
    .kernarg_segment_align: 8
    .kernarg_segment_size: 336
    .language:       OpenCL C
    .language_version:
      - 2
      - 0
    .max_flat_workgroup_size: 256
    .name:           _ZN9rocsparseL21csrmvn_general_kernelILj256ELj16Eii18rocsparse_bfloat16S1_ffEEvbT2_NS_24const_host_device_scalarIT6_EEPKT1_S8_PKS2_PKT3_PKT4_S5_PT5_21rocsparse_index_base_b
    .private_segment_fixed_size: 0
    .sgpr_count:     24
    .sgpr_spill_count: 0
    .symbol:         _ZN9rocsparseL21csrmvn_general_kernelILj256ELj16Eii18rocsparse_bfloat16S1_ffEEvbT2_NS_24const_host_device_scalarIT6_EEPKT1_S8_PKS2_PKT3_PKT4_S5_PT5_21rocsparse_index_base_b.kd
    .uniform_work_group_size: 1
    .uses_dynamic_stack: false
    .vgpr_count:     11
    .vgpr_spill_count: 0
    .wavefront_size: 32
  - .args:
      - .offset:         0
        .size:           1
        .value_kind:     by_value
      - .offset:         4
        .size:           4
        .value_kind:     by_value
      - .offset:         8
        .size:           8
        .value_kind:     by_value
      - .address_space:  global
        .offset:         16
        .size:           8
        .value_kind:     global_buffer
      - .address_space:  global
        .offset:         24
        .size:           8
        .value_kind:     global_buffer
      - .actual_access:  read_only
        .address_space:  global
        .offset:         32
        .size:           8
        .value_kind:     global_buffer
      - .actual_access:  read_only
        .address_space:  global
        .offset:         40
        .size:           8
        .value_kind:     global_buffer
      - .actual_access:  read_only
        .address_space:  global
        .offset:         48
        .size:           8
        .value_kind:     global_buffer
      - .offset:         56
        .size:           8
        .value_kind:     by_value
      - .address_space:  global
        .offset:         64
        .size:           8
        .value_kind:     global_buffer
      - .offset:         72
        .size:           4
        .value_kind:     by_value
      - .offset:         76
        .size:           1
        .value_kind:     by_value
      - .offset:         80
        .size:           4
        .value_kind:     hidden_block_count_x
      - .offset:         84
        .size:           4
        .value_kind:     hidden_block_count_y
      - .offset:         88
        .size:           4
        .value_kind:     hidden_block_count_z
      - .offset:         92
        .size:           2
        .value_kind:     hidden_group_size_x
      - .offset:         94
        .size:           2
        .value_kind:     hidden_group_size_y
      - .offset:         96
        .size:           2
        .value_kind:     hidden_group_size_z
      - .offset:         98
        .size:           2
        .value_kind:     hidden_remainder_x
      - .offset:         100
        .size:           2
        .value_kind:     hidden_remainder_y
      - .offset:         102
        .size:           2
        .value_kind:     hidden_remainder_z
      - .offset:         120
        .size:           8
        .value_kind:     hidden_global_offset_x
      - .offset:         128
        .size:           8
        .value_kind:     hidden_global_offset_y
      - .offset:         136
        .size:           8
        .value_kind:     hidden_global_offset_z
      - .offset:         144
        .size:           2
        .value_kind:     hidden_grid_dims
    .group_segment_fixed_size: 0
    .kernarg_segment_align: 8
    .kernarg_segment_size: 336
    .language:       OpenCL C
    .language_version:
      - 2
      - 0
    .max_flat_workgroup_size: 256
    .name:           _ZN9rocsparseL21csrmvn_general_kernelILj256ELj32Eii18rocsparse_bfloat16S1_ffEEvbT2_NS_24const_host_device_scalarIT6_EEPKT1_S8_PKS2_PKT3_PKT4_S5_PT5_21rocsparse_index_base_b
    .private_segment_fixed_size: 0
    .sgpr_count:     24
    .sgpr_spill_count: 0
    .symbol:         _ZN9rocsparseL21csrmvn_general_kernelILj256ELj32Eii18rocsparse_bfloat16S1_ffEEvbT2_NS_24const_host_device_scalarIT6_EEPKT1_S8_PKS2_PKT3_PKT4_S5_PT5_21rocsparse_index_base_b.kd
    .uniform_work_group_size: 1
    .uses_dynamic_stack: false
    .vgpr_count:     12
    .vgpr_spill_count: 0
    .wavefront_size: 32
  - .args:
      - .offset:         0
        .size:           1
        .value_kind:     by_value
      - .offset:         4
        .size:           4
        .value_kind:     by_value
      - .offset:         8
        .size:           8
        .value_kind:     by_value
      - .address_space:  global
        .offset:         16
        .size:           8
        .value_kind:     global_buffer
      - .address_space:  global
        .offset:         24
        .size:           8
        .value_kind:     global_buffer
      - .actual_access:  read_only
        .address_space:  global
        .offset:         32
        .size:           8
        .value_kind:     global_buffer
      - .actual_access:  read_only
        .address_space:  global
        .offset:         40
        .size:           8
        .value_kind:     global_buffer
      - .actual_access:  read_only
        .address_space:  global
        .offset:         48
        .size:           8
        .value_kind:     global_buffer
      - .offset:         56
        .size:           8
        .value_kind:     by_value
      - .address_space:  global
        .offset:         64
        .size:           8
        .value_kind:     global_buffer
      - .offset:         72
        .size:           4
        .value_kind:     by_value
      - .offset:         76
        .size:           1
        .value_kind:     by_value
      - .offset:         80
        .size:           4
        .value_kind:     hidden_block_count_x
      - .offset:         84
        .size:           4
        .value_kind:     hidden_block_count_y
      - .offset:         88
        .size:           4
        .value_kind:     hidden_block_count_z
      - .offset:         92
        .size:           2
        .value_kind:     hidden_group_size_x
      - .offset:         94
        .size:           2
        .value_kind:     hidden_group_size_y
      - .offset:         96
        .size:           2
        .value_kind:     hidden_group_size_z
      - .offset:         98
        .size:           2
        .value_kind:     hidden_remainder_x
      - .offset:         100
        .size:           2
        .value_kind:     hidden_remainder_y
      - .offset:         102
        .size:           2
        .value_kind:     hidden_remainder_z
      - .offset:         120
        .size:           8
        .value_kind:     hidden_global_offset_x
      - .offset:         128
        .size:           8
        .value_kind:     hidden_global_offset_y
      - .offset:         136
        .size:           8
        .value_kind:     hidden_global_offset_z
      - .offset:         144
        .size:           2
        .value_kind:     hidden_grid_dims
    .group_segment_fixed_size: 0
    .kernarg_segment_align: 8
    .kernarg_segment_size: 336
    .language:       OpenCL C
    .language_version:
      - 2
      - 0
    .max_flat_workgroup_size: 256
    .name:           _ZN9rocsparseL21csrmvn_general_kernelILj256ELj64Eii18rocsparse_bfloat16S1_ffEEvbT2_NS_24const_host_device_scalarIT6_EEPKT1_S8_PKS2_PKT3_PKT4_S5_PT5_21rocsparse_index_base_b
    .private_segment_fixed_size: 0
    .sgpr_count:     24
    .sgpr_spill_count: 0
    .symbol:         _ZN9rocsparseL21csrmvn_general_kernelILj256ELj64Eii18rocsparse_bfloat16S1_ffEEvbT2_NS_24const_host_device_scalarIT6_EEPKT1_S8_PKS2_PKT3_PKT4_S5_PT5_21rocsparse_index_base_b.kd
    .uniform_work_group_size: 1
    .uses_dynamic_stack: false
    .vgpr_count:     13
    .vgpr_spill_count: 0
    .wavefront_size: 32
  - .args:
      - .offset:         0
        .size:           1
        .value_kind:     by_value
      - .offset:         1
        .size:           1
        .value_kind:     by_value
      - .offset:         4
        .size:           4
        .value_kind:     by_value
      - .offset:         8
        .size:           8
        .value_kind:     by_value
      - .address_space:  global
        .offset:         16
        .size:           8
        .value_kind:     global_buffer
      - .address_space:  global
        .offset:         24
        .size:           8
        .value_kind:     global_buffer
      - .actual_access:  read_only
        .address_space:  global
        .offset:         32
        .size:           8
        .value_kind:     global_buffer
      - .actual_access:  read_only
        .address_space:  global
        .offset:         40
        .size:           8
        .value_kind:     global_buffer
      - .actual_access:  read_only
        .address_space:  global
        .offset:         48
        .size:           8
        .value_kind:     global_buffer
      - .address_space:  global
        .offset:         56
        .size:           8
        .value_kind:     global_buffer
      - .offset:         64
        .size:           4
        .value_kind:     by_value
      - .offset:         68
        .size:           1
        .value_kind:     by_value
      - .offset:         72
        .size:           4
        .value_kind:     hidden_block_count_x
      - .offset:         76
        .size:           4
        .value_kind:     hidden_block_count_y
      - .offset:         80
        .size:           4
        .value_kind:     hidden_block_count_z
      - .offset:         84
        .size:           2
        .value_kind:     hidden_group_size_x
      - .offset:         86
        .size:           2
        .value_kind:     hidden_group_size_y
      - .offset:         88
        .size:           2
        .value_kind:     hidden_group_size_z
      - .offset:         90
        .size:           2
        .value_kind:     hidden_remainder_x
      - .offset:         92
        .size:           2
        .value_kind:     hidden_remainder_y
      - .offset:         94
        .size:           2
        .value_kind:     hidden_remainder_z
      - .offset:         112
        .size:           8
        .value_kind:     hidden_global_offset_x
      - .offset:         120
        .size:           8
        .value_kind:     hidden_global_offset_y
      - .offset:         128
        .size:           8
        .value_kind:     hidden_global_offset_z
      - .offset:         136
        .size:           2
        .value_kind:     hidden_grid_dims
    .group_segment_fixed_size: 0
    .kernarg_segment_align: 8
    .kernarg_segment_size: 328
    .language:       OpenCL C
    .language_version:
      - 2
      - 0
    .max_flat_workgroup_size: 256
    .name:           _ZN9rocsparseL21csrmvt_general_kernelILj256ELj4Eii18rocsparse_bfloat16S1_ffEEvbbT2_NS_24const_host_device_scalarIT6_EEPKT1_S8_PKS2_PKT3_PKT4_PT5_21rocsparse_index_base_b
    .private_segment_fixed_size: 0
    .sgpr_count:     23
    .sgpr_spill_count: 0
    .symbol:         _ZN9rocsparseL21csrmvt_general_kernelILj256ELj4Eii18rocsparse_bfloat16S1_ffEEvbbT2_NS_24const_host_device_scalarIT6_EEPKT1_S8_PKS2_PKT3_PKT4_PT5_21rocsparse_index_base_b.kd
    .uniform_work_group_size: 1
    .uses_dynamic_stack: false
    .vgpr_count:     10
    .vgpr_spill_count: 0
    .wavefront_size: 32
  - .args:
      - .offset:         0
        .size:           1
        .value_kind:     by_value
      - .offset:         1
        .size:           1
        .value_kind:     by_value
      - .offset:         4
        .size:           4
        .value_kind:     by_value
      - .offset:         8
        .size:           8
        .value_kind:     by_value
      - .address_space:  global
        .offset:         16
        .size:           8
        .value_kind:     global_buffer
      - .address_space:  global
        .offset:         24
        .size:           8
        .value_kind:     global_buffer
      - .actual_access:  read_only
        .address_space:  global
        .offset:         32
        .size:           8
        .value_kind:     global_buffer
      - .actual_access:  read_only
        .address_space:  global
        .offset:         40
        .size:           8
        .value_kind:     global_buffer
      - .actual_access:  read_only
        .address_space:  global
        .offset:         48
        .size:           8
        .value_kind:     global_buffer
      - .address_space:  global
        .offset:         56
        .size:           8
        .value_kind:     global_buffer
      - .offset:         64
        .size:           4
        .value_kind:     by_value
      - .offset:         68
        .size:           1
        .value_kind:     by_value
      - .offset:         72
        .size:           4
        .value_kind:     hidden_block_count_x
      - .offset:         76
        .size:           4
        .value_kind:     hidden_block_count_y
      - .offset:         80
        .size:           4
        .value_kind:     hidden_block_count_z
      - .offset:         84
        .size:           2
        .value_kind:     hidden_group_size_x
      - .offset:         86
        .size:           2
        .value_kind:     hidden_group_size_y
      - .offset:         88
        .size:           2
        .value_kind:     hidden_group_size_z
      - .offset:         90
        .size:           2
        .value_kind:     hidden_remainder_x
      - .offset:         92
        .size:           2
        .value_kind:     hidden_remainder_y
      - .offset:         94
        .size:           2
        .value_kind:     hidden_remainder_z
      - .offset:         112
        .size:           8
        .value_kind:     hidden_global_offset_x
      - .offset:         120
        .size:           8
        .value_kind:     hidden_global_offset_y
      - .offset:         128
        .size:           8
        .value_kind:     hidden_global_offset_z
      - .offset:         136
        .size:           2
        .value_kind:     hidden_grid_dims
    .group_segment_fixed_size: 0
    .kernarg_segment_align: 8
    .kernarg_segment_size: 328
    .language:       OpenCL C
    .language_version:
      - 2
      - 0
    .max_flat_workgroup_size: 256
    .name:           _ZN9rocsparseL21csrmvt_general_kernelILj256ELj8Eii18rocsparse_bfloat16S1_ffEEvbbT2_NS_24const_host_device_scalarIT6_EEPKT1_S8_PKS2_PKT3_PKT4_PT5_21rocsparse_index_base_b
    .private_segment_fixed_size: 0
    .sgpr_count:     23
    .sgpr_spill_count: 0
    .symbol:         _ZN9rocsparseL21csrmvt_general_kernelILj256ELj8Eii18rocsparse_bfloat16S1_ffEEvbbT2_NS_24const_host_device_scalarIT6_EEPKT1_S8_PKS2_PKT3_PKT4_PT5_21rocsparse_index_base_b.kd
    .uniform_work_group_size: 1
    .uses_dynamic_stack: false
    .vgpr_count:     10
    .vgpr_spill_count: 0
    .wavefront_size: 32
  - .args:
      - .offset:         0
        .size:           1
        .value_kind:     by_value
      - .offset:         1
        .size:           1
        .value_kind:     by_value
      - .offset:         4
        .size:           4
        .value_kind:     by_value
      - .offset:         8
        .size:           8
        .value_kind:     by_value
      - .address_space:  global
        .offset:         16
        .size:           8
        .value_kind:     global_buffer
      - .address_space:  global
        .offset:         24
        .size:           8
        .value_kind:     global_buffer
      - .actual_access:  read_only
        .address_space:  global
        .offset:         32
        .size:           8
        .value_kind:     global_buffer
      - .actual_access:  read_only
        .address_space:  global
        .offset:         40
        .size:           8
        .value_kind:     global_buffer
      - .actual_access:  read_only
        .address_space:  global
        .offset:         48
        .size:           8
        .value_kind:     global_buffer
      - .address_space:  global
        .offset:         56
        .size:           8
        .value_kind:     global_buffer
      - .offset:         64
        .size:           4
        .value_kind:     by_value
      - .offset:         68
        .size:           1
        .value_kind:     by_value
      - .offset:         72
        .size:           4
        .value_kind:     hidden_block_count_x
      - .offset:         76
        .size:           4
        .value_kind:     hidden_block_count_y
      - .offset:         80
        .size:           4
        .value_kind:     hidden_block_count_z
      - .offset:         84
        .size:           2
        .value_kind:     hidden_group_size_x
      - .offset:         86
        .size:           2
        .value_kind:     hidden_group_size_y
      - .offset:         88
        .size:           2
        .value_kind:     hidden_group_size_z
      - .offset:         90
        .size:           2
        .value_kind:     hidden_remainder_x
      - .offset:         92
        .size:           2
        .value_kind:     hidden_remainder_y
      - .offset:         94
        .size:           2
        .value_kind:     hidden_remainder_z
      - .offset:         112
        .size:           8
        .value_kind:     hidden_global_offset_x
      - .offset:         120
        .size:           8
        .value_kind:     hidden_global_offset_y
      - .offset:         128
        .size:           8
        .value_kind:     hidden_global_offset_z
      - .offset:         136
        .size:           2
        .value_kind:     hidden_grid_dims
    .group_segment_fixed_size: 0
    .kernarg_segment_align: 8
    .kernarg_segment_size: 328
    .language:       OpenCL C
    .language_version:
      - 2
      - 0
    .max_flat_workgroup_size: 256
    .name:           _ZN9rocsparseL21csrmvt_general_kernelILj256ELj16Eii18rocsparse_bfloat16S1_ffEEvbbT2_NS_24const_host_device_scalarIT6_EEPKT1_S8_PKS2_PKT3_PKT4_PT5_21rocsparse_index_base_b
    .private_segment_fixed_size: 0
    .sgpr_count:     23
    .sgpr_spill_count: 0
    .symbol:         _ZN9rocsparseL21csrmvt_general_kernelILj256ELj16Eii18rocsparse_bfloat16S1_ffEEvbbT2_NS_24const_host_device_scalarIT6_EEPKT1_S8_PKS2_PKT3_PKT4_PT5_21rocsparse_index_base_b.kd
    .uniform_work_group_size: 1
    .uses_dynamic_stack: false
    .vgpr_count:     10
    .vgpr_spill_count: 0
    .wavefront_size: 32
  - .args:
      - .offset:         0
        .size:           1
        .value_kind:     by_value
      - .offset:         1
        .size:           1
        .value_kind:     by_value
      - .offset:         4
        .size:           4
        .value_kind:     by_value
      - .offset:         8
        .size:           8
        .value_kind:     by_value
      - .address_space:  global
        .offset:         16
        .size:           8
        .value_kind:     global_buffer
      - .address_space:  global
        .offset:         24
        .size:           8
        .value_kind:     global_buffer
      - .actual_access:  read_only
        .address_space:  global
        .offset:         32
        .size:           8
        .value_kind:     global_buffer
      - .actual_access:  read_only
        .address_space:  global
        .offset:         40
        .size:           8
        .value_kind:     global_buffer
      - .actual_access:  read_only
        .address_space:  global
        .offset:         48
        .size:           8
        .value_kind:     global_buffer
      - .address_space:  global
        .offset:         56
        .size:           8
        .value_kind:     global_buffer
      - .offset:         64
        .size:           4
        .value_kind:     by_value
      - .offset:         68
        .size:           1
        .value_kind:     by_value
      - .offset:         72
        .size:           4
        .value_kind:     hidden_block_count_x
      - .offset:         76
        .size:           4
        .value_kind:     hidden_block_count_y
      - .offset:         80
        .size:           4
        .value_kind:     hidden_block_count_z
      - .offset:         84
        .size:           2
        .value_kind:     hidden_group_size_x
      - .offset:         86
        .size:           2
        .value_kind:     hidden_group_size_y
      - .offset:         88
        .size:           2
        .value_kind:     hidden_group_size_z
      - .offset:         90
        .size:           2
        .value_kind:     hidden_remainder_x
      - .offset:         92
        .size:           2
        .value_kind:     hidden_remainder_y
      - .offset:         94
        .size:           2
        .value_kind:     hidden_remainder_z
      - .offset:         112
        .size:           8
        .value_kind:     hidden_global_offset_x
      - .offset:         120
        .size:           8
        .value_kind:     hidden_global_offset_y
      - .offset:         128
        .size:           8
        .value_kind:     hidden_global_offset_z
      - .offset:         136
        .size:           2
        .value_kind:     hidden_grid_dims
    .group_segment_fixed_size: 0
    .kernarg_segment_align: 8
    .kernarg_segment_size: 328
    .language:       OpenCL C
    .language_version:
      - 2
      - 0
    .max_flat_workgroup_size: 256
    .name:           _ZN9rocsparseL21csrmvt_general_kernelILj256ELj32Eii18rocsparse_bfloat16S1_ffEEvbbT2_NS_24const_host_device_scalarIT6_EEPKT1_S8_PKS2_PKT3_PKT4_PT5_21rocsparse_index_base_b
    .private_segment_fixed_size: 0
    .sgpr_count:     23
    .sgpr_spill_count: 0
    .symbol:         _ZN9rocsparseL21csrmvt_general_kernelILj256ELj32Eii18rocsparse_bfloat16S1_ffEEvbbT2_NS_24const_host_device_scalarIT6_EEPKT1_S8_PKS2_PKT3_PKT4_PT5_21rocsparse_index_base_b.kd
    .uniform_work_group_size: 1
    .uses_dynamic_stack: false
    .vgpr_count:     10
    .vgpr_spill_count: 0
    .wavefront_size: 32
  - .args:
      - .offset:         0
        .size:           1
        .value_kind:     by_value
      - .offset:         1
        .size:           1
        .value_kind:     by_value
      - .offset:         4
        .size:           4
        .value_kind:     by_value
      - .offset:         8
        .size:           8
        .value_kind:     by_value
      - .address_space:  global
        .offset:         16
        .size:           8
        .value_kind:     global_buffer
      - .address_space:  global
        .offset:         24
        .size:           8
        .value_kind:     global_buffer
      - .actual_access:  read_only
        .address_space:  global
        .offset:         32
        .size:           8
        .value_kind:     global_buffer
      - .actual_access:  read_only
        .address_space:  global
        .offset:         40
        .size:           8
        .value_kind:     global_buffer
      - .actual_access:  read_only
        .address_space:  global
        .offset:         48
        .size:           8
        .value_kind:     global_buffer
      - .address_space:  global
        .offset:         56
        .size:           8
        .value_kind:     global_buffer
      - .offset:         64
        .size:           4
        .value_kind:     by_value
      - .offset:         68
        .size:           1
        .value_kind:     by_value
      - .offset:         72
        .size:           4
        .value_kind:     hidden_block_count_x
      - .offset:         76
        .size:           4
        .value_kind:     hidden_block_count_y
      - .offset:         80
        .size:           4
        .value_kind:     hidden_block_count_z
      - .offset:         84
        .size:           2
        .value_kind:     hidden_group_size_x
      - .offset:         86
        .size:           2
        .value_kind:     hidden_group_size_y
      - .offset:         88
        .size:           2
        .value_kind:     hidden_group_size_z
      - .offset:         90
        .size:           2
        .value_kind:     hidden_remainder_x
      - .offset:         92
        .size:           2
        .value_kind:     hidden_remainder_y
      - .offset:         94
        .size:           2
        .value_kind:     hidden_remainder_z
      - .offset:         112
        .size:           8
        .value_kind:     hidden_global_offset_x
      - .offset:         120
        .size:           8
        .value_kind:     hidden_global_offset_y
      - .offset:         128
        .size:           8
        .value_kind:     hidden_global_offset_z
      - .offset:         136
        .size:           2
        .value_kind:     hidden_grid_dims
    .group_segment_fixed_size: 0
    .kernarg_segment_align: 8
    .kernarg_segment_size: 328
    .language:       OpenCL C
    .language_version:
      - 2
      - 0
    .max_flat_workgroup_size: 256
    .name:           _ZN9rocsparseL21csrmvt_general_kernelILj256ELj64Eii18rocsparse_bfloat16S1_ffEEvbbT2_NS_24const_host_device_scalarIT6_EEPKT1_S8_PKS2_PKT3_PKT4_PT5_21rocsparse_index_base_b
    .private_segment_fixed_size: 0
    .sgpr_count:     23
    .sgpr_spill_count: 0
    .symbol:         _ZN9rocsparseL21csrmvt_general_kernelILj256ELj64Eii18rocsparse_bfloat16S1_ffEEvbbT2_NS_24const_host_device_scalarIT6_EEPKT1_S8_PKS2_PKT3_PKT4_PT5_21rocsparse_index_base_b.kd
    .uniform_work_group_size: 1
    .uses_dynamic_stack: false
    .vgpr_count:     10
    .vgpr_spill_count: 0
    .wavefront_size: 32
  - .args:
      - .offset:         0
        .size:           1
        .value_kind:     by_value
      - .offset:         4
        .size:           4
        .value_kind:     by_value
      - .offset:         8
        .size:           8
        .value_kind:     by_value
      - .address_space:  global
        .offset:         16
        .size:           8
        .value_kind:     global_buffer
      - .address_space:  global
        .offset:         24
        .size:           8
        .value_kind:     global_buffer
      - .actual_access:  read_only
        .address_space:  global
        .offset:         32
        .size:           8
        .value_kind:     global_buffer
      - .actual_access:  read_only
        .address_space:  global
        .offset:         40
        .size:           8
        .value_kind:     global_buffer
      - .actual_access:  read_only
        .address_space:  global
        .offset:         48
        .size:           8
        .value_kind:     global_buffer
      - .offset:         56
        .size:           8
        .value_kind:     by_value
      - .address_space:  global
        .offset:         64
        .size:           8
        .value_kind:     global_buffer
      - .offset:         72
        .size:           4
        .value_kind:     by_value
      - .offset:         76
        .size:           1
        .value_kind:     by_value
      - .offset:         80
        .size:           4
        .value_kind:     hidden_block_count_x
      - .offset:         84
        .size:           4
        .value_kind:     hidden_block_count_y
      - .offset:         88
        .size:           4
        .value_kind:     hidden_block_count_z
      - .offset:         92
        .size:           2
        .value_kind:     hidden_group_size_x
      - .offset:         94
        .size:           2
        .value_kind:     hidden_group_size_y
      - .offset:         96
        .size:           2
        .value_kind:     hidden_group_size_z
      - .offset:         98
        .size:           2
        .value_kind:     hidden_remainder_x
      - .offset:         100
        .size:           2
        .value_kind:     hidden_remainder_y
      - .offset:         102
        .size:           2
        .value_kind:     hidden_remainder_z
      - .offset:         120
        .size:           8
        .value_kind:     hidden_global_offset_x
      - .offset:         128
        .size:           8
        .value_kind:     hidden_global_offset_y
      - .offset:         136
        .size:           8
        .value_kind:     hidden_global_offset_z
      - .offset:         144
        .size:           2
        .value_kind:     hidden_grid_dims
    .group_segment_fixed_size: 0
    .kernarg_segment_align: 8
    .kernarg_segment_size: 336
    .language:       OpenCL C
    .language_version:
      - 2
      - 0
    .max_flat_workgroup_size: 256
    .name:           _ZN9rocsparseL21csrmvn_general_kernelILj256ELj2Eli18rocsparse_bfloat16S1_ffEEvbT2_NS_24const_host_device_scalarIT6_EEPKT1_S8_PKS2_PKT3_PKT4_S5_PT5_21rocsparse_index_base_b
    .private_segment_fixed_size: 0
    .sgpr_count:     25
    .sgpr_spill_count: 0
    .symbol:         _ZN9rocsparseL21csrmvn_general_kernelILj256ELj2Eli18rocsparse_bfloat16S1_ffEEvbT2_NS_24const_host_device_scalarIT6_EEPKT1_S8_PKS2_PKT3_PKT4_S5_PT5_21rocsparse_index_base_b.kd
    .uniform_work_group_size: 1
    .uses_dynamic_stack: false
    .vgpr_count:     15
    .vgpr_spill_count: 0
    .wavefront_size: 32
  - .args:
      - .offset:         0
        .size:           1
        .value_kind:     by_value
      - .offset:         4
        .size:           4
        .value_kind:     by_value
      - .offset:         8
        .size:           8
        .value_kind:     by_value
      - .address_space:  global
        .offset:         16
        .size:           8
        .value_kind:     global_buffer
      - .address_space:  global
        .offset:         24
        .size:           8
        .value_kind:     global_buffer
      - .actual_access:  read_only
        .address_space:  global
        .offset:         32
        .size:           8
        .value_kind:     global_buffer
      - .actual_access:  read_only
        .address_space:  global
        .offset:         40
        .size:           8
        .value_kind:     global_buffer
      - .actual_access:  read_only
        .address_space:  global
        .offset:         48
        .size:           8
        .value_kind:     global_buffer
      - .offset:         56
        .size:           8
        .value_kind:     by_value
      - .address_space:  global
        .offset:         64
        .size:           8
        .value_kind:     global_buffer
      - .offset:         72
        .size:           4
        .value_kind:     by_value
      - .offset:         76
        .size:           1
        .value_kind:     by_value
      - .offset:         80
        .size:           4
        .value_kind:     hidden_block_count_x
      - .offset:         84
        .size:           4
        .value_kind:     hidden_block_count_y
      - .offset:         88
        .size:           4
        .value_kind:     hidden_block_count_z
      - .offset:         92
        .size:           2
        .value_kind:     hidden_group_size_x
      - .offset:         94
        .size:           2
        .value_kind:     hidden_group_size_y
      - .offset:         96
        .size:           2
        .value_kind:     hidden_group_size_z
      - .offset:         98
        .size:           2
        .value_kind:     hidden_remainder_x
      - .offset:         100
        .size:           2
        .value_kind:     hidden_remainder_y
      - .offset:         102
        .size:           2
        .value_kind:     hidden_remainder_z
      - .offset:         120
        .size:           8
        .value_kind:     hidden_global_offset_x
      - .offset:         128
        .size:           8
        .value_kind:     hidden_global_offset_y
      - .offset:         136
        .size:           8
        .value_kind:     hidden_global_offset_z
      - .offset:         144
        .size:           2
        .value_kind:     hidden_grid_dims
    .group_segment_fixed_size: 0
    .kernarg_segment_align: 8
    .kernarg_segment_size: 336
    .language:       OpenCL C
    .language_version:
      - 2
      - 0
    .max_flat_workgroup_size: 256
    .name:           _ZN9rocsparseL21csrmvn_general_kernelILj256ELj4Eli18rocsparse_bfloat16S1_ffEEvbT2_NS_24const_host_device_scalarIT6_EEPKT1_S8_PKS2_PKT3_PKT4_S5_PT5_21rocsparse_index_base_b
    .private_segment_fixed_size: 0
    .sgpr_count:     25
    .sgpr_spill_count: 0
    .symbol:         _ZN9rocsparseL21csrmvn_general_kernelILj256ELj4Eli18rocsparse_bfloat16S1_ffEEvbT2_NS_24const_host_device_scalarIT6_EEPKT1_S8_PKS2_PKT3_PKT4_S5_PT5_21rocsparse_index_base_b.kd
    .uniform_work_group_size: 1
    .uses_dynamic_stack: false
    .vgpr_count:     16
    .vgpr_spill_count: 0
    .wavefront_size: 32
  - .args:
      - .offset:         0
        .size:           1
        .value_kind:     by_value
      - .offset:         4
        .size:           4
        .value_kind:     by_value
      - .offset:         8
        .size:           8
        .value_kind:     by_value
      - .address_space:  global
        .offset:         16
        .size:           8
        .value_kind:     global_buffer
      - .address_space:  global
        .offset:         24
        .size:           8
        .value_kind:     global_buffer
      - .actual_access:  read_only
        .address_space:  global
        .offset:         32
        .size:           8
        .value_kind:     global_buffer
      - .actual_access:  read_only
        .address_space:  global
        .offset:         40
        .size:           8
        .value_kind:     global_buffer
      - .actual_access:  read_only
        .address_space:  global
        .offset:         48
        .size:           8
        .value_kind:     global_buffer
      - .offset:         56
        .size:           8
        .value_kind:     by_value
      - .address_space:  global
        .offset:         64
        .size:           8
        .value_kind:     global_buffer
      - .offset:         72
        .size:           4
        .value_kind:     by_value
      - .offset:         76
        .size:           1
        .value_kind:     by_value
      - .offset:         80
        .size:           4
        .value_kind:     hidden_block_count_x
      - .offset:         84
        .size:           4
        .value_kind:     hidden_block_count_y
      - .offset:         88
        .size:           4
        .value_kind:     hidden_block_count_z
      - .offset:         92
        .size:           2
        .value_kind:     hidden_group_size_x
      - .offset:         94
        .size:           2
        .value_kind:     hidden_group_size_y
      - .offset:         96
        .size:           2
        .value_kind:     hidden_group_size_z
      - .offset:         98
        .size:           2
        .value_kind:     hidden_remainder_x
      - .offset:         100
        .size:           2
        .value_kind:     hidden_remainder_y
      - .offset:         102
        .size:           2
        .value_kind:     hidden_remainder_z
      - .offset:         120
        .size:           8
        .value_kind:     hidden_global_offset_x
      - .offset:         128
        .size:           8
        .value_kind:     hidden_global_offset_y
      - .offset:         136
        .size:           8
        .value_kind:     hidden_global_offset_z
      - .offset:         144
        .size:           2
        .value_kind:     hidden_grid_dims
    .group_segment_fixed_size: 0
    .kernarg_segment_align: 8
    .kernarg_segment_size: 336
    .language:       OpenCL C
    .language_version:
      - 2
      - 0
    .max_flat_workgroup_size: 256
    .name:           _ZN9rocsparseL21csrmvn_general_kernelILj256ELj8Eli18rocsparse_bfloat16S1_ffEEvbT2_NS_24const_host_device_scalarIT6_EEPKT1_S8_PKS2_PKT3_PKT4_S5_PT5_21rocsparse_index_base_b
    .private_segment_fixed_size: 0
    .sgpr_count:     25
    .sgpr_spill_count: 0
    .symbol:         _ZN9rocsparseL21csrmvn_general_kernelILj256ELj8Eli18rocsparse_bfloat16S1_ffEEvbT2_NS_24const_host_device_scalarIT6_EEPKT1_S8_PKS2_PKT3_PKT4_S5_PT5_21rocsparse_index_base_b.kd
    .uniform_work_group_size: 1
    .uses_dynamic_stack: false
    .vgpr_count:     17
    .vgpr_spill_count: 0
    .wavefront_size: 32
  - .args:
      - .offset:         0
        .size:           1
        .value_kind:     by_value
      - .offset:         4
        .size:           4
        .value_kind:     by_value
      - .offset:         8
        .size:           8
        .value_kind:     by_value
      - .address_space:  global
        .offset:         16
        .size:           8
        .value_kind:     global_buffer
      - .address_space:  global
        .offset:         24
        .size:           8
        .value_kind:     global_buffer
      - .actual_access:  read_only
        .address_space:  global
        .offset:         32
        .size:           8
        .value_kind:     global_buffer
      - .actual_access:  read_only
        .address_space:  global
        .offset:         40
        .size:           8
        .value_kind:     global_buffer
      - .actual_access:  read_only
        .address_space:  global
        .offset:         48
        .size:           8
        .value_kind:     global_buffer
      - .offset:         56
        .size:           8
        .value_kind:     by_value
      - .address_space:  global
        .offset:         64
        .size:           8
        .value_kind:     global_buffer
      - .offset:         72
        .size:           4
        .value_kind:     by_value
      - .offset:         76
        .size:           1
        .value_kind:     by_value
      - .offset:         80
        .size:           4
        .value_kind:     hidden_block_count_x
      - .offset:         84
        .size:           4
        .value_kind:     hidden_block_count_y
      - .offset:         88
        .size:           4
        .value_kind:     hidden_block_count_z
      - .offset:         92
        .size:           2
        .value_kind:     hidden_group_size_x
      - .offset:         94
        .size:           2
        .value_kind:     hidden_group_size_y
      - .offset:         96
        .size:           2
        .value_kind:     hidden_group_size_z
      - .offset:         98
        .size:           2
        .value_kind:     hidden_remainder_x
      - .offset:         100
        .size:           2
        .value_kind:     hidden_remainder_y
      - .offset:         102
        .size:           2
        .value_kind:     hidden_remainder_z
      - .offset:         120
        .size:           8
        .value_kind:     hidden_global_offset_x
      - .offset:         128
        .size:           8
        .value_kind:     hidden_global_offset_y
      - .offset:         136
        .size:           8
        .value_kind:     hidden_global_offset_z
      - .offset:         144
        .size:           2
        .value_kind:     hidden_grid_dims
    .group_segment_fixed_size: 0
    .kernarg_segment_align: 8
    .kernarg_segment_size: 336
    .language:       OpenCL C
    .language_version:
      - 2
      - 0
    .max_flat_workgroup_size: 256
    .name:           _ZN9rocsparseL21csrmvn_general_kernelILj256ELj16Eli18rocsparse_bfloat16S1_ffEEvbT2_NS_24const_host_device_scalarIT6_EEPKT1_S8_PKS2_PKT3_PKT4_S5_PT5_21rocsparse_index_base_b
    .private_segment_fixed_size: 0
    .sgpr_count:     25
    .sgpr_spill_count: 0
    .symbol:         _ZN9rocsparseL21csrmvn_general_kernelILj256ELj16Eli18rocsparse_bfloat16S1_ffEEvbT2_NS_24const_host_device_scalarIT6_EEPKT1_S8_PKS2_PKT3_PKT4_S5_PT5_21rocsparse_index_base_b.kd
    .uniform_work_group_size: 1
    .uses_dynamic_stack: false
    .vgpr_count:     18
    .vgpr_spill_count: 0
    .wavefront_size: 32
  - .args:
      - .offset:         0
        .size:           1
        .value_kind:     by_value
      - .offset:         4
        .size:           4
        .value_kind:     by_value
      - .offset:         8
        .size:           8
        .value_kind:     by_value
      - .address_space:  global
        .offset:         16
        .size:           8
        .value_kind:     global_buffer
      - .address_space:  global
        .offset:         24
        .size:           8
        .value_kind:     global_buffer
      - .actual_access:  read_only
        .address_space:  global
        .offset:         32
        .size:           8
        .value_kind:     global_buffer
      - .actual_access:  read_only
        .address_space:  global
        .offset:         40
        .size:           8
        .value_kind:     global_buffer
      - .actual_access:  read_only
        .address_space:  global
        .offset:         48
        .size:           8
        .value_kind:     global_buffer
      - .offset:         56
        .size:           8
        .value_kind:     by_value
      - .address_space:  global
        .offset:         64
        .size:           8
        .value_kind:     global_buffer
      - .offset:         72
        .size:           4
        .value_kind:     by_value
      - .offset:         76
        .size:           1
        .value_kind:     by_value
      - .offset:         80
        .size:           4
        .value_kind:     hidden_block_count_x
      - .offset:         84
        .size:           4
        .value_kind:     hidden_block_count_y
      - .offset:         88
        .size:           4
        .value_kind:     hidden_block_count_z
      - .offset:         92
        .size:           2
        .value_kind:     hidden_group_size_x
      - .offset:         94
        .size:           2
        .value_kind:     hidden_group_size_y
      - .offset:         96
        .size:           2
        .value_kind:     hidden_group_size_z
      - .offset:         98
        .size:           2
        .value_kind:     hidden_remainder_x
      - .offset:         100
        .size:           2
        .value_kind:     hidden_remainder_y
      - .offset:         102
        .size:           2
        .value_kind:     hidden_remainder_z
      - .offset:         120
        .size:           8
        .value_kind:     hidden_global_offset_x
      - .offset:         128
        .size:           8
        .value_kind:     hidden_global_offset_y
      - .offset:         136
        .size:           8
        .value_kind:     hidden_global_offset_z
      - .offset:         144
        .size:           2
        .value_kind:     hidden_grid_dims
    .group_segment_fixed_size: 0
    .kernarg_segment_align: 8
    .kernarg_segment_size: 336
    .language:       OpenCL C
    .language_version:
      - 2
      - 0
    .max_flat_workgroup_size: 256
    .name:           _ZN9rocsparseL21csrmvn_general_kernelILj256ELj32Eli18rocsparse_bfloat16S1_ffEEvbT2_NS_24const_host_device_scalarIT6_EEPKT1_S8_PKS2_PKT3_PKT4_S5_PT5_21rocsparse_index_base_b
    .private_segment_fixed_size: 0
    .sgpr_count:     25
    .sgpr_spill_count: 0
    .symbol:         _ZN9rocsparseL21csrmvn_general_kernelILj256ELj32Eli18rocsparse_bfloat16S1_ffEEvbT2_NS_24const_host_device_scalarIT6_EEPKT1_S8_PKS2_PKT3_PKT4_S5_PT5_21rocsparse_index_base_b.kd
    .uniform_work_group_size: 1
    .uses_dynamic_stack: false
    .vgpr_count:     19
    .vgpr_spill_count: 0
    .wavefront_size: 32
  - .args:
      - .offset:         0
        .size:           1
        .value_kind:     by_value
      - .offset:         4
        .size:           4
        .value_kind:     by_value
      - .offset:         8
        .size:           8
        .value_kind:     by_value
      - .address_space:  global
        .offset:         16
        .size:           8
        .value_kind:     global_buffer
      - .address_space:  global
        .offset:         24
        .size:           8
        .value_kind:     global_buffer
      - .actual_access:  read_only
        .address_space:  global
        .offset:         32
        .size:           8
        .value_kind:     global_buffer
      - .actual_access:  read_only
        .address_space:  global
        .offset:         40
        .size:           8
        .value_kind:     global_buffer
      - .actual_access:  read_only
        .address_space:  global
        .offset:         48
        .size:           8
        .value_kind:     global_buffer
      - .offset:         56
        .size:           8
        .value_kind:     by_value
      - .address_space:  global
        .offset:         64
        .size:           8
        .value_kind:     global_buffer
      - .offset:         72
        .size:           4
        .value_kind:     by_value
      - .offset:         76
        .size:           1
        .value_kind:     by_value
      - .offset:         80
        .size:           4
        .value_kind:     hidden_block_count_x
      - .offset:         84
        .size:           4
        .value_kind:     hidden_block_count_y
      - .offset:         88
        .size:           4
        .value_kind:     hidden_block_count_z
      - .offset:         92
        .size:           2
        .value_kind:     hidden_group_size_x
      - .offset:         94
        .size:           2
        .value_kind:     hidden_group_size_y
      - .offset:         96
        .size:           2
        .value_kind:     hidden_group_size_z
      - .offset:         98
        .size:           2
        .value_kind:     hidden_remainder_x
      - .offset:         100
        .size:           2
        .value_kind:     hidden_remainder_y
      - .offset:         102
        .size:           2
        .value_kind:     hidden_remainder_z
      - .offset:         120
        .size:           8
        .value_kind:     hidden_global_offset_x
      - .offset:         128
        .size:           8
        .value_kind:     hidden_global_offset_y
      - .offset:         136
        .size:           8
        .value_kind:     hidden_global_offset_z
      - .offset:         144
        .size:           2
        .value_kind:     hidden_grid_dims
    .group_segment_fixed_size: 0
    .kernarg_segment_align: 8
    .kernarg_segment_size: 336
    .language:       OpenCL C
    .language_version:
      - 2
      - 0
    .max_flat_workgroup_size: 256
    .name:           _ZN9rocsparseL21csrmvn_general_kernelILj256ELj64Eli18rocsparse_bfloat16S1_ffEEvbT2_NS_24const_host_device_scalarIT6_EEPKT1_S8_PKS2_PKT3_PKT4_S5_PT5_21rocsparse_index_base_b
    .private_segment_fixed_size: 0
    .sgpr_count:     25
    .sgpr_spill_count: 0
    .symbol:         _ZN9rocsparseL21csrmvn_general_kernelILj256ELj64Eli18rocsparse_bfloat16S1_ffEEvbT2_NS_24const_host_device_scalarIT6_EEPKT1_S8_PKS2_PKT3_PKT4_S5_PT5_21rocsparse_index_base_b.kd
    .uniform_work_group_size: 1
    .uses_dynamic_stack: false
    .vgpr_count:     20
    .vgpr_spill_count: 0
    .wavefront_size: 32
  - .args:
      - .offset:         0
        .size:           1
        .value_kind:     by_value
      - .offset:         1
        .size:           1
        .value_kind:     by_value
      - .offset:         4
        .size:           4
        .value_kind:     by_value
      - .offset:         8
        .size:           8
        .value_kind:     by_value
      - .address_space:  global
        .offset:         16
        .size:           8
        .value_kind:     global_buffer
      - .address_space:  global
        .offset:         24
        .size:           8
        .value_kind:     global_buffer
      - .actual_access:  read_only
        .address_space:  global
        .offset:         32
        .size:           8
        .value_kind:     global_buffer
      - .actual_access:  read_only
        .address_space:  global
        .offset:         40
        .size:           8
        .value_kind:     global_buffer
      - .actual_access:  read_only
        .address_space:  global
        .offset:         48
        .size:           8
        .value_kind:     global_buffer
      - .address_space:  global
        .offset:         56
        .size:           8
        .value_kind:     global_buffer
      - .offset:         64
        .size:           4
        .value_kind:     by_value
      - .offset:         68
        .size:           1
        .value_kind:     by_value
      - .offset:         72
        .size:           4
        .value_kind:     hidden_block_count_x
      - .offset:         76
        .size:           4
        .value_kind:     hidden_block_count_y
      - .offset:         80
        .size:           4
        .value_kind:     hidden_block_count_z
      - .offset:         84
        .size:           2
        .value_kind:     hidden_group_size_x
      - .offset:         86
        .size:           2
        .value_kind:     hidden_group_size_y
      - .offset:         88
        .size:           2
        .value_kind:     hidden_group_size_z
      - .offset:         90
        .size:           2
        .value_kind:     hidden_remainder_x
      - .offset:         92
        .size:           2
        .value_kind:     hidden_remainder_y
      - .offset:         94
        .size:           2
        .value_kind:     hidden_remainder_z
      - .offset:         112
        .size:           8
        .value_kind:     hidden_global_offset_x
      - .offset:         120
        .size:           8
        .value_kind:     hidden_global_offset_y
      - .offset:         128
        .size:           8
        .value_kind:     hidden_global_offset_z
      - .offset:         136
        .size:           2
        .value_kind:     hidden_grid_dims
    .group_segment_fixed_size: 0
    .kernarg_segment_align: 8
    .kernarg_segment_size: 328
    .language:       OpenCL C
    .language_version:
      - 2
      - 0
    .max_flat_workgroup_size: 256
    .name:           _ZN9rocsparseL21csrmvt_general_kernelILj256ELj4Eli18rocsparse_bfloat16S1_ffEEvbbT2_NS_24const_host_device_scalarIT6_EEPKT1_S8_PKS2_PKT3_PKT4_PT5_21rocsparse_index_base_b
    .private_segment_fixed_size: 0
    .sgpr_count:     24
    .sgpr_spill_count: 0
    .symbol:         _ZN9rocsparseL21csrmvt_general_kernelILj256ELj4Eli18rocsparse_bfloat16S1_ffEEvbbT2_NS_24const_host_device_scalarIT6_EEPKT1_S8_PKS2_PKT3_PKT4_PT5_21rocsparse_index_base_b.kd
    .uniform_work_group_size: 1
    .uses_dynamic_stack: false
    .vgpr_count:     16
    .vgpr_spill_count: 0
    .wavefront_size: 32
  - .args:
      - .offset:         0
        .size:           1
        .value_kind:     by_value
      - .offset:         1
        .size:           1
        .value_kind:     by_value
      - .offset:         4
        .size:           4
        .value_kind:     by_value
      - .offset:         8
        .size:           8
        .value_kind:     by_value
      - .address_space:  global
        .offset:         16
        .size:           8
        .value_kind:     global_buffer
      - .address_space:  global
        .offset:         24
        .size:           8
        .value_kind:     global_buffer
      - .actual_access:  read_only
        .address_space:  global
        .offset:         32
        .size:           8
        .value_kind:     global_buffer
      - .actual_access:  read_only
        .address_space:  global
        .offset:         40
        .size:           8
        .value_kind:     global_buffer
      - .actual_access:  read_only
        .address_space:  global
        .offset:         48
        .size:           8
        .value_kind:     global_buffer
      - .address_space:  global
        .offset:         56
        .size:           8
        .value_kind:     global_buffer
      - .offset:         64
        .size:           4
        .value_kind:     by_value
      - .offset:         68
        .size:           1
        .value_kind:     by_value
      - .offset:         72
        .size:           4
        .value_kind:     hidden_block_count_x
      - .offset:         76
        .size:           4
        .value_kind:     hidden_block_count_y
      - .offset:         80
        .size:           4
        .value_kind:     hidden_block_count_z
      - .offset:         84
        .size:           2
        .value_kind:     hidden_group_size_x
      - .offset:         86
        .size:           2
        .value_kind:     hidden_group_size_y
      - .offset:         88
        .size:           2
        .value_kind:     hidden_group_size_z
      - .offset:         90
        .size:           2
        .value_kind:     hidden_remainder_x
      - .offset:         92
        .size:           2
        .value_kind:     hidden_remainder_y
      - .offset:         94
        .size:           2
        .value_kind:     hidden_remainder_z
      - .offset:         112
        .size:           8
        .value_kind:     hidden_global_offset_x
      - .offset:         120
        .size:           8
        .value_kind:     hidden_global_offset_y
      - .offset:         128
        .size:           8
        .value_kind:     hidden_global_offset_z
      - .offset:         136
        .size:           2
        .value_kind:     hidden_grid_dims
    .group_segment_fixed_size: 0
    .kernarg_segment_align: 8
    .kernarg_segment_size: 328
    .language:       OpenCL C
    .language_version:
      - 2
      - 0
    .max_flat_workgroup_size: 256
    .name:           _ZN9rocsparseL21csrmvt_general_kernelILj256ELj8Eli18rocsparse_bfloat16S1_ffEEvbbT2_NS_24const_host_device_scalarIT6_EEPKT1_S8_PKS2_PKT3_PKT4_PT5_21rocsparse_index_base_b
    .private_segment_fixed_size: 0
    .sgpr_count:     24
    .sgpr_spill_count: 0
    .symbol:         _ZN9rocsparseL21csrmvt_general_kernelILj256ELj8Eli18rocsparse_bfloat16S1_ffEEvbbT2_NS_24const_host_device_scalarIT6_EEPKT1_S8_PKS2_PKT3_PKT4_PT5_21rocsparse_index_base_b.kd
    .uniform_work_group_size: 1
    .uses_dynamic_stack: false
    .vgpr_count:     16
    .vgpr_spill_count: 0
    .wavefront_size: 32
  - .args:
      - .offset:         0
        .size:           1
        .value_kind:     by_value
      - .offset:         1
        .size:           1
        .value_kind:     by_value
      - .offset:         4
        .size:           4
        .value_kind:     by_value
      - .offset:         8
        .size:           8
        .value_kind:     by_value
      - .address_space:  global
        .offset:         16
        .size:           8
        .value_kind:     global_buffer
      - .address_space:  global
        .offset:         24
        .size:           8
        .value_kind:     global_buffer
      - .actual_access:  read_only
        .address_space:  global
        .offset:         32
        .size:           8
        .value_kind:     global_buffer
      - .actual_access:  read_only
        .address_space:  global
        .offset:         40
        .size:           8
        .value_kind:     global_buffer
      - .actual_access:  read_only
        .address_space:  global
        .offset:         48
        .size:           8
        .value_kind:     global_buffer
      - .address_space:  global
        .offset:         56
        .size:           8
        .value_kind:     global_buffer
      - .offset:         64
        .size:           4
        .value_kind:     by_value
      - .offset:         68
        .size:           1
        .value_kind:     by_value
      - .offset:         72
        .size:           4
        .value_kind:     hidden_block_count_x
      - .offset:         76
        .size:           4
        .value_kind:     hidden_block_count_y
      - .offset:         80
        .size:           4
        .value_kind:     hidden_block_count_z
      - .offset:         84
        .size:           2
        .value_kind:     hidden_group_size_x
      - .offset:         86
        .size:           2
        .value_kind:     hidden_group_size_y
      - .offset:         88
        .size:           2
        .value_kind:     hidden_group_size_z
      - .offset:         90
        .size:           2
        .value_kind:     hidden_remainder_x
      - .offset:         92
        .size:           2
        .value_kind:     hidden_remainder_y
      - .offset:         94
        .size:           2
        .value_kind:     hidden_remainder_z
      - .offset:         112
        .size:           8
        .value_kind:     hidden_global_offset_x
      - .offset:         120
        .size:           8
        .value_kind:     hidden_global_offset_y
      - .offset:         128
        .size:           8
        .value_kind:     hidden_global_offset_z
      - .offset:         136
        .size:           2
        .value_kind:     hidden_grid_dims
    .group_segment_fixed_size: 0
    .kernarg_segment_align: 8
    .kernarg_segment_size: 328
    .language:       OpenCL C
    .language_version:
      - 2
      - 0
    .max_flat_workgroup_size: 256
    .name:           _ZN9rocsparseL21csrmvt_general_kernelILj256ELj16Eli18rocsparse_bfloat16S1_ffEEvbbT2_NS_24const_host_device_scalarIT6_EEPKT1_S8_PKS2_PKT3_PKT4_PT5_21rocsparse_index_base_b
    .private_segment_fixed_size: 0
    .sgpr_count:     24
    .sgpr_spill_count: 0
    .symbol:         _ZN9rocsparseL21csrmvt_general_kernelILj256ELj16Eli18rocsparse_bfloat16S1_ffEEvbbT2_NS_24const_host_device_scalarIT6_EEPKT1_S8_PKS2_PKT3_PKT4_PT5_21rocsparse_index_base_b.kd
    .uniform_work_group_size: 1
    .uses_dynamic_stack: false
    .vgpr_count:     16
    .vgpr_spill_count: 0
    .wavefront_size: 32
  - .args:
      - .offset:         0
        .size:           1
        .value_kind:     by_value
      - .offset:         1
        .size:           1
        .value_kind:     by_value
      - .offset:         4
        .size:           4
        .value_kind:     by_value
      - .offset:         8
        .size:           8
        .value_kind:     by_value
      - .address_space:  global
        .offset:         16
        .size:           8
        .value_kind:     global_buffer
      - .address_space:  global
        .offset:         24
        .size:           8
        .value_kind:     global_buffer
      - .actual_access:  read_only
        .address_space:  global
        .offset:         32
        .size:           8
        .value_kind:     global_buffer
      - .actual_access:  read_only
        .address_space:  global
        .offset:         40
        .size:           8
        .value_kind:     global_buffer
      - .actual_access:  read_only
        .address_space:  global
        .offset:         48
        .size:           8
        .value_kind:     global_buffer
      - .address_space:  global
        .offset:         56
        .size:           8
        .value_kind:     global_buffer
      - .offset:         64
        .size:           4
        .value_kind:     by_value
      - .offset:         68
        .size:           1
        .value_kind:     by_value
      - .offset:         72
        .size:           4
        .value_kind:     hidden_block_count_x
      - .offset:         76
        .size:           4
        .value_kind:     hidden_block_count_y
      - .offset:         80
        .size:           4
        .value_kind:     hidden_block_count_z
      - .offset:         84
        .size:           2
        .value_kind:     hidden_group_size_x
      - .offset:         86
        .size:           2
        .value_kind:     hidden_group_size_y
      - .offset:         88
        .size:           2
        .value_kind:     hidden_group_size_z
      - .offset:         90
        .size:           2
        .value_kind:     hidden_remainder_x
      - .offset:         92
        .size:           2
        .value_kind:     hidden_remainder_y
      - .offset:         94
        .size:           2
        .value_kind:     hidden_remainder_z
      - .offset:         112
        .size:           8
        .value_kind:     hidden_global_offset_x
      - .offset:         120
        .size:           8
        .value_kind:     hidden_global_offset_y
      - .offset:         128
        .size:           8
        .value_kind:     hidden_global_offset_z
      - .offset:         136
        .size:           2
        .value_kind:     hidden_grid_dims
    .group_segment_fixed_size: 0
    .kernarg_segment_align: 8
    .kernarg_segment_size: 328
    .language:       OpenCL C
    .language_version:
      - 2
      - 0
    .max_flat_workgroup_size: 256
    .name:           _ZN9rocsparseL21csrmvt_general_kernelILj256ELj32Eli18rocsparse_bfloat16S1_ffEEvbbT2_NS_24const_host_device_scalarIT6_EEPKT1_S8_PKS2_PKT3_PKT4_PT5_21rocsparse_index_base_b
    .private_segment_fixed_size: 0
    .sgpr_count:     24
    .sgpr_spill_count: 0
    .symbol:         _ZN9rocsparseL21csrmvt_general_kernelILj256ELj32Eli18rocsparse_bfloat16S1_ffEEvbbT2_NS_24const_host_device_scalarIT6_EEPKT1_S8_PKS2_PKT3_PKT4_PT5_21rocsparse_index_base_b.kd
    .uniform_work_group_size: 1
    .uses_dynamic_stack: false
    .vgpr_count:     16
    .vgpr_spill_count: 0
    .wavefront_size: 32
  - .args:
      - .offset:         0
        .size:           1
        .value_kind:     by_value
      - .offset:         1
        .size:           1
        .value_kind:     by_value
      - .offset:         4
        .size:           4
        .value_kind:     by_value
      - .offset:         8
        .size:           8
        .value_kind:     by_value
      - .address_space:  global
        .offset:         16
        .size:           8
        .value_kind:     global_buffer
      - .address_space:  global
        .offset:         24
        .size:           8
        .value_kind:     global_buffer
      - .actual_access:  read_only
        .address_space:  global
        .offset:         32
        .size:           8
        .value_kind:     global_buffer
      - .actual_access:  read_only
        .address_space:  global
        .offset:         40
        .size:           8
        .value_kind:     global_buffer
      - .actual_access:  read_only
        .address_space:  global
        .offset:         48
        .size:           8
        .value_kind:     global_buffer
      - .address_space:  global
        .offset:         56
        .size:           8
        .value_kind:     global_buffer
      - .offset:         64
        .size:           4
        .value_kind:     by_value
      - .offset:         68
        .size:           1
        .value_kind:     by_value
      - .offset:         72
        .size:           4
        .value_kind:     hidden_block_count_x
      - .offset:         76
        .size:           4
        .value_kind:     hidden_block_count_y
      - .offset:         80
        .size:           4
        .value_kind:     hidden_block_count_z
      - .offset:         84
        .size:           2
        .value_kind:     hidden_group_size_x
      - .offset:         86
        .size:           2
        .value_kind:     hidden_group_size_y
      - .offset:         88
        .size:           2
        .value_kind:     hidden_group_size_z
      - .offset:         90
        .size:           2
        .value_kind:     hidden_remainder_x
      - .offset:         92
        .size:           2
        .value_kind:     hidden_remainder_y
      - .offset:         94
        .size:           2
        .value_kind:     hidden_remainder_z
      - .offset:         112
        .size:           8
        .value_kind:     hidden_global_offset_x
      - .offset:         120
        .size:           8
        .value_kind:     hidden_global_offset_y
      - .offset:         128
        .size:           8
        .value_kind:     hidden_global_offset_z
      - .offset:         136
        .size:           2
        .value_kind:     hidden_grid_dims
    .group_segment_fixed_size: 0
    .kernarg_segment_align: 8
    .kernarg_segment_size: 328
    .language:       OpenCL C
    .language_version:
      - 2
      - 0
    .max_flat_workgroup_size: 256
    .name:           _ZN9rocsparseL21csrmvt_general_kernelILj256ELj64Eli18rocsparse_bfloat16S1_ffEEvbbT2_NS_24const_host_device_scalarIT6_EEPKT1_S8_PKS2_PKT3_PKT4_PT5_21rocsparse_index_base_b
    .private_segment_fixed_size: 0
    .sgpr_count:     24
    .sgpr_spill_count: 0
    .symbol:         _ZN9rocsparseL21csrmvt_general_kernelILj256ELj64Eli18rocsparse_bfloat16S1_ffEEvbbT2_NS_24const_host_device_scalarIT6_EEPKT1_S8_PKS2_PKT3_PKT4_PT5_21rocsparse_index_base_b.kd
    .uniform_work_group_size: 1
    .uses_dynamic_stack: false
    .vgpr_count:     16
    .vgpr_spill_count: 0
    .wavefront_size: 32
  - .args:
      - .offset:         0
        .size:           1
        .value_kind:     by_value
      - .offset:         8
        .size:           8
        .value_kind:     by_value
      - .offset:         16
        .size:           8
        .value_kind:     by_value
      - .address_space:  global
        .offset:         24
        .size:           8
        .value_kind:     global_buffer
      - .address_space:  global
        .offset:         32
        .size:           8
        .value_kind:     global_buffer
      - .actual_access:  read_only
        .address_space:  global
        .offset:         40
        .size:           8
        .value_kind:     global_buffer
      - .actual_access:  read_only
        .address_space:  global
        .offset:         48
        .size:           8
        .value_kind:     global_buffer
      - .actual_access:  read_only
        .address_space:  global
        .offset:         56
        .size:           8
        .value_kind:     global_buffer
      - .offset:         64
        .size:           8
        .value_kind:     by_value
      - .address_space:  global
        .offset:         72
        .size:           8
        .value_kind:     global_buffer
      - .offset:         80
        .size:           4
        .value_kind:     by_value
      - .offset:         84
        .size:           1
        .value_kind:     by_value
      - .offset:         88
        .size:           4
        .value_kind:     hidden_block_count_x
      - .offset:         92
        .size:           4
        .value_kind:     hidden_block_count_y
      - .offset:         96
        .size:           4
        .value_kind:     hidden_block_count_z
      - .offset:         100
        .size:           2
        .value_kind:     hidden_group_size_x
      - .offset:         102
        .size:           2
        .value_kind:     hidden_group_size_y
      - .offset:         104
        .size:           2
        .value_kind:     hidden_group_size_z
      - .offset:         106
        .size:           2
        .value_kind:     hidden_remainder_x
      - .offset:         108
        .size:           2
        .value_kind:     hidden_remainder_y
      - .offset:         110
        .size:           2
        .value_kind:     hidden_remainder_z
      - .offset:         128
        .size:           8
        .value_kind:     hidden_global_offset_x
      - .offset:         136
        .size:           8
        .value_kind:     hidden_global_offset_y
      - .offset:         144
        .size:           8
        .value_kind:     hidden_global_offset_z
      - .offset:         152
        .size:           2
        .value_kind:     hidden_grid_dims
    .group_segment_fixed_size: 0
    .kernarg_segment_align: 8
    .kernarg_segment_size: 344
    .language:       OpenCL C
    .language_version:
      - 2
      - 0
    .max_flat_workgroup_size: 256
    .name:           _ZN9rocsparseL21csrmvn_general_kernelILj256ELj2Ell18rocsparse_bfloat16S1_ffEEvbT2_NS_24const_host_device_scalarIT6_EEPKT1_S8_PKS2_PKT3_PKT4_S5_PT5_21rocsparse_index_base_b
    .private_segment_fixed_size: 0
    .sgpr_count:     28
    .sgpr_spill_count: 0
    .symbol:         _ZN9rocsparseL21csrmvn_general_kernelILj256ELj2Ell18rocsparse_bfloat16S1_ffEEvbT2_NS_24const_host_device_scalarIT6_EEPKT1_S8_PKS2_PKT3_PKT4_S5_PT5_21rocsparse_index_base_b.kd
    .uniform_work_group_size: 1
    .uses_dynamic_stack: false
    .vgpr_count:     17
    .vgpr_spill_count: 0
    .wavefront_size: 32
  - .args:
      - .offset:         0
        .size:           1
        .value_kind:     by_value
      - .offset:         8
        .size:           8
        .value_kind:     by_value
      - .offset:         16
        .size:           8
        .value_kind:     by_value
      - .address_space:  global
        .offset:         24
        .size:           8
        .value_kind:     global_buffer
      - .address_space:  global
        .offset:         32
        .size:           8
        .value_kind:     global_buffer
      - .actual_access:  read_only
        .address_space:  global
        .offset:         40
        .size:           8
        .value_kind:     global_buffer
      - .actual_access:  read_only
        .address_space:  global
        .offset:         48
        .size:           8
        .value_kind:     global_buffer
      - .actual_access:  read_only
        .address_space:  global
        .offset:         56
        .size:           8
        .value_kind:     global_buffer
      - .offset:         64
        .size:           8
        .value_kind:     by_value
      - .address_space:  global
        .offset:         72
        .size:           8
        .value_kind:     global_buffer
      - .offset:         80
        .size:           4
        .value_kind:     by_value
      - .offset:         84
        .size:           1
        .value_kind:     by_value
      - .offset:         88
        .size:           4
        .value_kind:     hidden_block_count_x
      - .offset:         92
        .size:           4
        .value_kind:     hidden_block_count_y
      - .offset:         96
        .size:           4
        .value_kind:     hidden_block_count_z
      - .offset:         100
        .size:           2
        .value_kind:     hidden_group_size_x
      - .offset:         102
        .size:           2
        .value_kind:     hidden_group_size_y
      - .offset:         104
        .size:           2
        .value_kind:     hidden_group_size_z
      - .offset:         106
        .size:           2
        .value_kind:     hidden_remainder_x
      - .offset:         108
        .size:           2
        .value_kind:     hidden_remainder_y
      - .offset:         110
        .size:           2
        .value_kind:     hidden_remainder_z
      - .offset:         128
        .size:           8
        .value_kind:     hidden_global_offset_x
      - .offset:         136
        .size:           8
        .value_kind:     hidden_global_offset_y
      - .offset:         144
        .size:           8
        .value_kind:     hidden_global_offset_z
      - .offset:         152
        .size:           2
        .value_kind:     hidden_grid_dims
    .group_segment_fixed_size: 0
    .kernarg_segment_align: 8
    .kernarg_segment_size: 344
    .language:       OpenCL C
    .language_version:
      - 2
      - 0
    .max_flat_workgroup_size: 256
    .name:           _ZN9rocsparseL21csrmvn_general_kernelILj256ELj4Ell18rocsparse_bfloat16S1_ffEEvbT2_NS_24const_host_device_scalarIT6_EEPKT1_S8_PKS2_PKT3_PKT4_S5_PT5_21rocsparse_index_base_b
    .private_segment_fixed_size: 0
    .sgpr_count:     28
    .sgpr_spill_count: 0
    .symbol:         _ZN9rocsparseL21csrmvn_general_kernelILj256ELj4Ell18rocsparse_bfloat16S1_ffEEvbT2_NS_24const_host_device_scalarIT6_EEPKT1_S8_PKS2_PKT3_PKT4_S5_PT5_21rocsparse_index_base_b.kd
    .uniform_work_group_size: 1
    .uses_dynamic_stack: false
    .vgpr_count:     18
    .vgpr_spill_count: 0
    .wavefront_size: 32
  - .args:
      - .offset:         0
        .size:           1
        .value_kind:     by_value
      - .offset:         8
        .size:           8
        .value_kind:     by_value
      - .offset:         16
        .size:           8
        .value_kind:     by_value
      - .address_space:  global
        .offset:         24
        .size:           8
        .value_kind:     global_buffer
      - .address_space:  global
        .offset:         32
        .size:           8
        .value_kind:     global_buffer
      - .actual_access:  read_only
        .address_space:  global
        .offset:         40
        .size:           8
        .value_kind:     global_buffer
      - .actual_access:  read_only
        .address_space:  global
        .offset:         48
        .size:           8
        .value_kind:     global_buffer
      - .actual_access:  read_only
        .address_space:  global
        .offset:         56
        .size:           8
        .value_kind:     global_buffer
      - .offset:         64
        .size:           8
        .value_kind:     by_value
      - .address_space:  global
        .offset:         72
        .size:           8
        .value_kind:     global_buffer
      - .offset:         80
        .size:           4
        .value_kind:     by_value
      - .offset:         84
        .size:           1
        .value_kind:     by_value
      - .offset:         88
        .size:           4
        .value_kind:     hidden_block_count_x
      - .offset:         92
        .size:           4
        .value_kind:     hidden_block_count_y
      - .offset:         96
        .size:           4
        .value_kind:     hidden_block_count_z
      - .offset:         100
        .size:           2
        .value_kind:     hidden_group_size_x
      - .offset:         102
        .size:           2
        .value_kind:     hidden_group_size_y
      - .offset:         104
        .size:           2
        .value_kind:     hidden_group_size_z
      - .offset:         106
        .size:           2
        .value_kind:     hidden_remainder_x
      - .offset:         108
        .size:           2
        .value_kind:     hidden_remainder_y
      - .offset:         110
        .size:           2
        .value_kind:     hidden_remainder_z
      - .offset:         128
        .size:           8
        .value_kind:     hidden_global_offset_x
      - .offset:         136
        .size:           8
        .value_kind:     hidden_global_offset_y
      - .offset:         144
        .size:           8
        .value_kind:     hidden_global_offset_z
      - .offset:         152
        .size:           2
        .value_kind:     hidden_grid_dims
    .group_segment_fixed_size: 0
    .kernarg_segment_align: 8
    .kernarg_segment_size: 344
    .language:       OpenCL C
    .language_version:
      - 2
      - 0
    .max_flat_workgroup_size: 256
    .name:           _ZN9rocsparseL21csrmvn_general_kernelILj256ELj8Ell18rocsparse_bfloat16S1_ffEEvbT2_NS_24const_host_device_scalarIT6_EEPKT1_S8_PKS2_PKT3_PKT4_S5_PT5_21rocsparse_index_base_b
    .private_segment_fixed_size: 0
    .sgpr_count:     28
    .sgpr_spill_count: 0
    .symbol:         _ZN9rocsparseL21csrmvn_general_kernelILj256ELj8Ell18rocsparse_bfloat16S1_ffEEvbT2_NS_24const_host_device_scalarIT6_EEPKT1_S8_PKS2_PKT3_PKT4_S5_PT5_21rocsparse_index_base_b.kd
    .uniform_work_group_size: 1
    .uses_dynamic_stack: false
    .vgpr_count:     19
    .vgpr_spill_count: 0
    .wavefront_size: 32
  - .args:
      - .offset:         0
        .size:           1
        .value_kind:     by_value
      - .offset:         8
        .size:           8
        .value_kind:     by_value
      - .offset:         16
        .size:           8
        .value_kind:     by_value
      - .address_space:  global
        .offset:         24
        .size:           8
        .value_kind:     global_buffer
      - .address_space:  global
        .offset:         32
        .size:           8
        .value_kind:     global_buffer
      - .actual_access:  read_only
        .address_space:  global
        .offset:         40
        .size:           8
        .value_kind:     global_buffer
      - .actual_access:  read_only
        .address_space:  global
        .offset:         48
        .size:           8
        .value_kind:     global_buffer
      - .actual_access:  read_only
        .address_space:  global
        .offset:         56
        .size:           8
        .value_kind:     global_buffer
      - .offset:         64
        .size:           8
        .value_kind:     by_value
      - .address_space:  global
        .offset:         72
        .size:           8
        .value_kind:     global_buffer
      - .offset:         80
        .size:           4
        .value_kind:     by_value
      - .offset:         84
        .size:           1
        .value_kind:     by_value
      - .offset:         88
        .size:           4
        .value_kind:     hidden_block_count_x
      - .offset:         92
        .size:           4
        .value_kind:     hidden_block_count_y
      - .offset:         96
        .size:           4
        .value_kind:     hidden_block_count_z
      - .offset:         100
        .size:           2
        .value_kind:     hidden_group_size_x
      - .offset:         102
        .size:           2
        .value_kind:     hidden_group_size_y
      - .offset:         104
        .size:           2
        .value_kind:     hidden_group_size_z
      - .offset:         106
        .size:           2
        .value_kind:     hidden_remainder_x
      - .offset:         108
        .size:           2
        .value_kind:     hidden_remainder_y
      - .offset:         110
        .size:           2
        .value_kind:     hidden_remainder_z
      - .offset:         128
        .size:           8
        .value_kind:     hidden_global_offset_x
      - .offset:         136
        .size:           8
        .value_kind:     hidden_global_offset_y
      - .offset:         144
        .size:           8
        .value_kind:     hidden_global_offset_z
      - .offset:         152
        .size:           2
        .value_kind:     hidden_grid_dims
    .group_segment_fixed_size: 0
    .kernarg_segment_align: 8
    .kernarg_segment_size: 344
    .language:       OpenCL C
    .language_version:
      - 2
      - 0
    .max_flat_workgroup_size: 256
    .name:           _ZN9rocsparseL21csrmvn_general_kernelILj256ELj16Ell18rocsparse_bfloat16S1_ffEEvbT2_NS_24const_host_device_scalarIT6_EEPKT1_S8_PKS2_PKT3_PKT4_S5_PT5_21rocsparse_index_base_b
    .private_segment_fixed_size: 0
    .sgpr_count:     28
    .sgpr_spill_count: 0
    .symbol:         _ZN9rocsparseL21csrmvn_general_kernelILj256ELj16Ell18rocsparse_bfloat16S1_ffEEvbT2_NS_24const_host_device_scalarIT6_EEPKT1_S8_PKS2_PKT3_PKT4_S5_PT5_21rocsparse_index_base_b.kd
    .uniform_work_group_size: 1
    .uses_dynamic_stack: false
    .vgpr_count:     20
    .vgpr_spill_count: 0
    .wavefront_size: 32
  - .args:
      - .offset:         0
        .size:           1
        .value_kind:     by_value
      - .offset:         8
        .size:           8
        .value_kind:     by_value
      - .offset:         16
        .size:           8
        .value_kind:     by_value
      - .address_space:  global
        .offset:         24
        .size:           8
        .value_kind:     global_buffer
      - .address_space:  global
        .offset:         32
        .size:           8
        .value_kind:     global_buffer
      - .actual_access:  read_only
        .address_space:  global
        .offset:         40
        .size:           8
        .value_kind:     global_buffer
      - .actual_access:  read_only
        .address_space:  global
        .offset:         48
        .size:           8
        .value_kind:     global_buffer
      - .actual_access:  read_only
        .address_space:  global
        .offset:         56
        .size:           8
        .value_kind:     global_buffer
      - .offset:         64
        .size:           8
        .value_kind:     by_value
      - .address_space:  global
        .offset:         72
        .size:           8
        .value_kind:     global_buffer
      - .offset:         80
        .size:           4
        .value_kind:     by_value
      - .offset:         84
        .size:           1
        .value_kind:     by_value
      - .offset:         88
        .size:           4
        .value_kind:     hidden_block_count_x
      - .offset:         92
        .size:           4
        .value_kind:     hidden_block_count_y
      - .offset:         96
        .size:           4
        .value_kind:     hidden_block_count_z
      - .offset:         100
        .size:           2
        .value_kind:     hidden_group_size_x
      - .offset:         102
        .size:           2
        .value_kind:     hidden_group_size_y
      - .offset:         104
        .size:           2
        .value_kind:     hidden_group_size_z
      - .offset:         106
        .size:           2
        .value_kind:     hidden_remainder_x
      - .offset:         108
        .size:           2
        .value_kind:     hidden_remainder_y
      - .offset:         110
        .size:           2
        .value_kind:     hidden_remainder_z
      - .offset:         128
        .size:           8
        .value_kind:     hidden_global_offset_x
      - .offset:         136
        .size:           8
        .value_kind:     hidden_global_offset_y
      - .offset:         144
        .size:           8
        .value_kind:     hidden_global_offset_z
      - .offset:         152
        .size:           2
        .value_kind:     hidden_grid_dims
    .group_segment_fixed_size: 0
    .kernarg_segment_align: 8
    .kernarg_segment_size: 344
    .language:       OpenCL C
    .language_version:
      - 2
      - 0
    .max_flat_workgroup_size: 256
    .name:           _ZN9rocsparseL21csrmvn_general_kernelILj256ELj32Ell18rocsparse_bfloat16S1_ffEEvbT2_NS_24const_host_device_scalarIT6_EEPKT1_S8_PKS2_PKT3_PKT4_S5_PT5_21rocsparse_index_base_b
    .private_segment_fixed_size: 0
    .sgpr_count:     28
    .sgpr_spill_count: 0
    .symbol:         _ZN9rocsparseL21csrmvn_general_kernelILj256ELj32Ell18rocsparse_bfloat16S1_ffEEvbT2_NS_24const_host_device_scalarIT6_EEPKT1_S8_PKS2_PKT3_PKT4_S5_PT5_21rocsparse_index_base_b.kd
    .uniform_work_group_size: 1
    .uses_dynamic_stack: false
    .vgpr_count:     21
    .vgpr_spill_count: 0
    .wavefront_size: 32
  - .args:
      - .offset:         0
        .size:           1
        .value_kind:     by_value
      - .offset:         8
        .size:           8
        .value_kind:     by_value
      - .offset:         16
        .size:           8
        .value_kind:     by_value
      - .address_space:  global
        .offset:         24
        .size:           8
        .value_kind:     global_buffer
      - .address_space:  global
        .offset:         32
        .size:           8
        .value_kind:     global_buffer
      - .actual_access:  read_only
        .address_space:  global
        .offset:         40
        .size:           8
        .value_kind:     global_buffer
      - .actual_access:  read_only
        .address_space:  global
        .offset:         48
        .size:           8
        .value_kind:     global_buffer
      - .actual_access:  read_only
        .address_space:  global
        .offset:         56
        .size:           8
        .value_kind:     global_buffer
      - .offset:         64
        .size:           8
        .value_kind:     by_value
      - .address_space:  global
        .offset:         72
        .size:           8
        .value_kind:     global_buffer
      - .offset:         80
        .size:           4
        .value_kind:     by_value
      - .offset:         84
        .size:           1
        .value_kind:     by_value
      - .offset:         88
        .size:           4
        .value_kind:     hidden_block_count_x
      - .offset:         92
        .size:           4
        .value_kind:     hidden_block_count_y
      - .offset:         96
        .size:           4
        .value_kind:     hidden_block_count_z
      - .offset:         100
        .size:           2
        .value_kind:     hidden_group_size_x
      - .offset:         102
        .size:           2
        .value_kind:     hidden_group_size_y
      - .offset:         104
        .size:           2
        .value_kind:     hidden_group_size_z
      - .offset:         106
        .size:           2
        .value_kind:     hidden_remainder_x
      - .offset:         108
        .size:           2
        .value_kind:     hidden_remainder_y
      - .offset:         110
        .size:           2
        .value_kind:     hidden_remainder_z
      - .offset:         128
        .size:           8
        .value_kind:     hidden_global_offset_x
      - .offset:         136
        .size:           8
        .value_kind:     hidden_global_offset_y
      - .offset:         144
        .size:           8
        .value_kind:     hidden_global_offset_z
      - .offset:         152
        .size:           2
        .value_kind:     hidden_grid_dims
    .group_segment_fixed_size: 0
    .kernarg_segment_align: 8
    .kernarg_segment_size: 344
    .language:       OpenCL C
    .language_version:
      - 2
      - 0
    .max_flat_workgroup_size: 256
    .name:           _ZN9rocsparseL21csrmvn_general_kernelILj256ELj64Ell18rocsparse_bfloat16S1_ffEEvbT2_NS_24const_host_device_scalarIT6_EEPKT1_S8_PKS2_PKT3_PKT4_S5_PT5_21rocsparse_index_base_b
    .private_segment_fixed_size: 0
    .sgpr_count:     28
    .sgpr_spill_count: 0
    .symbol:         _ZN9rocsparseL21csrmvn_general_kernelILj256ELj64Ell18rocsparse_bfloat16S1_ffEEvbT2_NS_24const_host_device_scalarIT6_EEPKT1_S8_PKS2_PKT3_PKT4_S5_PT5_21rocsparse_index_base_b.kd
    .uniform_work_group_size: 1
    .uses_dynamic_stack: false
    .vgpr_count:     22
    .vgpr_spill_count: 0
    .wavefront_size: 32
  - .args:
      - .offset:         0
        .size:           1
        .value_kind:     by_value
      - .offset:         1
        .size:           1
        .value_kind:     by_value
      - .offset:         8
        .size:           8
        .value_kind:     by_value
      - .offset:         16
        .size:           8
        .value_kind:     by_value
      - .address_space:  global
        .offset:         24
        .size:           8
        .value_kind:     global_buffer
      - .address_space:  global
        .offset:         32
        .size:           8
        .value_kind:     global_buffer
      - .actual_access:  read_only
        .address_space:  global
        .offset:         40
        .size:           8
        .value_kind:     global_buffer
      - .actual_access:  read_only
        .address_space:  global
        .offset:         48
        .size:           8
        .value_kind:     global_buffer
      - .actual_access:  read_only
        .address_space:  global
        .offset:         56
        .size:           8
        .value_kind:     global_buffer
      - .address_space:  global
        .offset:         64
        .size:           8
        .value_kind:     global_buffer
      - .offset:         72
        .size:           4
        .value_kind:     by_value
      - .offset:         76
        .size:           1
        .value_kind:     by_value
      - .offset:         80
        .size:           4
        .value_kind:     hidden_block_count_x
      - .offset:         84
        .size:           4
        .value_kind:     hidden_block_count_y
      - .offset:         88
        .size:           4
        .value_kind:     hidden_block_count_z
      - .offset:         92
        .size:           2
        .value_kind:     hidden_group_size_x
      - .offset:         94
        .size:           2
        .value_kind:     hidden_group_size_y
      - .offset:         96
        .size:           2
        .value_kind:     hidden_group_size_z
      - .offset:         98
        .size:           2
        .value_kind:     hidden_remainder_x
      - .offset:         100
        .size:           2
        .value_kind:     hidden_remainder_y
      - .offset:         102
        .size:           2
        .value_kind:     hidden_remainder_z
      - .offset:         120
        .size:           8
        .value_kind:     hidden_global_offset_x
      - .offset:         128
        .size:           8
        .value_kind:     hidden_global_offset_y
      - .offset:         136
        .size:           8
        .value_kind:     hidden_global_offset_z
      - .offset:         144
        .size:           2
        .value_kind:     hidden_grid_dims
    .group_segment_fixed_size: 0
    .kernarg_segment_align: 8
    .kernarg_segment_size: 336
    .language:       OpenCL C
    .language_version:
      - 2
      - 0
    .max_flat_workgroup_size: 256
    .name:           _ZN9rocsparseL21csrmvt_general_kernelILj256ELj4Ell18rocsparse_bfloat16S1_ffEEvbbT2_NS_24const_host_device_scalarIT6_EEPKT1_S8_PKS2_PKT3_PKT4_PT5_21rocsparse_index_base_b
    .private_segment_fixed_size: 0
    .sgpr_count:     26
    .sgpr_spill_count: 0
    .symbol:         _ZN9rocsparseL21csrmvt_general_kernelILj256ELj4Ell18rocsparse_bfloat16S1_ffEEvbbT2_NS_24const_host_device_scalarIT6_EEPKT1_S8_PKS2_PKT3_PKT4_PT5_21rocsparse_index_base_b.kd
    .uniform_work_group_size: 1
    .uses_dynamic_stack: false
    .vgpr_count:     19
    .vgpr_spill_count: 0
    .wavefront_size: 32
  - .args:
      - .offset:         0
        .size:           1
        .value_kind:     by_value
      - .offset:         1
        .size:           1
        .value_kind:     by_value
      - .offset:         8
        .size:           8
        .value_kind:     by_value
      - .offset:         16
        .size:           8
        .value_kind:     by_value
      - .address_space:  global
        .offset:         24
        .size:           8
        .value_kind:     global_buffer
      - .address_space:  global
        .offset:         32
        .size:           8
        .value_kind:     global_buffer
      - .actual_access:  read_only
        .address_space:  global
        .offset:         40
        .size:           8
        .value_kind:     global_buffer
      - .actual_access:  read_only
        .address_space:  global
        .offset:         48
        .size:           8
        .value_kind:     global_buffer
      - .actual_access:  read_only
        .address_space:  global
        .offset:         56
        .size:           8
        .value_kind:     global_buffer
      - .address_space:  global
        .offset:         64
        .size:           8
        .value_kind:     global_buffer
      - .offset:         72
        .size:           4
        .value_kind:     by_value
      - .offset:         76
        .size:           1
        .value_kind:     by_value
      - .offset:         80
        .size:           4
        .value_kind:     hidden_block_count_x
      - .offset:         84
        .size:           4
        .value_kind:     hidden_block_count_y
      - .offset:         88
        .size:           4
        .value_kind:     hidden_block_count_z
      - .offset:         92
        .size:           2
        .value_kind:     hidden_group_size_x
      - .offset:         94
        .size:           2
        .value_kind:     hidden_group_size_y
      - .offset:         96
        .size:           2
        .value_kind:     hidden_group_size_z
      - .offset:         98
        .size:           2
        .value_kind:     hidden_remainder_x
      - .offset:         100
        .size:           2
        .value_kind:     hidden_remainder_y
      - .offset:         102
        .size:           2
        .value_kind:     hidden_remainder_z
      - .offset:         120
        .size:           8
        .value_kind:     hidden_global_offset_x
      - .offset:         128
        .size:           8
        .value_kind:     hidden_global_offset_y
      - .offset:         136
        .size:           8
        .value_kind:     hidden_global_offset_z
      - .offset:         144
        .size:           2
        .value_kind:     hidden_grid_dims
    .group_segment_fixed_size: 0
    .kernarg_segment_align: 8
    .kernarg_segment_size: 336
    .language:       OpenCL C
    .language_version:
      - 2
      - 0
    .max_flat_workgroup_size: 256
    .name:           _ZN9rocsparseL21csrmvt_general_kernelILj256ELj8Ell18rocsparse_bfloat16S1_ffEEvbbT2_NS_24const_host_device_scalarIT6_EEPKT1_S8_PKS2_PKT3_PKT4_PT5_21rocsparse_index_base_b
    .private_segment_fixed_size: 0
    .sgpr_count:     26
    .sgpr_spill_count: 0
    .symbol:         _ZN9rocsparseL21csrmvt_general_kernelILj256ELj8Ell18rocsparse_bfloat16S1_ffEEvbbT2_NS_24const_host_device_scalarIT6_EEPKT1_S8_PKS2_PKT3_PKT4_PT5_21rocsparse_index_base_b.kd
    .uniform_work_group_size: 1
    .uses_dynamic_stack: false
    .vgpr_count:     19
    .vgpr_spill_count: 0
    .wavefront_size: 32
  - .args:
      - .offset:         0
        .size:           1
        .value_kind:     by_value
      - .offset:         1
        .size:           1
        .value_kind:     by_value
      - .offset:         8
        .size:           8
        .value_kind:     by_value
      - .offset:         16
        .size:           8
        .value_kind:     by_value
      - .address_space:  global
        .offset:         24
        .size:           8
        .value_kind:     global_buffer
      - .address_space:  global
        .offset:         32
        .size:           8
        .value_kind:     global_buffer
      - .actual_access:  read_only
        .address_space:  global
        .offset:         40
        .size:           8
        .value_kind:     global_buffer
      - .actual_access:  read_only
        .address_space:  global
        .offset:         48
        .size:           8
        .value_kind:     global_buffer
      - .actual_access:  read_only
        .address_space:  global
        .offset:         56
        .size:           8
        .value_kind:     global_buffer
      - .address_space:  global
        .offset:         64
        .size:           8
        .value_kind:     global_buffer
      - .offset:         72
        .size:           4
        .value_kind:     by_value
      - .offset:         76
        .size:           1
        .value_kind:     by_value
      - .offset:         80
        .size:           4
        .value_kind:     hidden_block_count_x
      - .offset:         84
        .size:           4
        .value_kind:     hidden_block_count_y
      - .offset:         88
        .size:           4
        .value_kind:     hidden_block_count_z
      - .offset:         92
        .size:           2
        .value_kind:     hidden_group_size_x
      - .offset:         94
        .size:           2
        .value_kind:     hidden_group_size_y
      - .offset:         96
        .size:           2
        .value_kind:     hidden_group_size_z
      - .offset:         98
        .size:           2
        .value_kind:     hidden_remainder_x
      - .offset:         100
        .size:           2
        .value_kind:     hidden_remainder_y
      - .offset:         102
        .size:           2
        .value_kind:     hidden_remainder_z
      - .offset:         120
        .size:           8
        .value_kind:     hidden_global_offset_x
      - .offset:         128
        .size:           8
        .value_kind:     hidden_global_offset_y
      - .offset:         136
        .size:           8
        .value_kind:     hidden_global_offset_z
      - .offset:         144
        .size:           2
        .value_kind:     hidden_grid_dims
    .group_segment_fixed_size: 0
    .kernarg_segment_align: 8
    .kernarg_segment_size: 336
    .language:       OpenCL C
    .language_version:
      - 2
      - 0
    .max_flat_workgroup_size: 256
    .name:           _ZN9rocsparseL21csrmvt_general_kernelILj256ELj16Ell18rocsparse_bfloat16S1_ffEEvbbT2_NS_24const_host_device_scalarIT6_EEPKT1_S8_PKS2_PKT3_PKT4_PT5_21rocsparse_index_base_b
    .private_segment_fixed_size: 0
    .sgpr_count:     26
    .sgpr_spill_count: 0
    .symbol:         _ZN9rocsparseL21csrmvt_general_kernelILj256ELj16Ell18rocsparse_bfloat16S1_ffEEvbbT2_NS_24const_host_device_scalarIT6_EEPKT1_S8_PKS2_PKT3_PKT4_PT5_21rocsparse_index_base_b.kd
    .uniform_work_group_size: 1
    .uses_dynamic_stack: false
    .vgpr_count:     19
    .vgpr_spill_count: 0
    .wavefront_size: 32
  - .args:
      - .offset:         0
        .size:           1
        .value_kind:     by_value
      - .offset:         1
        .size:           1
        .value_kind:     by_value
      - .offset:         8
        .size:           8
        .value_kind:     by_value
      - .offset:         16
        .size:           8
        .value_kind:     by_value
      - .address_space:  global
        .offset:         24
        .size:           8
        .value_kind:     global_buffer
      - .address_space:  global
        .offset:         32
        .size:           8
        .value_kind:     global_buffer
      - .actual_access:  read_only
        .address_space:  global
        .offset:         40
        .size:           8
        .value_kind:     global_buffer
      - .actual_access:  read_only
        .address_space:  global
        .offset:         48
        .size:           8
        .value_kind:     global_buffer
      - .actual_access:  read_only
        .address_space:  global
        .offset:         56
        .size:           8
        .value_kind:     global_buffer
      - .address_space:  global
        .offset:         64
        .size:           8
        .value_kind:     global_buffer
      - .offset:         72
        .size:           4
        .value_kind:     by_value
      - .offset:         76
        .size:           1
        .value_kind:     by_value
      - .offset:         80
        .size:           4
        .value_kind:     hidden_block_count_x
      - .offset:         84
        .size:           4
        .value_kind:     hidden_block_count_y
      - .offset:         88
        .size:           4
        .value_kind:     hidden_block_count_z
      - .offset:         92
        .size:           2
        .value_kind:     hidden_group_size_x
      - .offset:         94
        .size:           2
        .value_kind:     hidden_group_size_y
      - .offset:         96
        .size:           2
        .value_kind:     hidden_group_size_z
      - .offset:         98
        .size:           2
        .value_kind:     hidden_remainder_x
      - .offset:         100
        .size:           2
        .value_kind:     hidden_remainder_y
      - .offset:         102
        .size:           2
        .value_kind:     hidden_remainder_z
      - .offset:         120
        .size:           8
        .value_kind:     hidden_global_offset_x
      - .offset:         128
        .size:           8
        .value_kind:     hidden_global_offset_y
      - .offset:         136
        .size:           8
        .value_kind:     hidden_global_offset_z
      - .offset:         144
        .size:           2
        .value_kind:     hidden_grid_dims
    .group_segment_fixed_size: 0
    .kernarg_segment_align: 8
    .kernarg_segment_size: 336
    .language:       OpenCL C
    .language_version:
      - 2
      - 0
    .max_flat_workgroup_size: 256
    .name:           _ZN9rocsparseL21csrmvt_general_kernelILj256ELj32Ell18rocsparse_bfloat16S1_ffEEvbbT2_NS_24const_host_device_scalarIT6_EEPKT1_S8_PKS2_PKT3_PKT4_PT5_21rocsparse_index_base_b
    .private_segment_fixed_size: 0
    .sgpr_count:     26
    .sgpr_spill_count: 0
    .symbol:         _ZN9rocsparseL21csrmvt_general_kernelILj256ELj32Ell18rocsparse_bfloat16S1_ffEEvbbT2_NS_24const_host_device_scalarIT6_EEPKT1_S8_PKS2_PKT3_PKT4_PT5_21rocsparse_index_base_b.kd
    .uniform_work_group_size: 1
    .uses_dynamic_stack: false
    .vgpr_count:     19
    .vgpr_spill_count: 0
    .wavefront_size: 32
  - .args:
      - .offset:         0
        .size:           1
        .value_kind:     by_value
      - .offset:         1
        .size:           1
        .value_kind:     by_value
      - .offset:         8
        .size:           8
        .value_kind:     by_value
      - .offset:         16
        .size:           8
        .value_kind:     by_value
      - .address_space:  global
        .offset:         24
        .size:           8
        .value_kind:     global_buffer
      - .address_space:  global
        .offset:         32
        .size:           8
        .value_kind:     global_buffer
      - .actual_access:  read_only
        .address_space:  global
        .offset:         40
        .size:           8
        .value_kind:     global_buffer
      - .actual_access:  read_only
        .address_space:  global
        .offset:         48
        .size:           8
        .value_kind:     global_buffer
      - .actual_access:  read_only
        .address_space:  global
        .offset:         56
        .size:           8
        .value_kind:     global_buffer
      - .address_space:  global
        .offset:         64
        .size:           8
        .value_kind:     global_buffer
      - .offset:         72
        .size:           4
        .value_kind:     by_value
      - .offset:         76
        .size:           1
        .value_kind:     by_value
      - .offset:         80
        .size:           4
        .value_kind:     hidden_block_count_x
      - .offset:         84
        .size:           4
        .value_kind:     hidden_block_count_y
      - .offset:         88
        .size:           4
        .value_kind:     hidden_block_count_z
      - .offset:         92
        .size:           2
        .value_kind:     hidden_group_size_x
      - .offset:         94
        .size:           2
        .value_kind:     hidden_group_size_y
      - .offset:         96
        .size:           2
        .value_kind:     hidden_group_size_z
      - .offset:         98
        .size:           2
        .value_kind:     hidden_remainder_x
      - .offset:         100
        .size:           2
        .value_kind:     hidden_remainder_y
      - .offset:         102
        .size:           2
        .value_kind:     hidden_remainder_z
      - .offset:         120
        .size:           8
        .value_kind:     hidden_global_offset_x
      - .offset:         128
        .size:           8
        .value_kind:     hidden_global_offset_y
      - .offset:         136
        .size:           8
        .value_kind:     hidden_global_offset_z
      - .offset:         144
        .size:           2
        .value_kind:     hidden_grid_dims
    .group_segment_fixed_size: 0
    .kernarg_segment_align: 8
    .kernarg_segment_size: 336
    .language:       OpenCL C
    .language_version:
      - 2
      - 0
    .max_flat_workgroup_size: 256
    .name:           _ZN9rocsparseL21csrmvt_general_kernelILj256ELj64Ell18rocsparse_bfloat16S1_ffEEvbbT2_NS_24const_host_device_scalarIT6_EEPKT1_S8_PKS2_PKT3_PKT4_PT5_21rocsparse_index_base_b
    .private_segment_fixed_size: 0
    .sgpr_count:     26
    .sgpr_spill_count: 0
    .symbol:         _ZN9rocsparseL21csrmvt_general_kernelILj256ELj64Ell18rocsparse_bfloat16S1_ffEEvbbT2_NS_24const_host_device_scalarIT6_EEPKT1_S8_PKS2_PKT3_PKT4_PT5_21rocsparse_index_base_b.kd
    .uniform_work_group_size: 1
    .uses_dynamic_stack: false
    .vgpr_count:     19
    .vgpr_spill_count: 0
    .wavefront_size: 32
  - .args:
      - .offset:         0
        .size:           1
        .value_kind:     by_value
      - .offset:         4
        .size:           4
        .value_kind:     by_value
      - .offset:         8
        .size:           8
        .value_kind:     by_value
      - .address_space:  global
        .offset:         16
        .size:           8
        .value_kind:     global_buffer
      - .address_space:  global
        .offset:         24
        .size:           8
        .value_kind:     global_buffer
      - .actual_access:  read_only
        .address_space:  global
        .offset:         32
        .size:           8
        .value_kind:     global_buffer
      - .actual_access:  read_only
        .address_space:  global
        .offset:         40
        .size:           8
        .value_kind:     global_buffer
      - .actual_access:  read_only
        .address_space:  global
        .offset:         48
        .size:           8
        .value_kind:     global_buffer
      - .offset:         56
        .size:           8
        .value_kind:     by_value
      - .address_space:  global
        .offset:         64
        .size:           8
        .value_kind:     global_buffer
      - .offset:         72
        .size:           4
        .value_kind:     by_value
      - .offset:         76
        .size:           1
        .value_kind:     by_value
      - .offset:         80
        .size:           4
        .value_kind:     hidden_block_count_x
      - .offset:         84
        .size:           4
        .value_kind:     hidden_block_count_y
      - .offset:         88
        .size:           4
        .value_kind:     hidden_block_count_z
      - .offset:         92
        .size:           2
        .value_kind:     hidden_group_size_x
      - .offset:         94
        .size:           2
        .value_kind:     hidden_group_size_y
      - .offset:         96
        .size:           2
        .value_kind:     hidden_group_size_z
      - .offset:         98
        .size:           2
        .value_kind:     hidden_remainder_x
      - .offset:         100
        .size:           2
        .value_kind:     hidden_remainder_y
      - .offset:         102
        .size:           2
        .value_kind:     hidden_remainder_z
      - .offset:         120
        .size:           8
        .value_kind:     hidden_global_offset_x
      - .offset:         128
        .size:           8
        .value_kind:     hidden_global_offset_y
      - .offset:         136
        .size:           8
        .value_kind:     hidden_global_offset_z
      - .offset:         144
        .size:           2
        .value_kind:     hidden_grid_dims
    .group_segment_fixed_size: 0
    .kernarg_segment_align: 8
    .kernarg_segment_size: 336
    .language:       OpenCL C
    .language_version:
      - 2
      - 0
    .max_flat_workgroup_size: 256
    .name:           _ZN9rocsparseL21csrmvn_general_kernelILj256ELj2Eiif21rocsparse_complex_numIfES2_S2_EEvbT2_NS_24const_host_device_scalarIT6_EEPKT1_S9_PKS3_PKT3_PKT4_S6_PT5_21rocsparse_index_base_b
    .private_segment_fixed_size: 0
    .sgpr_count:     22
    .sgpr_spill_count: 0
    .symbol:         _ZN9rocsparseL21csrmvn_general_kernelILj256ELj2Eiif21rocsparse_complex_numIfES2_S2_EEvbT2_NS_24const_host_device_scalarIT6_EEPKT1_S9_PKS3_PKT3_PKT4_S6_PT5_21rocsparse_index_base_b.kd
    .uniform_work_group_size: 1
    .uses_dynamic_stack: false
    .vgpr_count:     20
    .vgpr_spill_count: 0
    .wavefront_size: 32
  - .args:
      - .offset:         0
        .size:           1
        .value_kind:     by_value
      - .offset:         4
        .size:           4
        .value_kind:     by_value
      - .offset:         8
        .size:           8
        .value_kind:     by_value
      - .address_space:  global
        .offset:         16
        .size:           8
        .value_kind:     global_buffer
      - .address_space:  global
        .offset:         24
        .size:           8
        .value_kind:     global_buffer
      - .actual_access:  read_only
        .address_space:  global
        .offset:         32
        .size:           8
        .value_kind:     global_buffer
      - .actual_access:  read_only
        .address_space:  global
        .offset:         40
        .size:           8
        .value_kind:     global_buffer
      - .actual_access:  read_only
        .address_space:  global
        .offset:         48
        .size:           8
        .value_kind:     global_buffer
      - .offset:         56
        .size:           8
        .value_kind:     by_value
      - .address_space:  global
        .offset:         64
        .size:           8
        .value_kind:     global_buffer
      - .offset:         72
        .size:           4
        .value_kind:     by_value
      - .offset:         76
        .size:           1
        .value_kind:     by_value
      - .offset:         80
        .size:           4
        .value_kind:     hidden_block_count_x
      - .offset:         84
        .size:           4
        .value_kind:     hidden_block_count_y
      - .offset:         88
        .size:           4
        .value_kind:     hidden_block_count_z
      - .offset:         92
        .size:           2
        .value_kind:     hidden_group_size_x
      - .offset:         94
        .size:           2
        .value_kind:     hidden_group_size_y
      - .offset:         96
        .size:           2
        .value_kind:     hidden_group_size_z
      - .offset:         98
        .size:           2
        .value_kind:     hidden_remainder_x
      - .offset:         100
        .size:           2
        .value_kind:     hidden_remainder_y
      - .offset:         102
        .size:           2
        .value_kind:     hidden_remainder_z
      - .offset:         120
        .size:           8
        .value_kind:     hidden_global_offset_x
      - .offset:         128
        .size:           8
        .value_kind:     hidden_global_offset_y
      - .offset:         136
        .size:           8
        .value_kind:     hidden_global_offset_z
      - .offset:         144
        .size:           2
        .value_kind:     hidden_grid_dims
    .group_segment_fixed_size: 0
    .kernarg_segment_align: 8
    .kernarg_segment_size: 336
    .language:       OpenCL C
    .language_version:
      - 2
      - 0
    .max_flat_workgroup_size: 256
    .name:           _ZN9rocsparseL21csrmvn_general_kernelILj256ELj4Eiif21rocsparse_complex_numIfES2_S2_EEvbT2_NS_24const_host_device_scalarIT6_EEPKT1_S9_PKS3_PKT3_PKT4_S6_PT5_21rocsparse_index_base_b
    .private_segment_fixed_size: 0
    .sgpr_count:     22
    .sgpr_spill_count: 0
    .symbol:         _ZN9rocsparseL21csrmvn_general_kernelILj256ELj4Eiif21rocsparse_complex_numIfES2_S2_EEvbT2_NS_24const_host_device_scalarIT6_EEPKT1_S9_PKS3_PKT3_PKT4_S6_PT5_21rocsparse_index_base_b.kd
    .uniform_work_group_size: 1
    .uses_dynamic_stack: false
    .vgpr_count:     22
    .vgpr_spill_count: 0
    .wavefront_size: 32
  - .args:
      - .offset:         0
        .size:           1
        .value_kind:     by_value
      - .offset:         4
        .size:           4
        .value_kind:     by_value
      - .offset:         8
        .size:           8
        .value_kind:     by_value
      - .address_space:  global
        .offset:         16
        .size:           8
        .value_kind:     global_buffer
      - .address_space:  global
        .offset:         24
        .size:           8
        .value_kind:     global_buffer
      - .actual_access:  read_only
        .address_space:  global
        .offset:         32
        .size:           8
        .value_kind:     global_buffer
      - .actual_access:  read_only
        .address_space:  global
        .offset:         40
        .size:           8
        .value_kind:     global_buffer
      - .actual_access:  read_only
        .address_space:  global
        .offset:         48
        .size:           8
        .value_kind:     global_buffer
      - .offset:         56
        .size:           8
        .value_kind:     by_value
      - .address_space:  global
        .offset:         64
        .size:           8
        .value_kind:     global_buffer
      - .offset:         72
        .size:           4
        .value_kind:     by_value
      - .offset:         76
        .size:           1
        .value_kind:     by_value
      - .offset:         80
        .size:           4
        .value_kind:     hidden_block_count_x
      - .offset:         84
        .size:           4
        .value_kind:     hidden_block_count_y
      - .offset:         88
        .size:           4
        .value_kind:     hidden_block_count_z
      - .offset:         92
        .size:           2
        .value_kind:     hidden_group_size_x
      - .offset:         94
        .size:           2
        .value_kind:     hidden_group_size_y
      - .offset:         96
        .size:           2
        .value_kind:     hidden_group_size_z
      - .offset:         98
        .size:           2
        .value_kind:     hidden_remainder_x
      - .offset:         100
        .size:           2
        .value_kind:     hidden_remainder_y
      - .offset:         102
        .size:           2
        .value_kind:     hidden_remainder_z
      - .offset:         120
        .size:           8
        .value_kind:     hidden_global_offset_x
      - .offset:         128
        .size:           8
        .value_kind:     hidden_global_offset_y
      - .offset:         136
        .size:           8
        .value_kind:     hidden_global_offset_z
      - .offset:         144
        .size:           2
        .value_kind:     hidden_grid_dims
    .group_segment_fixed_size: 0
    .kernarg_segment_align: 8
    .kernarg_segment_size: 336
    .language:       OpenCL C
    .language_version:
      - 2
      - 0
    .max_flat_workgroup_size: 256
    .name:           _ZN9rocsparseL21csrmvn_general_kernelILj256ELj8Eiif21rocsparse_complex_numIfES2_S2_EEvbT2_NS_24const_host_device_scalarIT6_EEPKT1_S9_PKS3_PKT3_PKT4_S6_PT5_21rocsparse_index_base_b
    .private_segment_fixed_size: 0
    .sgpr_count:     22
    .sgpr_spill_count: 0
    .symbol:         _ZN9rocsparseL21csrmvn_general_kernelILj256ELj8Eiif21rocsparse_complex_numIfES2_S2_EEvbT2_NS_24const_host_device_scalarIT6_EEPKT1_S9_PKS3_PKT3_PKT4_S6_PT5_21rocsparse_index_base_b.kd
    .uniform_work_group_size: 1
    .uses_dynamic_stack: false
    .vgpr_count:     22
    .vgpr_spill_count: 0
    .wavefront_size: 32
  - .args:
      - .offset:         0
        .size:           1
        .value_kind:     by_value
      - .offset:         4
        .size:           4
        .value_kind:     by_value
      - .offset:         8
        .size:           8
        .value_kind:     by_value
      - .address_space:  global
        .offset:         16
        .size:           8
        .value_kind:     global_buffer
      - .address_space:  global
        .offset:         24
        .size:           8
        .value_kind:     global_buffer
      - .actual_access:  read_only
        .address_space:  global
        .offset:         32
        .size:           8
        .value_kind:     global_buffer
      - .actual_access:  read_only
        .address_space:  global
        .offset:         40
        .size:           8
        .value_kind:     global_buffer
      - .actual_access:  read_only
        .address_space:  global
        .offset:         48
        .size:           8
        .value_kind:     global_buffer
      - .offset:         56
        .size:           8
        .value_kind:     by_value
      - .address_space:  global
        .offset:         64
        .size:           8
        .value_kind:     global_buffer
      - .offset:         72
        .size:           4
        .value_kind:     by_value
      - .offset:         76
        .size:           1
        .value_kind:     by_value
      - .offset:         80
        .size:           4
        .value_kind:     hidden_block_count_x
      - .offset:         84
        .size:           4
        .value_kind:     hidden_block_count_y
      - .offset:         88
        .size:           4
        .value_kind:     hidden_block_count_z
      - .offset:         92
        .size:           2
        .value_kind:     hidden_group_size_x
      - .offset:         94
        .size:           2
        .value_kind:     hidden_group_size_y
      - .offset:         96
        .size:           2
        .value_kind:     hidden_group_size_z
      - .offset:         98
        .size:           2
        .value_kind:     hidden_remainder_x
      - .offset:         100
        .size:           2
        .value_kind:     hidden_remainder_y
      - .offset:         102
        .size:           2
        .value_kind:     hidden_remainder_z
      - .offset:         120
        .size:           8
        .value_kind:     hidden_global_offset_x
      - .offset:         128
        .size:           8
        .value_kind:     hidden_global_offset_y
      - .offset:         136
        .size:           8
        .value_kind:     hidden_global_offset_z
      - .offset:         144
        .size:           2
        .value_kind:     hidden_grid_dims
    .group_segment_fixed_size: 0
    .kernarg_segment_align: 8
    .kernarg_segment_size: 336
    .language:       OpenCL C
    .language_version:
      - 2
      - 0
    .max_flat_workgroup_size: 256
    .name:           _ZN9rocsparseL21csrmvn_general_kernelILj256ELj16Eiif21rocsparse_complex_numIfES2_S2_EEvbT2_NS_24const_host_device_scalarIT6_EEPKT1_S9_PKS3_PKT3_PKT4_S6_PT5_21rocsparse_index_base_b
    .private_segment_fixed_size: 0
    .sgpr_count:     22
    .sgpr_spill_count: 0
    .symbol:         _ZN9rocsparseL21csrmvn_general_kernelILj256ELj16Eiif21rocsparse_complex_numIfES2_S2_EEvbT2_NS_24const_host_device_scalarIT6_EEPKT1_S9_PKS3_PKT3_PKT4_S6_PT5_21rocsparse_index_base_b.kd
    .uniform_work_group_size: 1
    .uses_dynamic_stack: false
    .vgpr_count:     24
    .vgpr_spill_count: 0
    .wavefront_size: 32
  - .args:
      - .offset:         0
        .size:           1
        .value_kind:     by_value
      - .offset:         4
        .size:           4
        .value_kind:     by_value
      - .offset:         8
        .size:           8
        .value_kind:     by_value
      - .address_space:  global
        .offset:         16
        .size:           8
        .value_kind:     global_buffer
      - .address_space:  global
        .offset:         24
        .size:           8
        .value_kind:     global_buffer
      - .actual_access:  read_only
        .address_space:  global
        .offset:         32
        .size:           8
        .value_kind:     global_buffer
      - .actual_access:  read_only
        .address_space:  global
        .offset:         40
        .size:           8
        .value_kind:     global_buffer
      - .actual_access:  read_only
        .address_space:  global
        .offset:         48
        .size:           8
        .value_kind:     global_buffer
      - .offset:         56
        .size:           8
        .value_kind:     by_value
      - .address_space:  global
        .offset:         64
        .size:           8
        .value_kind:     global_buffer
      - .offset:         72
        .size:           4
        .value_kind:     by_value
      - .offset:         76
        .size:           1
        .value_kind:     by_value
      - .offset:         80
        .size:           4
        .value_kind:     hidden_block_count_x
      - .offset:         84
        .size:           4
        .value_kind:     hidden_block_count_y
      - .offset:         88
        .size:           4
        .value_kind:     hidden_block_count_z
      - .offset:         92
        .size:           2
        .value_kind:     hidden_group_size_x
      - .offset:         94
        .size:           2
        .value_kind:     hidden_group_size_y
      - .offset:         96
        .size:           2
        .value_kind:     hidden_group_size_z
      - .offset:         98
        .size:           2
        .value_kind:     hidden_remainder_x
      - .offset:         100
        .size:           2
        .value_kind:     hidden_remainder_y
      - .offset:         102
        .size:           2
        .value_kind:     hidden_remainder_z
      - .offset:         120
        .size:           8
        .value_kind:     hidden_global_offset_x
      - .offset:         128
        .size:           8
        .value_kind:     hidden_global_offset_y
      - .offset:         136
        .size:           8
        .value_kind:     hidden_global_offset_z
      - .offset:         144
        .size:           2
        .value_kind:     hidden_grid_dims
    .group_segment_fixed_size: 0
    .kernarg_segment_align: 8
    .kernarg_segment_size: 336
    .language:       OpenCL C
    .language_version:
      - 2
      - 0
    .max_flat_workgroup_size: 256
    .name:           _ZN9rocsparseL21csrmvn_general_kernelILj256ELj32Eiif21rocsparse_complex_numIfES2_S2_EEvbT2_NS_24const_host_device_scalarIT6_EEPKT1_S9_PKS3_PKT3_PKT4_S6_PT5_21rocsparse_index_base_b
    .private_segment_fixed_size: 0
    .sgpr_count:     22
    .sgpr_spill_count: 0
    .symbol:         _ZN9rocsparseL21csrmvn_general_kernelILj256ELj32Eiif21rocsparse_complex_numIfES2_S2_EEvbT2_NS_24const_host_device_scalarIT6_EEPKT1_S9_PKS3_PKT3_PKT4_S6_PT5_21rocsparse_index_base_b.kd
    .uniform_work_group_size: 1
    .uses_dynamic_stack: false
    .vgpr_count:     24
    .vgpr_spill_count: 0
    .wavefront_size: 32
  - .args:
      - .offset:         0
        .size:           1
        .value_kind:     by_value
      - .offset:         4
        .size:           4
        .value_kind:     by_value
      - .offset:         8
        .size:           8
        .value_kind:     by_value
      - .address_space:  global
        .offset:         16
        .size:           8
        .value_kind:     global_buffer
      - .address_space:  global
        .offset:         24
        .size:           8
        .value_kind:     global_buffer
      - .actual_access:  read_only
        .address_space:  global
        .offset:         32
        .size:           8
        .value_kind:     global_buffer
      - .actual_access:  read_only
        .address_space:  global
        .offset:         40
        .size:           8
        .value_kind:     global_buffer
      - .actual_access:  read_only
        .address_space:  global
        .offset:         48
        .size:           8
        .value_kind:     global_buffer
      - .offset:         56
        .size:           8
        .value_kind:     by_value
      - .address_space:  global
        .offset:         64
        .size:           8
        .value_kind:     global_buffer
      - .offset:         72
        .size:           4
        .value_kind:     by_value
      - .offset:         76
        .size:           1
        .value_kind:     by_value
      - .offset:         80
        .size:           4
        .value_kind:     hidden_block_count_x
      - .offset:         84
        .size:           4
        .value_kind:     hidden_block_count_y
      - .offset:         88
        .size:           4
        .value_kind:     hidden_block_count_z
      - .offset:         92
        .size:           2
        .value_kind:     hidden_group_size_x
      - .offset:         94
        .size:           2
        .value_kind:     hidden_group_size_y
      - .offset:         96
        .size:           2
        .value_kind:     hidden_group_size_z
      - .offset:         98
        .size:           2
        .value_kind:     hidden_remainder_x
      - .offset:         100
        .size:           2
        .value_kind:     hidden_remainder_y
      - .offset:         102
        .size:           2
        .value_kind:     hidden_remainder_z
      - .offset:         120
        .size:           8
        .value_kind:     hidden_global_offset_x
      - .offset:         128
        .size:           8
        .value_kind:     hidden_global_offset_y
      - .offset:         136
        .size:           8
        .value_kind:     hidden_global_offset_z
      - .offset:         144
        .size:           2
        .value_kind:     hidden_grid_dims
    .group_segment_fixed_size: 0
    .kernarg_segment_align: 8
    .kernarg_segment_size: 336
    .language:       OpenCL C
    .language_version:
      - 2
      - 0
    .max_flat_workgroup_size: 256
    .name:           _ZN9rocsparseL21csrmvn_general_kernelILj256ELj64Eiif21rocsparse_complex_numIfES2_S2_EEvbT2_NS_24const_host_device_scalarIT6_EEPKT1_S9_PKS3_PKT3_PKT4_S6_PT5_21rocsparse_index_base_b
    .private_segment_fixed_size: 0
    .sgpr_count:     22
    .sgpr_spill_count: 0
    .symbol:         _ZN9rocsparseL21csrmvn_general_kernelILj256ELj64Eiif21rocsparse_complex_numIfES2_S2_EEvbT2_NS_24const_host_device_scalarIT6_EEPKT1_S9_PKS3_PKT3_PKT4_S6_PT5_21rocsparse_index_base_b.kd
    .uniform_work_group_size: 1
    .uses_dynamic_stack: false
    .vgpr_count:     26
    .vgpr_spill_count: 0
    .wavefront_size: 32
  - .args:
      - .offset:         0
        .size:           1
        .value_kind:     by_value
      - .offset:         1
        .size:           1
        .value_kind:     by_value
      - .offset:         4
        .size:           4
        .value_kind:     by_value
      - .offset:         8
        .size:           8
        .value_kind:     by_value
      - .address_space:  global
        .offset:         16
        .size:           8
        .value_kind:     global_buffer
      - .address_space:  global
        .offset:         24
        .size:           8
        .value_kind:     global_buffer
      - .actual_access:  read_only
        .address_space:  global
        .offset:         32
        .size:           8
        .value_kind:     global_buffer
      - .actual_access:  read_only
        .address_space:  global
        .offset:         40
        .size:           8
        .value_kind:     global_buffer
      - .actual_access:  read_only
        .address_space:  global
        .offset:         48
        .size:           8
        .value_kind:     global_buffer
      - .address_space:  global
        .offset:         56
        .size:           8
        .value_kind:     global_buffer
      - .offset:         64
        .size:           4
        .value_kind:     by_value
      - .offset:         68
        .size:           1
        .value_kind:     by_value
      - .offset:         72
        .size:           4
        .value_kind:     hidden_block_count_x
      - .offset:         76
        .size:           4
        .value_kind:     hidden_block_count_y
      - .offset:         80
        .size:           4
        .value_kind:     hidden_block_count_z
      - .offset:         84
        .size:           2
        .value_kind:     hidden_group_size_x
      - .offset:         86
        .size:           2
        .value_kind:     hidden_group_size_y
      - .offset:         88
        .size:           2
        .value_kind:     hidden_group_size_z
      - .offset:         90
        .size:           2
        .value_kind:     hidden_remainder_x
      - .offset:         92
        .size:           2
        .value_kind:     hidden_remainder_y
      - .offset:         94
        .size:           2
        .value_kind:     hidden_remainder_z
      - .offset:         112
        .size:           8
        .value_kind:     hidden_global_offset_x
      - .offset:         120
        .size:           8
        .value_kind:     hidden_global_offset_y
      - .offset:         128
        .size:           8
        .value_kind:     hidden_global_offset_z
      - .offset:         136
        .size:           2
        .value_kind:     hidden_grid_dims
    .group_segment_fixed_size: 0
    .kernarg_segment_align: 8
    .kernarg_segment_size: 328
    .language:       OpenCL C
    .language_version:
      - 2
      - 0
    .max_flat_workgroup_size: 256
    .name:           _ZN9rocsparseL21csrmvt_general_kernelILj256ELj4Eiif21rocsparse_complex_numIfES2_S2_EEvbbT2_NS_24const_host_device_scalarIT6_EEPKT1_S9_PKS3_PKT3_PKT4_PT5_21rocsparse_index_base_b
    .private_segment_fixed_size: 0
    .sgpr_count:     22
    .sgpr_spill_count: 0
    .symbol:         _ZN9rocsparseL21csrmvt_general_kernelILj256ELj4Eiif21rocsparse_complex_numIfES2_S2_EEvbbT2_NS_24const_host_device_scalarIT6_EEPKT1_S9_PKS3_PKT3_PKT4_PT5_21rocsparse_index_base_b.kd
    .uniform_work_group_size: 1
    .uses_dynamic_stack: false
    .vgpr_count:     16
    .vgpr_spill_count: 0
    .wavefront_size: 32
  - .args:
      - .offset:         0
        .size:           1
        .value_kind:     by_value
      - .offset:         1
        .size:           1
        .value_kind:     by_value
      - .offset:         4
        .size:           4
        .value_kind:     by_value
      - .offset:         8
        .size:           8
        .value_kind:     by_value
      - .address_space:  global
        .offset:         16
        .size:           8
        .value_kind:     global_buffer
      - .address_space:  global
        .offset:         24
        .size:           8
        .value_kind:     global_buffer
      - .actual_access:  read_only
        .address_space:  global
        .offset:         32
        .size:           8
        .value_kind:     global_buffer
      - .actual_access:  read_only
        .address_space:  global
        .offset:         40
        .size:           8
        .value_kind:     global_buffer
      - .actual_access:  read_only
        .address_space:  global
        .offset:         48
        .size:           8
        .value_kind:     global_buffer
      - .address_space:  global
        .offset:         56
        .size:           8
        .value_kind:     global_buffer
      - .offset:         64
        .size:           4
        .value_kind:     by_value
      - .offset:         68
        .size:           1
        .value_kind:     by_value
      - .offset:         72
        .size:           4
        .value_kind:     hidden_block_count_x
      - .offset:         76
        .size:           4
        .value_kind:     hidden_block_count_y
      - .offset:         80
        .size:           4
        .value_kind:     hidden_block_count_z
      - .offset:         84
        .size:           2
        .value_kind:     hidden_group_size_x
      - .offset:         86
        .size:           2
        .value_kind:     hidden_group_size_y
      - .offset:         88
        .size:           2
        .value_kind:     hidden_group_size_z
      - .offset:         90
        .size:           2
        .value_kind:     hidden_remainder_x
      - .offset:         92
        .size:           2
        .value_kind:     hidden_remainder_y
      - .offset:         94
        .size:           2
        .value_kind:     hidden_remainder_z
      - .offset:         112
        .size:           8
        .value_kind:     hidden_global_offset_x
      - .offset:         120
        .size:           8
        .value_kind:     hidden_global_offset_y
      - .offset:         128
        .size:           8
        .value_kind:     hidden_global_offset_z
      - .offset:         136
        .size:           2
        .value_kind:     hidden_grid_dims
    .group_segment_fixed_size: 0
    .kernarg_segment_align: 8
    .kernarg_segment_size: 328
    .language:       OpenCL C
    .language_version:
      - 2
      - 0
    .max_flat_workgroup_size: 256
    .name:           _ZN9rocsparseL21csrmvt_general_kernelILj256ELj8Eiif21rocsparse_complex_numIfES2_S2_EEvbbT2_NS_24const_host_device_scalarIT6_EEPKT1_S9_PKS3_PKT3_PKT4_PT5_21rocsparse_index_base_b
    .private_segment_fixed_size: 0
    .sgpr_count:     22
    .sgpr_spill_count: 0
    .symbol:         _ZN9rocsparseL21csrmvt_general_kernelILj256ELj8Eiif21rocsparse_complex_numIfES2_S2_EEvbbT2_NS_24const_host_device_scalarIT6_EEPKT1_S9_PKS3_PKT3_PKT4_PT5_21rocsparse_index_base_b.kd
    .uniform_work_group_size: 1
    .uses_dynamic_stack: false
    .vgpr_count:     16
    .vgpr_spill_count: 0
    .wavefront_size: 32
  - .args:
      - .offset:         0
        .size:           1
        .value_kind:     by_value
      - .offset:         1
        .size:           1
        .value_kind:     by_value
      - .offset:         4
        .size:           4
        .value_kind:     by_value
      - .offset:         8
        .size:           8
        .value_kind:     by_value
      - .address_space:  global
        .offset:         16
        .size:           8
        .value_kind:     global_buffer
      - .address_space:  global
        .offset:         24
        .size:           8
        .value_kind:     global_buffer
      - .actual_access:  read_only
        .address_space:  global
        .offset:         32
        .size:           8
        .value_kind:     global_buffer
      - .actual_access:  read_only
        .address_space:  global
        .offset:         40
        .size:           8
        .value_kind:     global_buffer
      - .actual_access:  read_only
        .address_space:  global
        .offset:         48
        .size:           8
        .value_kind:     global_buffer
      - .address_space:  global
        .offset:         56
        .size:           8
        .value_kind:     global_buffer
      - .offset:         64
        .size:           4
        .value_kind:     by_value
      - .offset:         68
        .size:           1
        .value_kind:     by_value
      - .offset:         72
        .size:           4
        .value_kind:     hidden_block_count_x
      - .offset:         76
        .size:           4
        .value_kind:     hidden_block_count_y
      - .offset:         80
        .size:           4
        .value_kind:     hidden_block_count_z
      - .offset:         84
        .size:           2
        .value_kind:     hidden_group_size_x
      - .offset:         86
        .size:           2
        .value_kind:     hidden_group_size_y
      - .offset:         88
        .size:           2
        .value_kind:     hidden_group_size_z
      - .offset:         90
        .size:           2
        .value_kind:     hidden_remainder_x
      - .offset:         92
        .size:           2
        .value_kind:     hidden_remainder_y
      - .offset:         94
        .size:           2
        .value_kind:     hidden_remainder_z
      - .offset:         112
        .size:           8
        .value_kind:     hidden_global_offset_x
      - .offset:         120
        .size:           8
        .value_kind:     hidden_global_offset_y
      - .offset:         128
        .size:           8
        .value_kind:     hidden_global_offset_z
      - .offset:         136
        .size:           2
        .value_kind:     hidden_grid_dims
    .group_segment_fixed_size: 0
    .kernarg_segment_align: 8
    .kernarg_segment_size: 328
    .language:       OpenCL C
    .language_version:
      - 2
      - 0
    .max_flat_workgroup_size: 256
    .name:           _ZN9rocsparseL21csrmvt_general_kernelILj256ELj16Eiif21rocsparse_complex_numIfES2_S2_EEvbbT2_NS_24const_host_device_scalarIT6_EEPKT1_S9_PKS3_PKT3_PKT4_PT5_21rocsparse_index_base_b
    .private_segment_fixed_size: 0
    .sgpr_count:     22
    .sgpr_spill_count: 0
    .symbol:         _ZN9rocsparseL21csrmvt_general_kernelILj256ELj16Eiif21rocsparse_complex_numIfES2_S2_EEvbbT2_NS_24const_host_device_scalarIT6_EEPKT1_S9_PKS3_PKT3_PKT4_PT5_21rocsparse_index_base_b.kd
    .uniform_work_group_size: 1
    .uses_dynamic_stack: false
    .vgpr_count:     16
    .vgpr_spill_count: 0
    .wavefront_size: 32
  - .args:
      - .offset:         0
        .size:           1
        .value_kind:     by_value
      - .offset:         1
        .size:           1
        .value_kind:     by_value
      - .offset:         4
        .size:           4
        .value_kind:     by_value
      - .offset:         8
        .size:           8
        .value_kind:     by_value
      - .address_space:  global
        .offset:         16
        .size:           8
        .value_kind:     global_buffer
      - .address_space:  global
        .offset:         24
        .size:           8
        .value_kind:     global_buffer
      - .actual_access:  read_only
        .address_space:  global
        .offset:         32
        .size:           8
        .value_kind:     global_buffer
      - .actual_access:  read_only
        .address_space:  global
        .offset:         40
        .size:           8
        .value_kind:     global_buffer
      - .actual_access:  read_only
        .address_space:  global
        .offset:         48
        .size:           8
        .value_kind:     global_buffer
      - .address_space:  global
        .offset:         56
        .size:           8
        .value_kind:     global_buffer
      - .offset:         64
        .size:           4
        .value_kind:     by_value
      - .offset:         68
        .size:           1
        .value_kind:     by_value
      - .offset:         72
        .size:           4
        .value_kind:     hidden_block_count_x
      - .offset:         76
        .size:           4
        .value_kind:     hidden_block_count_y
      - .offset:         80
        .size:           4
        .value_kind:     hidden_block_count_z
      - .offset:         84
        .size:           2
        .value_kind:     hidden_group_size_x
      - .offset:         86
        .size:           2
        .value_kind:     hidden_group_size_y
      - .offset:         88
        .size:           2
        .value_kind:     hidden_group_size_z
      - .offset:         90
        .size:           2
        .value_kind:     hidden_remainder_x
      - .offset:         92
        .size:           2
        .value_kind:     hidden_remainder_y
      - .offset:         94
        .size:           2
        .value_kind:     hidden_remainder_z
      - .offset:         112
        .size:           8
        .value_kind:     hidden_global_offset_x
      - .offset:         120
        .size:           8
        .value_kind:     hidden_global_offset_y
      - .offset:         128
        .size:           8
        .value_kind:     hidden_global_offset_z
      - .offset:         136
        .size:           2
        .value_kind:     hidden_grid_dims
    .group_segment_fixed_size: 0
    .kernarg_segment_align: 8
    .kernarg_segment_size: 328
    .language:       OpenCL C
    .language_version:
      - 2
      - 0
    .max_flat_workgroup_size: 256
    .name:           _ZN9rocsparseL21csrmvt_general_kernelILj256ELj32Eiif21rocsparse_complex_numIfES2_S2_EEvbbT2_NS_24const_host_device_scalarIT6_EEPKT1_S9_PKS3_PKT3_PKT4_PT5_21rocsparse_index_base_b
    .private_segment_fixed_size: 0
    .sgpr_count:     22
    .sgpr_spill_count: 0
    .symbol:         _ZN9rocsparseL21csrmvt_general_kernelILj256ELj32Eiif21rocsparse_complex_numIfES2_S2_EEvbbT2_NS_24const_host_device_scalarIT6_EEPKT1_S9_PKS3_PKT3_PKT4_PT5_21rocsparse_index_base_b.kd
    .uniform_work_group_size: 1
    .uses_dynamic_stack: false
    .vgpr_count:     16
    .vgpr_spill_count: 0
    .wavefront_size: 32
  - .args:
      - .offset:         0
        .size:           1
        .value_kind:     by_value
      - .offset:         1
        .size:           1
        .value_kind:     by_value
      - .offset:         4
        .size:           4
        .value_kind:     by_value
      - .offset:         8
        .size:           8
        .value_kind:     by_value
      - .address_space:  global
        .offset:         16
        .size:           8
        .value_kind:     global_buffer
      - .address_space:  global
        .offset:         24
        .size:           8
        .value_kind:     global_buffer
      - .actual_access:  read_only
        .address_space:  global
        .offset:         32
        .size:           8
        .value_kind:     global_buffer
      - .actual_access:  read_only
        .address_space:  global
        .offset:         40
        .size:           8
        .value_kind:     global_buffer
      - .actual_access:  read_only
        .address_space:  global
        .offset:         48
        .size:           8
        .value_kind:     global_buffer
      - .address_space:  global
        .offset:         56
        .size:           8
        .value_kind:     global_buffer
      - .offset:         64
        .size:           4
        .value_kind:     by_value
      - .offset:         68
        .size:           1
        .value_kind:     by_value
      - .offset:         72
        .size:           4
        .value_kind:     hidden_block_count_x
      - .offset:         76
        .size:           4
        .value_kind:     hidden_block_count_y
      - .offset:         80
        .size:           4
        .value_kind:     hidden_block_count_z
      - .offset:         84
        .size:           2
        .value_kind:     hidden_group_size_x
      - .offset:         86
        .size:           2
        .value_kind:     hidden_group_size_y
      - .offset:         88
        .size:           2
        .value_kind:     hidden_group_size_z
      - .offset:         90
        .size:           2
        .value_kind:     hidden_remainder_x
      - .offset:         92
        .size:           2
        .value_kind:     hidden_remainder_y
      - .offset:         94
        .size:           2
        .value_kind:     hidden_remainder_z
      - .offset:         112
        .size:           8
        .value_kind:     hidden_global_offset_x
      - .offset:         120
        .size:           8
        .value_kind:     hidden_global_offset_y
      - .offset:         128
        .size:           8
        .value_kind:     hidden_global_offset_z
      - .offset:         136
        .size:           2
        .value_kind:     hidden_grid_dims
    .group_segment_fixed_size: 0
    .kernarg_segment_align: 8
    .kernarg_segment_size: 328
    .language:       OpenCL C
    .language_version:
      - 2
      - 0
    .max_flat_workgroup_size: 256
    .name:           _ZN9rocsparseL21csrmvt_general_kernelILj256ELj64Eiif21rocsparse_complex_numIfES2_S2_EEvbbT2_NS_24const_host_device_scalarIT6_EEPKT1_S9_PKS3_PKT3_PKT4_PT5_21rocsparse_index_base_b
    .private_segment_fixed_size: 0
    .sgpr_count:     22
    .sgpr_spill_count: 0
    .symbol:         _ZN9rocsparseL21csrmvt_general_kernelILj256ELj64Eiif21rocsparse_complex_numIfES2_S2_EEvbbT2_NS_24const_host_device_scalarIT6_EEPKT1_S9_PKS3_PKT3_PKT4_PT5_21rocsparse_index_base_b.kd
    .uniform_work_group_size: 1
    .uses_dynamic_stack: false
    .vgpr_count:     16
    .vgpr_spill_count: 0
    .wavefront_size: 32
  - .args:
      - .offset:         0
        .size:           1
        .value_kind:     by_value
      - .offset:         4
        .size:           4
        .value_kind:     by_value
      - .offset:         8
        .size:           8
        .value_kind:     by_value
      - .address_space:  global
        .offset:         16
        .size:           8
        .value_kind:     global_buffer
      - .address_space:  global
        .offset:         24
        .size:           8
        .value_kind:     global_buffer
      - .actual_access:  read_only
        .address_space:  global
        .offset:         32
        .size:           8
        .value_kind:     global_buffer
      - .actual_access:  read_only
        .address_space:  global
        .offset:         40
        .size:           8
        .value_kind:     global_buffer
      - .actual_access:  read_only
        .address_space:  global
        .offset:         48
        .size:           8
        .value_kind:     global_buffer
      - .offset:         56
        .size:           8
        .value_kind:     by_value
      - .address_space:  global
        .offset:         64
        .size:           8
        .value_kind:     global_buffer
      - .offset:         72
        .size:           4
        .value_kind:     by_value
      - .offset:         76
        .size:           1
        .value_kind:     by_value
      - .offset:         80
        .size:           4
        .value_kind:     hidden_block_count_x
      - .offset:         84
        .size:           4
        .value_kind:     hidden_block_count_y
      - .offset:         88
        .size:           4
        .value_kind:     hidden_block_count_z
      - .offset:         92
        .size:           2
        .value_kind:     hidden_group_size_x
      - .offset:         94
        .size:           2
        .value_kind:     hidden_group_size_y
      - .offset:         96
        .size:           2
        .value_kind:     hidden_group_size_z
      - .offset:         98
        .size:           2
        .value_kind:     hidden_remainder_x
      - .offset:         100
        .size:           2
        .value_kind:     hidden_remainder_y
      - .offset:         102
        .size:           2
        .value_kind:     hidden_remainder_z
      - .offset:         120
        .size:           8
        .value_kind:     hidden_global_offset_x
      - .offset:         128
        .size:           8
        .value_kind:     hidden_global_offset_y
      - .offset:         136
        .size:           8
        .value_kind:     hidden_global_offset_z
      - .offset:         144
        .size:           2
        .value_kind:     hidden_grid_dims
    .group_segment_fixed_size: 0
    .kernarg_segment_align: 8
    .kernarg_segment_size: 336
    .language:       OpenCL C
    .language_version:
      - 2
      - 0
    .max_flat_workgroup_size: 256
    .name:           _ZN9rocsparseL21csrmvn_general_kernelILj256ELj2Elif21rocsparse_complex_numIfES2_S2_EEvbT2_NS_24const_host_device_scalarIT6_EEPKT1_S9_PKS3_PKT3_PKT4_S6_PT5_21rocsparse_index_base_b
    .private_segment_fixed_size: 0
    .sgpr_count:     23
    .sgpr_spill_count: 0
    .symbol:         _ZN9rocsparseL21csrmvn_general_kernelILj256ELj2Elif21rocsparse_complex_numIfES2_S2_EEvbT2_NS_24const_host_device_scalarIT6_EEPKT1_S9_PKS3_PKT3_PKT4_S6_PT5_21rocsparse_index_base_b.kd
    .uniform_work_group_size: 1
    .uses_dynamic_stack: false
    .vgpr_count:     28
    .vgpr_spill_count: 0
    .wavefront_size: 32
  - .args:
      - .offset:         0
        .size:           1
        .value_kind:     by_value
      - .offset:         4
        .size:           4
        .value_kind:     by_value
      - .offset:         8
        .size:           8
        .value_kind:     by_value
      - .address_space:  global
        .offset:         16
        .size:           8
        .value_kind:     global_buffer
      - .address_space:  global
        .offset:         24
        .size:           8
        .value_kind:     global_buffer
      - .actual_access:  read_only
        .address_space:  global
        .offset:         32
        .size:           8
        .value_kind:     global_buffer
      - .actual_access:  read_only
        .address_space:  global
        .offset:         40
        .size:           8
        .value_kind:     global_buffer
      - .actual_access:  read_only
        .address_space:  global
        .offset:         48
        .size:           8
        .value_kind:     global_buffer
      - .offset:         56
        .size:           8
        .value_kind:     by_value
      - .address_space:  global
        .offset:         64
        .size:           8
        .value_kind:     global_buffer
      - .offset:         72
        .size:           4
        .value_kind:     by_value
      - .offset:         76
        .size:           1
        .value_kind:     by_value
      - .offset:         80
        .size:           4
        .value_kind:     hidden_block_count_x
      - .offset:         84
        .size:           4
        .value_kind:     hidden_block_count_y
      - .offset:         88
        .size:           4
        .value_kind:     hidden_block_count_z
      - .offset:         92
        .size:           2
        .value_kind:     hidden_group_size_x
      - .offset:         94
        .size:           2
        .value_kind:     hidden_group_size_y
      - .offset:         96
        .size:           2
        .value_kind:     hidden_group_size_z
      - .offset:         98
        .size:           2
        .value_kind:     hidden_remainder_x
      - .offset:         100
        .size:           2
        .value_kind:     hidden_remainder_y
      - .offset:         102
        .size:           2
        .value_kind:     hidden_remainder_z
      - .offset:         120
        .size:           8
        .value_kind:     hidden_global_offset_x
      - .offset:         128
        .size:           8
        .value_kind:     hidden_global_offset_y
      - .offset:         136
        .size:           8
        .value_kind:     hidden_global_offset_z
      - .offset:         144
        .size:           2
        .value_kind:     hidden_grid_dims
    .group_segment_fixed_size: 0
    .kernarg_segment_align: 8
    .kernarg_segment_size: 336
    .language:       OpenCL C
    .language_version:
      - 2
      - 0
    .max_flat_workgroup_size: 256
    .name:           _ZN9rocsparseL21csrmvn_general_kernelILj256ELj4Elif21rocsparse_complex_numIfES2_S2_EEvbT2_NS_24const_host_device_scalarIT6_EEPKT1_S9_PKS3_PKT3_PKT4_S6_PT5_21rocsparse_index_base_b
    .private_segment_fixed_size: 0
    .sgpr_count:     23
    .sgpr_spill_count: 0
    .symbol:         _ZN9rocsparseL21csrmvn_general_kernelILj256ELj4Elif21rocsparse_complex_numIfES2_S2_EEvbT2_NS_24const_host_device_scalarIT6_EEPKT1_S9_PKS3_PKT3_PKT4_S6_PT5_21rocsparse_index_base_b.kd
    .uniform_work_group_size: 1
    .uses_dynamic_stack: false
    .vgpr_count:     28
    .vgpr_spill_count: 0
    .wavefront_size: 32
  - .args:
      - .offset:         0
        .size:           1
        .value_kind:     by_value
      - .offset:         4
        .size:           4
        .value_kind:     by_value
      - .offset:         8
        .size:           8
        .value_kind:     by_value
      - .address_space:  global
        .offset:         16
        .size:           8
        .value_kind:     global_buffer
      - .address_space:  global
        .offset:         24
        .size:           8
        .value_kind:     global_buffer
      - .actual_access:  read_only
        .address_space:  global
        .offset:         32
        .size:           8
        .value_kind:     global_buffer
      - .actual_access:  read_only
        .address_space:  global
        .offset:         40
        .size:           8
        .value_kind:     global_buffer
      - .actual_access:  read_only
        .address_space:  global
        .offset:         48
        .size:           8
        .value_kind:     global_buffer
      - .offset:         56
        .size:           8
        .value_kind:     by_value
      - .address_space:  global
        .offset:         64
        .size:           8
        .value_kind:     global_buffer
      - .offset:         72
        .size:           4
        .value_kind:     by_value
      - .offset:         76
        .size:           1
        .value_kind:     by_value
      - .offset:         80
        .size:           4
        .value_kind:     hidden_block_count_x
      - .offset:         84
        .size:           4
        .value_kind:     hidden_block_count_y
      - .offset:         88
        .size:           4
        .value_kind:     hidden_block_count_z
      - .offset:         92
        .size:           2
        .value_kind:     hidden_group_size_x
      - .offset:         94
        .size:           2
        .value_kind:     hidden_group_size_y
      - .offset:         96
        .size:           2
        .value_kind:     hidden_group_size_z
      - .offset:         98
        .size:           2
        .value_kind:     hidden_remainder_x
      - .offset:         100
        .size:           2
        .value_kind:     hidden_remainder_y
      - .offset:         102
        .size:           2
        .value_kind:     hidden_remainder_z
      - .offset:         120
        .size:           8
        .value_kind:     hidden_global_offset_x
      - .offset:         128
        .size:           8
        .value_kind:     hidden_global_offset_y
      - .offset:         136
        .size:           8
        .value_kind:     hidden_global_offset_z
      - .offset:         144
        .size:           2
        .value_kind:     hidden_grid_dims
    .group_segment_fixed_size: 0
    .kernarg_segment_align: 8
    .kernarg_segment_size: 336
    .language:       OpenCL C
    .language_version:
      - 2
      - 0
    .max_flat_workgroup_size: 256
    .name:           _ZN9rocsparseL21csrmvn_general_kernelILj256ELj8Elif21rocsparse_complex_numIfES2_S2_EEvbT2_NS_24const_host_device_scalarIT6_EEPKT1_S9_PKS3_PKT3_PKT4_S6_PT5_21rocsparse_index_base_b
    .private_segment_fixed_size: 0
    .sgpr_count:     23
    .sgpr_spill_count: 0
    .symbol:         _ZN9rocsparseL21csrmvn_general_kernelILj256ELj8Elif21rocsparse_complex_numIfES2_S2_EEvbT2_NS_24const_host_device_scalarIT6_EEPKT1_S9_PKS3_PKT3_PKT4_S6_PT5_21rocsparse_index_base_b.kd
    .uniform_work_group_size: 1
    .uses_dynamic_stack: false
    .vgpr_count:     30
    .vgpr_spill_count: 0
    .wavefront_size: 32
  - .args:
      - .offset:         0
        .size:           1
        .value_kind:     by_value
      - .offset:         4
        .size:           4
        .value_kind:     by_value
      - .offset:         8
        .size:           8
        .value_kind:     by_value
      - .address_space:  global
        .offset:         16
        .size:           8
        .value_kind:     global_buffer
      - .address_space:  global
        .offset:         24
        .size:           8
        .value_kind:     global_buffer
      - .actual_access:  read_only
        .address_space:  global
        .offset:         32
        .size:           8
        .value_kind:     global_buffer
      - .actual_access:  read_only
        .address_space:  global
        .offset:         40
        .size:           8
        .value_kind:     global_buffer
      - .actual_access:  read_only
        .address_space:  global
        .offset:         48
        .size:           8
        .value_kind:     global_buffer
      - .offset:         56
        .size:           8
        .value_kind:     by_value
      - .address_space:  global
        .offset:         64
        .size:           8
        .value_kind:     global_buffer
      - .offset:         72
        .size:           4
        .value_kind:     by_value
      - .offset:         76
        .size:           1
        .value_kind:     by_value
      - .offset:         80
        .size:           4
        .value_kind:     hidden_block_count_x
      - .offset:         84
        .size:           4
        .value_kind:     hidden_block_count_y
      - .offset:         88
        .size:           4
        .value_kind:     hidden_block_count_z
      - .offset:         92
        .size:           2
        .value_kind:     hidden_group_size_x
      - .offset:         94
        .size:           2
        .value_kind:     hidden_group_size_y
      - .offset:         96
        .size:           2
        .value_kind:     hidden_group_size_z
      - .offset:         98
        .size:           2
        .value_kind:     hidden_remainder_x
      - .offset:         100
        .size:           2
        .value_kind:     hidden_remainder_y
      - .offset:         102
        .size:           2
        .value_kind:     hidden_remainder_z
      - .offset:         120
        .size:           8
        .value_kind:     hidden_global_offset_x
      - .offset:         128
        .size:           8
        .value_kind:     hidden_global_offset_y
      - .offset:         136
        .size:           8
        .value_kind:     hidden_global_offset_z
      - .offset:         144
        .size:           2
        .value_kind:     hidden_grid_dims
    .group_segment_fixed_size: 0
    .kernarg_segment_align: 8
    .kernarg_segment_size: 336
    .language:       OpenCL C
    .language_version:
      - 2
      - 0
    .max_flat_workgroup_size: 256
    .name:           _ZN9rocsparseL21csrmvn_general_kernelILj256ELj16Elif21rocsparse_complex_numIfES2_S2_EEvbT2_NS_24const_host_device_scalarIT6_EEPKT1_S9_PKS3_PKT3_PKT4_S6_PT5_21rocsparse_index_base_b
    .private_segment_fixed_size: 0
    .sgpr_count:     23
    .sgpr_spill_count: 0
    .symbol:         _ZN9rocsparseL21csrmvn_general_kernelILj256ELj16Elif21rocsparse_complex_numIfES2_S2_EEvbT2_NS_24const_host_device_scalarIT6_EEPKT1_S9_PKS3_PKT3_PKT4_S6_PT5_21rocsparse_index_base_b.kd
    .uniform_work_group_size: 1
    .uses_dynamic_stack: false
    .vgpr_count:     30
    .vgpr_spill_count: 0
    .wavefront_size: 32
  - .args:
      - .offset:         0
        .size:           1
        .value_kind:     by_value
      - .offset:         4
        .size:           4
        .value_kind:     by_value
      - .offset:         8
        .size:           8
        .value_kind:     by_value
      - .address_space:  global
        .offset:         16
        .size:           8
        .value_kind:     global_buffer
      - .address_space:  global
        .offset:         24
        .size:           8
        .value_kind:     global_buffer
      - .actual_access:  read_only
        .address_space:  global
        .offset:         32
        .size:           8
        .value_kind:     global_buffer
      - .actual_access:  read_only
        .address_space:  global
        .offset:         40
        .size:           8
        .value_kind:     global_buffer
      - .actual_access:  read_only
        .address_space:  global
        .offset:         48
        .size:           8
        .value_kind:     global_buffer
      - .offset:         56
        .size:           8
        .value_kind:     by_value
      - .address_space:  global
        .offset:         64
        .size:           8
        .value_kind:     global_buffer
      - .offset:         72
        .size:           4
        .value_kind:     by_value
      - .offset:         76
        .size:           1
        .value_kind:     by_value
      - .offset:         80
        .size:           4
        .value_kind:     hidden_block_count_x
      - .offset:         84
        .size:           4
        .value_kind:     hidden_block_count_y
      - .offset:         88
        .size:           4
        .value_kind:     hidden_block_count_z
      - .offset:         92
        .size:           2
        .value_kind:     hidden_group_size_x
      - .offset:         94
        .size:           2
        .value_kind:     hidden_group_size_y
      - .offset:         96
        .size:           2
        .value_kind:     hidden_group_size_z
      - .offset:         98
        .size:           2
        .value_kind:     hidden_remainder_x
      - .offset:         100
        .size:           2
        .value_kind:     hidden_remainder_y
      - .offset:         102
        .size:           2
        .value_kind:     hidden_remainder_z
      - .offset:         120
        .size:           8
        .value_kind:     hidden_global_offset_x
      - .offset:         128
        .size:           8
        .value_kind:     hidden_global_offset_y
      - .offset:         136
        .size:           8
        .value_kind:     hidden_global_offset_z
      - .offset:         144
        .size:           2
        .value_kind:     hidden_grid_dims
    .group_segment_fixed_size: 0
    .kernarg_segment_align: 8
    .kernarg_segment_size: 336
    .language:       OpenCL C
    .language_version:
      - 2
      - 0
    .max_flat_workgroup_size: 256
    .name:           _ZN9rocsparseL21csrmvn_general_kernelILj256ELj32Elif21rocsparse_complex_numIfES2_S2_EEvbT2_NS_24const_host_device_scalarIT6_EEPKT1_S9_PKS3_PKT3_PKT4_S6_PT5_21rocsparse_index_base_b
    .private_segment_fixed_size: 0
    .sgpr_count:     23
    .sgpr_spill_count: 0
    .symbol:         _ZN9rocsparseL21csrmvn_general_kernelILj256ELj32Elif21rocsparse_complex_numIfES2_S2_EEvbT2_NS_24const_host_device_scalarIT6_EEPKT1_S9_PKS3_PKT3_PKT4_S6_PT5_21rocsparse_index_base_b.kd
    .uniform_work_group_size: 1
    .uses_dynamic_stack: false
    .vgpr_count:     32
    .vgpr_spill_count: 0
    .wavefront_size: 32
  - .args:
      - .offset:         0
        .size:           1
        .value_kind:     by_value
      - .offset:         4
        .size:           4
        .value_kind:     by_value
      - .offset:         8
        .size:           8
        .value_kind:     by_value
      - .address_space:  global
        .offset:         16
        .size:           8
        .value_kind:     global_buffer
      - .address_space:  global
        .offset:         24
        .size:           8
        .value_kind:     global_buffer
      - .actual_access:  read_only
        .address_space:  global
        .offset:         32
        .size:           8
        .value_kind:     global_buffer
      - .actual_access:  read_only
        .address_space:  global
        .offset:         40
        .size:           8
        .value_kind:     global_buffer
      - .actual_access:  read_only
        .address_space:  global
        .offset:         48
        .size:           8
        .value_kind:     global_buffer
      - .offset:         56
        .size:           8
        .value_kind:     by_value
      - .address_space:  global
        .offset:         64
        .size:           8
        .value_kind:     global_buffer
      - .offset:         72
        .size:           4
        .value_kind:     by_value
      - .offset:         76
        .size:           1
        .value_kind:     by_value
      - .offset:         80
        .size:           4
        .value_kind:     hidden_block_count_x
      - .offset:         84
        .size:           4
        .value_kind:     hidden_block_count_y
      - .offset:         88
        .size:           4
        .value_kind:     hidden_block_count_z
      - .offset:         92
        .size:           2
        .value_kind:     hidden_group_size_x
      - .offset:         94
        .size:           2
        .value_kind:     hidden_group_size_y
      - .offset:         96
        .size:           2
        .value_kind:     hidden_group_size_z
      - .offset:         98
        .size:           2
        .value_kind:     hidden_remainder_x
      - .offset:         100
        .size:           2
        .value_kind:     hidden_remainder_y
      - .offset:         102
        .size:           2
        .value_kind:     hidden_remainder_z
      - .offset:         120
        .size:           8
        .value_kind:     hidden_global_offset_x
      - .offset:         128
        .size:           8
        .value_kind:     hidden_global_offset_y
      - .offset:         136
        .size:           8
        .value_kind:     hidden_global_offset_z
      - .offset:         144
        .size:           2
        .value_kind:     hidden_grid_dims
    .group_segment_fixed_size: 0
    .kernarg_segment_align: 8
    .kernarg_segment_size: 336
    .language:       OpenCL C
    .language_version:
      - 2
      - 0
    .max_flat_workgroup_size: 256
    .name:           _ZN9rocsparseL21csrmvn_general_kernelILj256ELj64Elif21rocsparse_complex_numIfES2_S2_EEvbT2_NS_24const_host_device_scalarIT6_EEPKT1_S9_PKS3_PKT3_PKT4_S6_PT5_21rocsparse_index_base_b
    .private_segment_fixed_size: 0
    .sgpr_count:     23
    .sgpr_spill_count: 0
    .symbol:         _ZN9rocsparseL21csrmvn_general_kernelILj256ELj64Elif21rocsparse_complex_numIfES2_S2_EEvbT2_NS_24const_host_device_scalarIT6_EEPKT1_S9_PKS3_PKT3_PKT4_S6_PT5_21rocsparse_index_base_b.kd
    .uniform_work_group_size: 1
    .uses_dynamic_stack: false
    .vgpr_count:     32
    .vgpr_spill_count: 0
    .wavefront_size: 32
  - .args:
      - .offset:         0
        .size:           1
        .value_kind:     by_value
      - .offset:         1
        .size:           1
        .value_kind:     by_value
      - .offset:         4
        .size:           4
        .value_kind:     by_value
      - .offset:         8
        .size:           8
        .value_kind:     by_value
      - .address_space:  global
        .offset:         16
        .size:           8
        .value_kind:     global_buffer
      - .address_space:  global
        .offset:         24
        .size:           8
        .value_kind:     global_buffer
      - .actual_access:  read_only
        .address_space:  global
        .offset:         32
        .size:           8
        .value_kind:     global_buffer
      - .actual_access:  read_only
        .address_space:  global
        .offset:         40
        .size:           8
        .value_kind:     global_buffer
      - .actual_access:  read_only
        .address_space:  global
        .offset:         48
        .size:           8
        .value_kind:     global_buffer
      - .address_space:  global
        .offset:         56
        .size:           8
        .value_kind:     global_buffer
      - .offset:         64
        .size:           4
        .value_kind:     by_value
      - .offset:         68
        .size:           1
        .value_kind:     by_value
      - .offset:         72
        .size:           4
        .value_kind:     hidden_block_count_x
      - .offset:         76
        .size:           4
        .value_kind:     hidden_block_count_y
      - .offset:         80
        .size:           4
        .value_kind:     hidden_block_count_z
      - .offset:         84
        .size:           2
        .value_kind:     hidden_group_size_x
      - .offset:         86
        .size:           2
        .value_kind:     hidden_group_size_y
      - .offset:         88
        .size:           2
        .value_kind:     hidden_group_size_z
      - .offset:         90
        .size:           2
        .value_kind:     hidden_remainder_x
      - .offset:         92
        .size:           2
        .value_kind:     hidden_remainder_y
      - .offset:         94
        .size:           2
        .value_kind:     hidden_remainder_z
      - .offset:         112
        .size:           8
        .value_kind:     hidden_global_offset_x
      - .offset:         120
        .size:           8
        .value_kind:     hidden_global_offset_y
      - .offset:         128
        .size:           8
        .value_kind:     hidden_global_offset_z
      - .offset:         136
        .size:           2
        .value_kind:     hidden_grid_dims
    .group_segment_fixed_size: 0
    .kernarg_segment_align: 8
    .kernarg_segment_size: 328
    .language:       OpenCL C
    .language_version:
      - 2
      - 0
    .max_flat_workgroup_size: 256
    .name:           _ZN9rocsparseL21csrmvt_general_kernelILj256ELj4Elif21rocsparse_complex_numIfES2_S2_EEvbbT2_NS_24const_host_device_scalarIT6_EEPKT1_S9_PKS3_PKT3_PKT4_PT5_21rocsparse_index_base_b
    .private_segment_fixed_size: 0
    .sgpr_count:     23
    .sgpr_spill_count: 0
    .symbol:         _ZN9rocsparseL21csrmvt_general_kernelILj256ELj4Elif21rocsparse_complex_numIfES2_S2_EEvbbT2_NS_24const_host_device_scalarIT6_EEPKT1_S9_PKS3_PKT3_PKT4_PT5_21rocsparse_index_base_b.kd
    .uniform_work_group_size: 1
    .uses_dynamic_stack: false
    .vgpr_count:     23
    .vgpr_spill_count: 0
    .wavefront_size: 32
  - .args:
      - .offset:         0
        .size:           1
        .value_kind:     by_value
      - .offset:         1
        .size:           1
        .value_kind:     by_value
      - .offset:         4
        .size:           4
        .value_kind:     by_value
      - .offset:         8
        .size:           8
        .value_kind:     by_value
      - .address_space:  global
        .offset:         16
        .size:           8
        .value_kind:     global_buffer
      - .address_space:  global
        .offset:         24
        .size:           8
        .value_kind:     global_buffer
      - .actual_access:  read_only
        .address_space:  global
        .offset:         32
        .size:           8
        .value_kind:     global_buffer
      - .actual_access:  read_only
        .address_space:  global
        .offset:         40
        .size:           8
        .value_kind:     global_buffer
      - .actual_access:  read_only
        .address_space:  global
        .offset:         48
        .size:           8
        .value_kind:     global_buffer
      - .address_space:  global
        .offset:         56
        .size:           8
        .value_kind:     global_buffer
      - .offset:         64
        .size:           4
        .value_kind:     by_value
      - .offset:         68
        .size:           1
        .value_kind:     by_value
      - .offset:         72
        .size:           4
        .value_kind:     hidden_block_count_x
      - .offset:         76
        .size:           4
        .value_kind:     hidden_block_count_y
      - .offset:         80
        .size:           4
        .value_kind:     hidden_block_count_z
      - .offset:         84
        .size:           2
        .value_kind:     hidden_group_size_x
      - .offset:         86
        .size:           2
        .value_kind:     hidden_group_size_y
      - .offset:         88
        .size:           2
        .value_kind:     hidden_group_size_z
      - .offset:         90
        .size:           2
        .value_kind:     hidden_remainder_x
      - .offset:         92
        .size:           2
        .value_kind:     hidden_remainder_y
      - .offset:         94
        .size:           2
        .value_kind:     hidden_remainder_z
      - .offset:         112
        .size:           8
        .value_kind:     hidden_global_offset_x
      - .offset:         120
        .size:           8
        .value_kind:     hidden_global_offset_y
      - .offset:         128
        .size:           8
        .value_kind:     hidden_global_offset_z
      - .offset:         136
        .size:           2
        .value_kind:     hidden_grid_dims
    .group_segment_fixed_size: 0
    .kernarg_segment_align: 8
    .kernarg_segment_size: 328
    .language:       OpenCL C
    .language_version:
      - 2
      - 0
    .max_flat_workgroup_size: 256
    .name:           _ZN9rocsparseL21csrmvt_general_kernelILj256ELj8Elif21rocsparse_complex_numIfES2_S2_EEvbbT2_NS_24const_host_device_scalarIT6_EEPKT1_S9_PKS3_PKT3_PKT4_PT5_21rocsparse_index_base_b
    .private_segment_fixed_size: 0
    .sgpr_count:     23
    .sgpr_spill_count: 0
    .symbol:         _ZN9rocsparseL21csrmvt_general_kernelILj256ELj8Elif21rocsparse_complex_numIfES2_S2_EEvbbT2_NS_24const_host_device_scalarIT6_EEPKT1_S9_PKS3_PKT3_PKT4_PT5_21rocsparse_index_base_b.kd
    .uniform_work_group_size: 1
    .uses_dynamic_stack: false
    .vgpr_count:     23
    .vgpr_spill_count: 0
    .wavefront_size: 32
  - .args:
      - .offset:         0
        .size:           1
        .value_kind:     by_value
      - .offset:         1
        .size:           1
        .value_kind:     by_value
      - .offset:         4
        .size:           4
        .value_kind:     by_value
      - .offset:         8
        .size:           8
        .value_kind:     by_value
      - .address_space:  global
        .offset:         16
        .size:           8
        .value_kind:     global_buffer
      - .address_space:  global
        .offset:         24
        .size:           8
        .value_kind:     global_buffer
      - .actual_access:  read_only
        .address_space:  global
        .offset:         32
        .size:           8
        .value_kind:     global_buffer
      - .actual_access:  read_only
        .address_space:  global
        .offset:         40
        .size:           8
        .value_kind:     global_buffer
      - .actual_access:  read_only
        .address_space:  global
        .offset:         48
        .size:           8
        .value_kind:     global_buffer
      - .address_space:  global
        .offset:         56
        .size:           8
        .value_kind:     global_buffer
      - .offset:         64
        .size:           4
        .value_kind:     by_value
      - .offset:         68
        .size:           1
        .value_kind:     by_value
      - .offset:         72
        .size:           4
        .value_kind:     hidden_block_count_x
      - .offset:         76
        .size:           4
        .value_kind:     hidden_block_count_y
      - .offset:         80
        .size:           4
        .value_kind:     hidden_block_count_z
      - .offset:         84
        .size:           2
        .value_kind:     hidden_group_size_x
      - .offset:         86
        .size:           2
        .value_kind:     hidden_group_size_y
      - .offset:         88
        .size:           2
        .value_kind:     hidden_group_size_z
      - .offset:         90
        .size:           2
        .value_kind:     hidden_remainder_x
      - .offset:         92
        .size:           2
        .value_kind:     hidden_remainder_y
      - .offset:         94
        .size:           2
        .value_kind:     hidden_remainder_z
      - .offset:         112
        .size:           8
        .value_kind:     hidden_global_offset_x
      - .offset:         120
        .size:           8
        .value_kind:     hidden_global_offset_y
      - .offset:         128
        .size:           8
        .value_kind:     hidden_global_offset_z
      - .offset:         136
        .size:           2
        .value_kind:     hidden_grid_dims
    .group_segment_fixed_size: 0
    .kernarg_segment_align: 8
    .kernarg_segment_size: 328
    .language:       OpenCL C
    .language_version:
      - 2
      - 0
    .max_flat_workgroup_size: 256
    .name:           _ZN9rocsparseL21csrmvt_general_kernelILj256ELj16Elif21rocsparse_complex_numIfES2_S2_EEvbbT2_NS_24const_host_device_scalarIT6_EEPKT1_S9_PKS3_PKT3_PKT4_PT5_21rocsparse_index_base_b
    .private_segment_fixed_size: 0
    .sgpr_count:     23
    .sgpr_spill_count: 0
    .symbol:         _ZN9rocsparseL21csrmvt_general_kernelILj256ELj16Elif21rocsparse_complex_numIfES2_S2_EEvbbT2_NS_24const_host_device_scalarIT6_EEPKT1_S9_PKS3_PKT3_PKT4_PT5_21rocsparse_index_base_b.kd
    .uniform_work_group_size: 1
    .uses_dynamic_stack: false
    .vgpr_count:     23
    .vgpr_spill_count: 0
    .wavefront_size: 32
  - .args:
      - .offset:         0
        .size:           1
        .value_kind:     by_value
      - .offset:         1
        .size:           1
        .value_kind:     by_value
      - .offset:         4
        .size:           4
        .value_kind:     by_value
      - .offset:         8
        .size:           8
        .value_kind:     by_value
      - .address_space:  global
        .offset:         16
        .size:           8
        .value_kind:     global_buffer
      - .address_space:  global
        .offset:         24
        .size:           8
        .value_kind:     global_buffer
      - .actual_access:  read_only
        .address_space:  global
        .offset:         32
        .size:           8
        .value_kind:     global_buffer
      - .actual_access:  read_only
        .address_space:  global
        .offset:         40
        .size:           8
        .value_kind:     global_buffer
      - .actual_access:  read_only
        .address_space:  global
        .offset:         48
        .size:           8
        .value_kind:     global_buffer
      - .address_space:  global
        .offset:         56
        .size:           8
        .value_kind:     global_buffer
      - .offset:         64
        .size:           4
        .value_kind:     by_value
      - .offset:         68
        .size:           1
        .value_kind:     by_value
      - .offset:         72
        .size:           4
        .value_kind:     hidden_block_count_x
      - .offset:         76
        .size:           4
        .value_kind:     hidden_block_count_y
      - .offset:         80
        .size:           4
        .value_kind:     hidden_block_count_z
      - .offset:         84
        .size:           2
        .value_kind:     hidden_group_size_x
      - .offset:         86
        .size:           2
        .value_kind:     hidden_group_size_y
      - .offset:         88
        .size:           2
        .value_kind:     hidden_group_size_z
      - .offset:         90
        .size:           2
        .value_kind:     hidden_remainder_x
      - .offset:         92
        .size:           2
        .value_kind:     hidden_remainder_y
      - .offset:         94
        .size:           2
        .value_kind:     hidden_remainder_z
      - .offset:         112
        .size:           8
        .value_kind:     hidden_global_offset_x
      - .offset:         120
        .size:           8
        .value_kind:     hidden_global_offset_y
      - .offset:         128
        .size:           8
        .value_kind:     hidden_global_offset_z
      - .offset:         136
        .size:           2
        .value_kind:     hidden_grid_dims
    .group_segment_fixed_size: 0
    .kernarg_segment_align: 8
    .kernarg_segment_size: 328
    .language:       OpenCL C
    .language_version:
      - 2
      - 0
    .max_flat_workgroup_size: 256
    .name:           _ZN9rocsparseL21csrmvt_general_kernelILj256ELj32Elif21rocsparse_complex_numIfES2_S2_EEvbbT2_NS_24const_host_device_scalarIT6_EEPKT1_S9_PKS3_PKT3_PKT4_PT5_21rocsparse_index_base_b
    .private_segment_fixed_size: 0
    .sgpr_count:     23
    .sgpr_spill_count: 0
    .symbol:         _ZN9rocsparseL21csrmvt_general_kernelILj256ELj32Elif21rocsparse_complex_numIfES2_S2_EEvbbT2_NS_24const_host_device_scalarIT6_EEPKT1_S9_PKS3_PKT3_PKT4_PT5_21rocsparse_index_base_b.kd
    .uniform_work_group_size: 1
    .uses_dynamic_stack: false
    .vgpr_count:     23
    .vgpr_spill_count: 0
    .wavefront_size: 32
  - .args:
      - .offset:         0
        .size:           1
        .value_kind:     by_value
      - .offset:         1
        .size:           1
        .value_kind:     by_value
      - .offset:         4
        .size:           4
        .value_kind:     by_value
      - .offset:         8
        .size:           8
        .value_kind:     by_value
      - .address_space:  global
        .offset:         16
        .size:           8
        .value_kind:     global_buffer
      - .address_space:  global
        .offset:         24
        .size:           8
        .value_kind:     global_buffer
      - .actual_access:  read_only
        .address_space:  global
        .offset:         32
        .size:           8
        .value_kind:     global_buffer
      - .actual_access:  read_only
        .address_space:  global
        .offset:         40
        .size:           8
        .value_kind:     global_buffer
      - .actual_access:  read_only
        .address_space:  global
        .offset:         48
        .size:           8
        .value_kind:     global_buffer
      - .address_space:  global
        .offset:         56
        .size:           8
        .value_kind:     global_buffer
      - .offset:         64
        .size:           4
        .value_kind:     by_value
      - .offset:         68
        .size:           1
        .value_kind:     by_value
      - .offset:         72
        .size:           4
        .value_kind:     hidden_block_count_x
      - .offset:         76
        .size:           4
        .value_kind:     hidden_block_count_y
      - .offset:         80
        .size:           4
        .value_kind:     hidden_block_count_z
      - .offset:         84
        .size:           2
        .value_kind:     hidden_group_size_x
      - .offset:         86
        .size:           2
        .value_kind:     hidden_group_size_y
      - .offset:         88
        .size:           2
        .value_kind:     hidden_group_size_z
      - .offset:         90
        .size:           2
        .value_kind:     hidden_remainder_x
      - .offset:         92
        .size:           2
        .value_kind:     hidden_remainder_y
      - .offset:         94
        .size:           2
        .value_kind:     hidden_remainder_z
      - .offset:         112
        .size:           8
        .value_kind:     hidden_global_offset_x
      - .offset:         120
        .size:           8
        .value_kind:     hidden_global_offset_y
      - .offset:         128
        .size:           8
        .value_kind:     hidden_global_offset_z
      - .offset:         136
        .size:           2
        .value_kind:     hidden_grid_dims
    .group_segment_fixed_size: 0
    .kernarg_segment_align: 8
    .kernarg_segment_size: 328
    .language:       OpenCL C
    .language_version:
      - 2
      - 0
    .max_flat_workgroup_size: 256
    .name:           _ZN9rocsparseL21csrmvt_general_kernelILj256ELj64Elif21rocsparse_complex_numIfES2_S2_EEvbbT2_NS_24const_host_device_scalarIT6_EEPKT1_S9_PKS3_PKT3_PKT4_PT5_21rocsparse_index_base_b
    .private_segment_fixed_size: 0
    .sgpr_count:     23
    .sgpr_spill_count: 0
    .symbol:         _ZN9rocsparseL21csrmvt_general_kernelILj256ELj64Elif21rocsparse_complex_numIfES2_S2_EEvbbT2_NS_24const_host_device_scalarIT6_EEPKT1_S9_PKS3_PKT3_PKT4_PT5_21rocsparse_index_base_b.kd
    .uniform_work_group_size: 1
    .uses_dynamic_stack: false
    .vgpr_count:     23
    .vgpr_spill_count: 0
    .wavefront_size: 32
  - .args:
      - .offset:         0
        .size:           1
        .value_kind:     by_value
      - .offset:         8
        .size:           8
        .value_kind:     by_value
      - .offset:         16
        .size:           8
        .value_kind:     by_value
      - .address_space:  global
        .offset:         24
        .size:           8
        .value_kind:     global_buffer
      - .address_space:  global
        .offset:         32
        .size:           8
        .value_kind:     global_buffer
      - .actual_access:  read_only
        .address_space:  global
        .offset:         40
        .size:           8
        .value_kind:     global_buffer
      - .actual_access:  read_only
        .address_space:  global
        .offset:         48
        .size:           8
        .value_kind:     global_buffer
      - .actual_access:  read_only
        .address_space:  global
        .offset:         56
        .size:           8
        .value_kind:     global_buffer
      - .offset:         64
        .size:           8
        .value_kind:     by_value
      - .address_space:  global
        .offset:         72
        .size:           8
        .value_kind:     global_buffer
      - .offset:         80
        .size:           4
        .value_kind:     by_value
      - .offset:         84
        .size:           1
        .value_kind:     by_value
      - .offset:         88
        .size:           4
        .value_kind:     hidden_block_count_x
      - .offset:         92
        .size:           4
        .value_kind:     hidden_block_count_y
      - .offset:         96
        .size:           4
        .value_kind:     hidden_block_count_z
      - .offset:         100
        .size:           2
        .value_kind:     hidden_group_size_x
      - .offset:         102
        .size:           2
        .value_kind:     hidden_group_size_y
      - .offset:         104
        .size:           2
        .value_kind:     hidden_group_size_z
      - .offset:         106
        .size:           2
        .value_kind:     hidden_remainder_x
      - .offset:         108
        .size:           2
        .value_kind:     hidden_remainder_y
      - .offset:         110
        .size:           2
        .value_kind:     hidden_remainder_z
      - .offset:         128
        .size:           8
        .value_kind:     hidden_global_offset_x
      - .offset:         136
        .size:           8
        .value_kind:     hidden_global_offset_y
      - .offset:         144
        .size:           8
        .value_kind:     hidden_global_offset_z
      - .offset:         152
        .size:           2
        .value_kind:     hidden_grid_dims
    .group_segment_fixed_size: 0
    .kernarg_segment_align: 8
    .kernarg_segment_size: 344
    .language:       OpenCL C
    .language_version:
      - 2
      - 0
    .max_flat_workgroup_size: 256
    .name:           _ZN9rocsparseL21csrmvn_general_kernelILj256ELj2Ellf21rocsparse_complex_numIfES2_S2_EEvbT2_NS_24const_host_device_scalarIT6_EEPKT1_S9_PKS3_PKT3_PKT4_S6_PT5_21rocsparse_index_base_b
    .private_segment_fixed_size: 0
    .sgpr_count:     25
    .sgpr_spill_count: 0
    .symbol:         _ZN9rocsparseL21csrmvn_general_kernelILj256ELj2Ellf21rocsparse_complex_numIfES2_S2_EEvbT2_NS_24const_host_device_scalarIT6_EEPKT1_S9_PKS3_PKT3_PKT4_S6_PT5_21rocsparse_index_base_b.kd
    .uniform_work_group_size: 1
    .uses_dynamic_stack: false
    .vgpr_count:     28
    .vgpr_spill_count: 0
    .wavefront_size: 32
  - .args:
      - .offset:         0
        .size:           1
        .value_kind:     by_value
      - .offset:         8
        .size:           8
        .value_kind:     by_value
      - .offset:         16
        .size:           8
        .value_kind:     by_value
      - .address_space:  global
        .offset:         24
        .size:           8
        .value_kind:     global_buffer
      - .address_space:  global
        .offset:         32
        .size:           8
        .value_kind:     global_buffer
      - .actual_access:  read_only
        .address_space:  global
        .offset:         40
        .size:           8
        .value_kind:     global_buffer
      - .actual_access:  read_only
        .address_space:  global
        .offset:         48
        .size:           8
        .value_kind:     global_buffer
      - .actual_access:  read_only
        .address_space:  global
        .offset:         56
        .size:           8
        .value_kind:     global_buffer
      - .offset:         64
        .size:           8
        .value_kind:     by_value
      - .address_space:  global
        .offset:         72
        .size:           8
        .value_kind:     global_buffer
      - .offset:         80
        .size:           4
        .value_kind:     by_value
      - .offset:         84
        .size:           1
        .value_kind:     by_value
      - .offset:         88
        .size:           4
        .value_kind:     hidden_block_count_x
      - .offset:         92
        .size:           4
        .value_kind:     hidden_block_count_y
      - .offset:         96
        .size:           4
        .value_kind:     hidden_block_count_z
      - .offset:         100
        .size:           2
        .value_kind:     hidden_group_size_x
      - .offset:         102
        .size:           2
        .value_kind:     hidden_group_size_y
      - .offset:         104
        .size:           2
        .value_kind:     hidden_group_size_z
      - .offset:         106
        .size:           2
        .value_kind:     hidden_remainder_x
      - .offset:         108
        .size:           2
        .value_kind:     hidden_remainder_y
      - .offset:         110
        .size:           2
        .value_kind:     hidden_remainder_z
      - .offset:         128
        .size:           8
        .value_kind:     hidden_global_offset_x
      - .offset:         136
        .size:           8
        .value_kind:     hidden_global_offset_y
      - .offset:         144
        .size:           8
        .value_kind:     hidden_global_offset_z
      - .offset:         152
        .size:           2
        .value_kind:     hidden_grid_dims
    .group_segment_fixed_size: 0
    .kernarg_segment_align: 8
    .kernarg_segment_size: 344
    .language:       OpenCL C
    .language_version:
      - 2
      - 0
    .max_flat_workgroup_size: 256
    .name:           _ZN9rocsparseL21csrmvn_general_kernelILj256ELj4Ellf21rocsparse_complex_numIfES2_S2_EEvbT2_NS_24const_host_device_scalarIT6_EEPKT1_S9_PKS3_PKT3_PKT4_S6_PT5_21rocsparse_index_base_b
    .private_segment_fixed_size: 0
    .sgpr_count:     25
    .sgpr_spill_count: 0
    .symbol:         _ZN9rocsparseL21csrmvn_general_kernelILj256ELj4Ellf21rocsparse_complex_numIfES2_S2_EEvbT2_NS_24const_host_device_scalarIT6_EEPKT1_S9_PKS3_PKT3_PKT4_S6_PT5_21rocsparse_index_base_b.kd
    .uniform_work_group_size: 1
    .uses_dynamic_stack: false
    .vgpr_count:     28
    .vgpr_spill_count: 0
    .wavefront_size: 32
  - .args:
      - .offset:         0
        .size:           1
        .value_kind:     by_value
      - .offset:         8
        .size:           8
        .value_kind:     by_value
      - .offset:         16
        .size:           8
        .value_kind:     by_value
      - .address_space:  global
        .offset:         24
        .size:           8
        .value_kind:     global_buffer
      - .address_space:  global
        .offset:         32
        .size:           8
        .value_kind:     global_buffer
      - .actual_access:  read_only
        .address_space:  global
        .offset:         40
        .size:           8
        .value_kind:     global_buffer
      - .actual_access:  read_only
        .address_space:  global
        .offset:         48
        .size:           8
        .value_kind:     global_buffer
      - .actual_access:  read_only
        .address_space:  global
        .offset:         56
        .size:           8
        .value_kind:     global_buffer
      - .offset:         64
        .size:           8
        .value_kind:     by_value
      - .address_space:  global
        .offset:         72
        .size:           8
        .value_kind:     global_buffer
      - .offset:         80
        .size:           4
        .value_kind:     by_value
      - .offset:         84
        .size:           1
        .value_kind:     by_value
      - .offset:         88
        .size:           4
        .value_kind:     hidden_block_count_x
      - .offset:         92
        .size:           4
        .value_kind:     hidden_block_count_y
      - .offset:         96
        .size:           4
        .value_kind:     hidden_block_count_z
      - .offset:         100
        .size:           2
        .value_kind:     hidden_group_size_x
      - .offset:         102
        .size:           2
        .value_kind:     hidden_group_size_y
      - .offset:         104
        .size:           2
        .value_kind:     hidden_group_size_z
      - .offset:         106
        .size:           2
        .value_kind:     hidden_remainder_x
      - .offset:         108
        .size:           2
        .value_kind:     hidden_remainder_y
      - .offset:         110
        .size:           2
        .value_kind:     hidden_remainder_z
      - .offset:         128
        .size:           8
        .value_kind:     hidden_global_offset_x
      - .offset:         136
        .size:           8
        .value_kind:     hidden_global_offset_y
      - .offset:         144
        .size:           8
        .value_kind:     hidden_global_offset_z
      - .offset:         152
        .size:           2
        .value_kind:     hidden_grid_dims
    .group_segment_fixed_size: 0
    .kernarg_segment_align: 8
    .kernarg_segment_size: 344
    .language:       OpenCL C
    .language_version:
      - 2
      - 0
    .max_flat_workgroup_size: 256
    .name:           _ZN9rocsparseL21csrmvn_general_kernelILj256ELj8Ellf21rocsparse_complex_numIfES2_S2_EEvbT2_NS_24const_host_device_scalarIT6_EEPKT1_S9_PKS3_PKT3_PKT4_S6_PT5_21rocsparse_index_base_b
    .private_segment_fixed_size: 0
    .sgpr_count:     25
    .sgpr_spill_count: 0
    .symbol:         _ZN9rocsparseL21csrmvn_general_kernelILj256ELj8Ellf21rocsparse_complex_numIfES2_S2_EEvbT2_NS_24const_host_device_scalarIT6_EEPKT1_S9_PKS3_PKT3_PKT4_S6_PT5_21rocsparse_index_base_b.kd
    .uniform_work_group_size: 1
    .uses_dynamic_stack: false
    .vgpr_count:     30
    .vgpr_spill_count: 0
    .wavefront_size: 32
  - .args:
      - .offset:         0
        .size:           1
        .value_kind:     by_value
      - .offset:         8
        .size:           8
        .value_kind:     by_value
      - .offset:         16
        .size:           8
        .value_kind:     by_value
      - .address_space:  global
        .offset:         24
        .size:           8
        .value_kind:     global_buffer
      - .address_space:  global
        .offset:         32
        .size:           8
        .value_kind:     global_buffer
      - .actual_access:  read_only
        .address_space:  global
        .offset:         40
        .size:           8
        .value_kind:     global_buffer
      - .actual_access:  read_only
        .address_space:  global
        .offset:         48
        .size:           8
        .value_kind:     global_buffer
      - .actual_access:  read_only
        .address_space:  global
        .offset:         56
        .size:           8
        .value_kind:     global_buffer
      - .offset:         64
        .size:           8
        .value_kind:     by_value
      - .address_space:  global
        .offset:         72
        .size:           8
        .value_kind:     global_buffer
      - .offset:         80
        .size:           4
        .value_kind:     by_value
      - .offset:         84
        .size:           1
        .value_kind:     by_value
      - .offset:         88
        .size:           4
        .value_kind:     hidden_block_count_x
      - .offset:         92
        .size:           4
        .value_kind:     hidden_block_count_y
      - .offset:         96
        .size:           4
        .value_kind:     hidden_block_count_z
      - .offset:         100
        .size:           2
        .value_kind:     hidden_group_size_x
      - .offset:         102
        .size:           2
        .value_kind:     hidden_group_size_y
      - .offset:         104
        .size:           2
        .value_kind:     hidden_group_size_z
      - .offset:         106
        .size:           2
        .value_kind:     hidden_remainder_x
      - .offset:         108
        .size:           2
        .value_kind:     hidden_remainder_y
      - .offset:         110
        .size:           2
        .value_kind:     hidden_remainder_z
      - .offset:         128
        .size:           8
        .value_kind:     hidden_global_offset_x
      - .offset:         136
        .size:           8
        .value_kind:     hidden_global_offset_y
      - .offset:         144
        .size:           8
        .value_kind:     hidden_global_offset_z
      - .offset:         152
        .size:           2
        .value_kind:     hidden_grid_dims
    .group_segment_fixed_size: 0
    .kernarg_segment_align: 8
    .kernarg_segment_size: 344
    .language:       OpenCL C
    .language_version:
      - 2
      - 0
    .max_flat_workgroup_size: 256
    .name:           _ZN9rocsparseL21csrmvn_general_kernelILj256ELj16Ellf21rocsparse_complex_numIfES2_S2_EEvbT2_NS_24const_host_device_scalarIT6_EEPKT1_S9_PKS3_PKT3_PKT4_S6_PT5_21rocsparse_index_base_b
    .private_segment_fixed_size: 0
    .sgpr_count:     25
    .sgpr_spill_count: 0
    .symbol:         _ZN9rocsparseL21csrmvn_general_kernelILj256ELj16Ellf21rocsparse_complex_numIfES2_S2_EEvbT2_NS_24const_host_device_scalarIT6_EEPKT1_S9_PKS3_PKT3_PKT4_S6_PT5_21rocsparse_index_base_b.kd
    .uniform_work_group_size: 1
    .uses_dynamic_stack: false
    .vgpr_count:     30
    .vgpr_spill_count: 0
    .wavefront_size: 32
  - .args:
      - .offset:         0
        .size:           1
        .value_kind:     by_value
      - .offset:         8
        .size:           8
        .value_kind:     by_value
      - .offset:         16
        .size:           8
        .value_kind:     by_value
      - .address_space:  global
        .offset:         24
        .size:           8
        .value_kind:     global_buffer
      - .address_space:  global
        .offset:         32
        .size:           8
        .value_kind:     global_buffer
      - .actual_access:  read_only
        .address_space:  global
        .offset:         40
        .size:           8
        .value_kind:     global_buffer
      - .actual_access:  read_only
        .address_space:  global
        .offset:         48
        .size:           8
        .value_kind:     global_buffer
      - .actual_access:  read_only
        .address_space:  global
        .offset:         56
        .size:           8
        .value_kind:     global_buffer
      - .offset:         64
        .size:           8
        .value_kind:     by_value
      - .address_space:  global
        .offset:         72
        .size:           8
        .value_kind:     global_buffer
      - .offset:         80
        .size:           4
        .value_kind:     by_value
      - .offset:         84
        .size:           1
        .value_kind:     by_value
      - .offset:         88
        .size:           4
        .value_kind:     hidden_block_count_x
      - .offset:         92
        .size:           4
        .value_kind:     hidden_block_count_y
      - .offset:         96
        .size:           4
        .value_kind:     hidden_block_count_z
      - .offset:         100
        .size:           2
        .value_kind:     hidden_group_size_x
      - .offset:         102
        .size:           2
        .value_kind:     hidden_group_size_y
      - .offset:         104
        .size:           2
        .value_kind:     hidden_group_size_z
      - .offset:         106
        .size:           2
        .value_kind:     hidden_remainder_x
      - .offset:         108
        .size:           2
        .value_kind:     hidden_remainder_y
      - .offset:         110
        .size:           2
        .value_kind:     hidden_remainder_z
      - .offset:         128
        .size:           8
        .value_kind:     hidden_global_offset_x
      - .offset:         136
        .size:           8
        .value_kind:     hidden_global_offset_y
      - .offset:         144
        .size:           8
        .value_kind:     hidden_global_offset_z
      - .offset:         152
        .size:           2
        .value_kind:     hidden_grid_dims
    .group_segment_fixed_size: 0
    .kernarg_segment_align: 8
    .kernarg_segment_size: 344
    .language:       OpenCL C
    .language_version:
      - 2
      - 0
    .max_flat_workgroup_size: 256
    .name:           _ZN9rocsparseL21csrmvn_general_kernelILj256ELj32Ellf21rocsparse_complex_numIfES2_S2_EEvbT2_NS_24const_host_device_scalarIT6_EEPKT1_S9_PKS3_PKT3_PKT4_S6_PT5_21rocsparse_index_base_b
    .private_segment_fixed_size: 0
    .sgpr_count:     25
    .sgpr_spill_count: 0
    .symbol:         _ZN9rocsparseL21csrmvn_general_kernelILj256ELj32Ellf21rocsparse_complex_numIfES2_S2_EEvbT2_NS_24const_host_device_scalarIT6_EEPKT1_S9_PKS3_PKT3_PKT4_S6_PT5_21rocsparse_index_base_b.kd
    .uniform_work_group_size: 1
    .uses_dynamic_stack: false
    .vgpr_count:     32
    .vgpr_spill_count: 0
    .wavefront_size: 32
  - .args:
      - .offset:         0
        .size:           1
        .value_kind:     by_value
      - .offset:         8
        .size:           8
        .value_kind:     by_value
      - .offset:         16
        .size:           8
        .value_kind:     by_value
      - .address_space:  global
        .offset:         24
        .size:           8
        .value_kind:     global_buffer
      - .address_space:  global
        .offset:         32
        .size:           8
        .value_kind:     global_buffer
      - .actual_access:  read_only
        .address_space:  global
        .offset:         40
        .size:           8
        .value_kind:     global_buffer
      - .actual_access:  read_only
        .address_space:  global
        .offset:         48
        .size:           8
        .value_kind:     global_buffer
      - .actual_access:  read_only
        .address_space:  global
        .offset:         56
        .size:           8
        .value_kind:     global_buffer
      - .offset:         64
        .size:           8
        .value_kind:     by_value
      - .address_space:  global
        .offset:         72
        .size:           8
        .value_kind:     global_buffer
      - .offset:         80
        .size:           4
        .value_kind:     by_value
      - .offset:         84
        .size:           1
        .value_kind:     by_value
      - .offset:         88
        .size:           4
        .value_kind:     hidden_block_count_x
      - .offset:         92
        .size:           4
        .value_kind:     hidden_block_count_y
      - .offset:         96
        .size:           4
        .value_kind:     hidden_block_count_z
      - .offset:         100
        .size:           2
        .value_kind:     hidden_group_size_x
      - .offset:         102
        .size:           2
        .value_kind:     hidden_group_size_y
      - .offset:         104
        .size:           2
        .value_kind:     hidden_group_size_z
      - .offset:         106
        .size:           2
        .value_kind:     hidden_remainder_x
      - .offset:         108
        .size:           2
        .value_kind:     hidden_remainder_y
      - .offset:         110
        .size:           2
        .value_kind:     hidden_remainder_z
      - .offset:         128
        .size:           8
        .value_kind:     hidden_global_offset_x
      - .offset:         136
        .size:           8
        .value_kind:     hidden_global_offset_y
      - .offset:         144
        .size:           8
        .value_kind:     hidden_global_offset_z
      - .offset:         152
        .size:           2
        .value_kind:     hidden_grid_dims
    .group_segment_fixed_size: 0
    .kernarg_segment_align: 8
    .kernarg_segment_size: 344
    .language:       OpenCL C
    .language_version:
      - 2
      - 0
    .max_flat_workgroup_size: 256
    .name:           _ZN9rocsparseL21csrmvn_general_kernelILj256ELj64Ellf21rocsparse_complex_numIfES2_S2_EEvbT2_NS_24const_host_device_scalarIT6_EEPKT1_S9_PKS3_PKT3_PKT4_S6_PT5_21rocsparse_index_base_b
    .private_segment_fixed_size: 0
    .sgpr_count:     25
    .sgpr_spill_count: 0
    .symbol:         _ZN9rocsparseL21csrmvn_general_kernelILj256ELj64Ellf21rocsparse_complex_numIfES2_S2_EEvbT2_NS_24const_host_device_scalarIT6_EEPKT1_S9_PKS3_PKT3_PKT4_S6_PT5_21rocsparse_index_base_b.kd
    .uniform_work_group_size: 1
    .uses_dynamic_stack: false
    .vgpr_count:     32
    .vgpr_spill_count: 0
    .wavefront_size: 32
  - .args:
      - .offset:         0
        .size:           1
        .value_kind:     by_value
      - .offset:         1
        .size:           1
        .value_kind:     by_value
      - .offset:         8
        .size:           8
        .value_kind:     by_value
      - .offset:         16
        .size:           8
        .value_kind:     by_value
      - .address_space:  global
        .offset:         24
        .size:           8
        .value_kind:     global_buffer
      - .address_space:  global
        .offset:         32
        .size:           8
        .value_kind:     global_buffer
      - .actual_access:  read_only
        .address_space:  global
        .offset:         40
        .size:           8
        .value_kind:     global_buffer
      - .actual_access:  read_only
        .address_space:  global
        .offset:         48
        .size:           8
        .value_kind:     global_buffer
      - .actual_access:  read_only
        .address_space:  global
        .offset:         56
        .size:           8
        .value_kind:     global_buffer
      - .address_space:  global
        .offset:         64
        .size:           8
        .value_kind:     global_buffer
      - .offset:         72
        .size:           4
        .value_kind:     by_value
      - .offset:         76
        .size:           1
        .value_kind:     by_value
      - .offset:         80
        .size:           4
        .value_kind:     hidden_block_count_x
      - .offset:         84
        .size:           4
        .value_kind:     hidden_block_count_y
      - .offset:         88
        .size:           4
        .value_kind:     hidden_block_count_z
      - .offset:         92
        .size:           2
        .value_kind:     hidden_group_size_x
      - .offset:         94
        .size:           2
        .value_kind:     hidden_group_size_y
      - .offset:         96
        .size:           2
        .value_kind:     hidden_group_size_z
      - .offset:         98
        .size:           2
        .value_kind:     hidden_remainder_x
      - .offset:         100
        .size:           2
        .value_kind:     hidden_remainder_y
      - .offset:         102
        .size:           2
        .value_kind:     hidden_remainder_z
      - .offset:         120
        .size:           8
        .value_kind:     hidden_global_offset_x
      - .offset:         128
        .size:           8
        .value_kind:     hidden_global_offset_y
      - .offset:         136
        .size:           8
        .value_kind:     hidden_global_offset_z
      - .offset:         144
        .size:           2
        .value_kind:     hidden_grid_dims
    .group_segment_fixed_size: 0
    .kernarg_segment_align: 8
    .kernarg_segment_size: 336
    .language:       OpenCL C
    .language_version:
      - 2
      - 0
    .max_flat_workgroup_size: 256
    .name:           _ZN9rocsparseL21csrmvt_general_kernelILj256ELj4Ellf21rocsparse_complex_numIfES2_S2_EEvbbT2_NS_24const_host_device_scalarIT6_EEPKT1_S9_PKS3_PKT3_PKT4_PT5_21rocsparse_index_base_b
    .private_segment_fixed_size: 0
    .sgpr_count:     25
    .sgpr_spill_count: 0
    .symbol:         _ZN9rocsparseL21csrmvt_general_kernelILj256ELj4Ellf21rocsparse_complex_numIfES2_S2_EEvbbT2_NS_24const_host_device_scalarIT6_EEPKT1_S9_PKS3_PKT3_PKT4_PT5_21rocsparse_index_base_b.kd
    .uniform_work_group_size: 1
    .uses_dynamic_stack: false
    .vgpr_count:     25
    .vgpr_spill_count: 0
    .wavefront_size: 32
  - .args:
      - .offset:         0
        .size:           1
        .value_kind:     by_value
      - .offset:         1
        .size:           1
        .value_kind:     by_value
      - .offset:         8
        .size:           8
        .value_kind:     by_value
      - .offset:         16
        .size:           8
        .value_kind:     by_value
      - .address_space:  global
        .offset:         24
        .size:           8
        .value_kind:     global_buffer
      - .address_space:  global
        .offset:         32
        .size:           8
        .value_kind:     global_buffer
      - .actual_access:  read_only
        .address_space:  global
        .offset:         40
        .size:           8
        .value_kind:     global_buffer
      - .actual_access:  read_only
        .address_space:  global
        .offset:         48
        .size:           8
        .value_kind:     global_buffer
      - .actual_access:  read_only
        .address_space:  global
        .offset:         56
        .size:           8
        .value_kind:     global_buffer
      - .address_space:  global
        .offset:         64
        .size:           8
        .value_kind:     global_buffer
      - .offset:         72
        .size:           4
        .value_kind:     by_value
      - .offset:         76
        .size:           1
        .value_kind:     by_value
      - .offset:         80
        .size:           4
        .value_kind:     hidden_block_count_x
      - .offset:         84
        .size:           4
        .value_kind:     hidden_block_count_y
      - .offset:         88
        .size:           4
        .value_kind:     hidden_block_count_z
      - .offset:         92
        .size:           2
        .value_kind:     hidden_group_size_x
      - .offset:         94
        .size:           2
        .value_kind:     hidden_group_size_y
      - .offset:         96
        .size:           2
        .value_kind:     hidden_group_size_z
      - .offset:         98
        .size:           2
        .value_kind:     hidden_remainder_x
      - .offset:         100
        .size:           2
        .value_kind:     hidden_remainder_y
      - .offset:         102
        .size:           2
        .value_kind:     hidden_remainder_z
      - .offset:         120
        .size:           8
        .value_kind:     hidden_global_offset_x
      - .offset:         128
        .size:           8
        .value_kind:     hidden_global_offset_y
      - .offset:         136
        .size:           8
        .value_kind:     hidden_global_offset_z
      - .offset:         144
        .size:           2
        .value_kind:     hidden_grid_dims
    .group_segment_fixed_size: 0
    .kernarg_segment_align: 8
    .kernarg_segment_size: 336
    .language:       OpenCL C
    .language_version:
      - 2
      - 0
    .max_flat_workgroup_size: 256
    .name:           _ZN9rocsparseL21csrmvt_general_kernelILj256ELj8Ellf21rocsparse_complex_numIfES2_S2_EEvbbT2_NS_24const_host_device_scalarIT6_EEPKT1_S9_PKS3_PKT3_PKT4_PT5_21rocsparse_index_base_b
    .private_segment_fixed_size: 0
    .sgpr_count:     25
    .sgpr_spill_count: 0
    .symbol:         _ZN9rocsparseL21csrmvt_general_kernelILj256ELj8Ellf21rocsparse_complex_numIfES2_S2_EEvbbT2_NS_24const_host_device_scalarIT6_EEPKT1_S9_PKS3_PKT3_PKT4_PT5_21rocsparse_index_base_b.kd
    .uniform_work_group_size: 1
    .uses_dynamic_stack: false
    .vgpr_count:     25
    .vgpr_spill_count: 0
    .wavefront_size: 32
  - .args:
      - .offset:         0
        .size:           1
        .value_kind:     by_value
      - .offset:         1
        .size:           1
        .value_kind:     by_value
      - .offset:         8
        .size:           8
        .value_kind:     by_value
      - .offset:         16
        .size:           8
        .value_kind:     by_value
      - .address_space:  global
        .offset:         24
        .size:           8
        .value_kind:     global_buffer
      - .address_space:  global
        .offset:         32
        .size:           8
        .value_kind:     global_buffer
      - .actual_access:  read_only
        .address_space:  global
        .offset:         40
        .size:           8
        .value_kind:     global_buffer
      - .actual_access:  read_only
        .address_space:  global
        .offset:         48
        .size:           8
        .value_kind:     global_buffer
      - .actual_access:  read_only
        .address_space:  global
        .offset:         56
        .size:           8
        .value_kind:     global_buffer
      - .address_space:  global
        .offset:         64
        .size:           8
        .value_kind:     global_buffer
      - .offset:         72
        .size:           4
        .value_kind:     by_value
      - .offset:         76
        .size:           1
        .value_kind:     by_value
      - .offset:         80
        .size:           4
        .value_kind:     hidden_block_count_x
      - .offset:         84
        .size:           4
        .value_kind:     hidden_block_count_y
      - .offset:         88
        .size:           4
        .value_kind:     hidden_block_count_z
      - .offset:         92
        .size:           2
        .value_kind:     hidden_group_size_x
      - .offset:         94
        .size:           2
        .value_kind:     hidden_group_size_y
      - .offset:         96
        .size:           2
        .value_kind:     hidden_group_size_z
      - .offset:         98
        .size:           2
        .value_kind:     hidden_remainder_x
      - .offset:         100
        .size:           2
        .value_kind:     hidden_remainder_y
      - .offset:         102
        .size:           2
        .value_kind:     hidden_remainder_z
      - .offset:         120
        .size:           8
        .value_kind:     hidden_global_offset_x
      - .offset:         128
        .size:           8
        .value_kind:     hidden_global_offset_y
      - .offset:         136
        .size:           8
        .value_kind:     hidden_global_offset_z
      - .offset:         144
        .size:           2
        .value_kind:     hidden_grid_dims
    .group_segment_fixed_size: 0
    .kernarg_segment_align: 8
    .kernarg_segment_size: 336
    .language:       OpenCL C
    .language_version:
      - 2
      - 0
    .max_flat_workgroup_size: 256
    .name:           _ZN9rocsparseL21csrmvt_general_kernelILj256ELj16Ellf21rocsparse_complex_numIfES2_S2_EEvbbT2_NS_24const_host_device_scalarIT6_EEPKT1_S9_PKS3_PKT3_PKT4_PT5_21rocsparse_index_base_b
    .private_segment_fixed_size: 0
    .sgpr_count:     25
    .sgpr_spill_count: 0
    .symbol:         _ZN9rocsparseL21csrmvt_general_kernelILj256ELj16Ellf21rocsparse_complex_numIfES2_S2_EEvbbT2_NS_24const_host_device_scalarIT6_EEPKT1_S9_PKS3_PKT3_PKT4_PT5_21rocsparse_index_base_b.kd
    .uniform_work_group_size: 1
    .uses_dynamic_stack: false
    .vgpr_count:     25
    .vgpr_spill_count: 0
    .wavefront_size: 32
  - .args:
      - .offset:         0
        .size:           1
        .value_kind:     by_value
      - .offset:         1
        .size:           1
        .value_kind:     by_value
      - .offset:         8
        .size:           8
        .value_kind:     by_value
      - .offset:         16
        .size:           8
        .value_kind:     by_value
      - .address_space:  global
        .offset:         24
        .size:           8
        .value_kind:     global_buffer
      - .address_space:  global
        .offset:         32
        .size:           8
        .value_kind:     global_buffer
      - .actual_access:  read_only
        .address_space:  global
        .offset:         40
        .size:           8
        .value_kind:     global_buffer
      - .actual_access:  read_only
        .address_space:  global
        .offset:         48
        .size:           8
        .value_kind:     global_buffer
      - .actual_access:  read_only
        .address_space:  global
        .offset:         56
        .size:           8
        .value_kind:     global_buffer
      - .address_space:  global
        .offset:         64
        .size:           8
        .value_kind:     global_buffer
      - .offset:         72
        .size:           4
        .value_kind:     by_value
      - .offset:         76
        .size:           1
        .value_kind:     by_value
      - .offset:         80
        .size:           4
        .value_kind:     hidden_block_count_x
      - .offset:         84
        .size:           4
        .value_kind:     hidden_block_count_y
      - .offset:         88
        .size:           4
        .value_kind:     hidden_block_count_z
      - .offset:         92
        .size:           2
        .value_kind:     hidden_group_size_x
      - .offset:         94
        .size:           2
        .value_kind:     hidden_group_size_y
      - .offset:         96
        .size:           2
        .value_kind:     hidden_group_size_z
      - .offset:         98
        .size:           2
        .value_kind:     hidden_remainder_x
      - .offset:         100
        .size:           2
        .value_kind:     hidden_remainder_y
      - .offset:         102
        .size:           2
        .value_kind:     hidden_remainder_z
      - .offset:         120
        .size:           8
        .value_kind:     hidden_global_offset_x
      - .offset:         128
        .size:           8
        .value_kind:     hidden_global_offset_y
      - .offset:         136
        .size:           8
        .value_kind:     hidden_global_offset_z
      - .offset:         144
        .size:           2
        .value_kind:     hidden_grid_dims
    .group_segment_fixed_size: 0
    .kernarg_segment_align: 8
    .kernarg_segment_size: 336
    .language:       OpenCL C
    .language_version:
      - 2
      - 0
    .max_flat_workgroup_size: 256
    .name:           _ZN9rocsparseL21csrmvt_general_kernelILj256ELj32Ellf21rocsparse_complex_numIfES2_S2_EEvbbT2_NS_24const_host_device_scalarIT6_EEPKT1_S9_PKS3_PKT3_PKT4_PT5_21rocsparse_index_base_b
    .private_segment_fixed_size: 0
    .sgpr_count:     25
    .sgpr_spill_count: 0
    .symbol:         _ZN9rocsparseL21csrmvt_general_kernelILj256ELj32Ellf21rocsparse_complex_numIfES2_S2_EEvbbT2_NS_24const_host_device_scalarIT6_EEPKT1_S9_PKS3_PKT3_PKT4_PT5_21rocsparse_index_base_b.kd
    .uniform_work_group_size: 1
    .uses_dynamic_stack: false
    .vgpr_count:     25
    .vgpr_spill_count: 0
    .wavefront_size: 32
  - .args:
      - .offset:         0
        .size:           1
        .value_kind:     by_value
      - .offset:         1
        .size:           1
        .value_kind:     by_value
      - .offset:         8
        .size:           8
        .value_kind:     by_value
      - .offset:         16
        .size:           8
        .value_kind:     by_value
      - .address_space:  global
        .offset:         24
        .size:           8
        .value_kind:     global_buffer
      - .address_space:  global
        .offset:         32
        .size:           8
        .value_kind:     global_buffer
      - .actual_access:  read_only
        .address_space:  global
        .offset:         40
        .size:           8
        .value_kind:     global_buffer
      - .actual_access:  read_only
        .address_space:  global
        .offset:         48
        .size:           8
        .value_kind:     global_buffer
      - .actual_access:  read_only
        .address_space:  global
        .offset:         56
        .size:           8
        .value_kind:     global_buffer
      - .address_space:  global
        .offset:         64
        .size:           8
        .value_kind:     global_buffer
      - .offset:         72
        .size:           4
        .value_kind:     by_value
      - .offset:         76
        .size:           1
        .value_kind:     by_value
      - .offset:         80
        .size:           4
        .value_kind:     hidden_block_count_x
      - .offset:         84
        .size:           4
        .value_kind:     hidden_block_count_y
      - .offset:         88
        .size:           4
        .value_kind:     hidden_block_count_z
      - .offset:         92
        .size:           2
        .value_kind:     hidden_group_size_x
      - .offset:         94
        .size:           2
        .value_kind:     hidden_group_size_y
      - .offset:         96
        .size:           2
        .value_kind:     hidden_group_size_z
      - .offset:         98
        .size:           2
        .value_kind:     hidden_remainder_x
      - .offset:         100
        .size:           2
        .value_kind:     hidden_remainder_y
      - .offset:         102
        .size:           2
        .value_kind:     hidden_remainder_z
      - .offset:         120
        .size:           8
        .value_kind:     hidden_global_offset_x
      - .offset:         128
        .size:           8
        .value_kind:     hidden_global_offset_y
      - .offset:         136
        .size:           8
        .value_kind:     hidden_global_offset_z
      - .offset:         144
        .size:           2
        .value_kind:     hidden_grid_dims
    .group_segment_fixed_size: 0
    .kernarg_segment_align: 8
    .kernarg_segment_size: 336
    .language:       OpenCL C
    .language_version:
      - 2
      - 0
    .max_flat_workgroup_size: 256
    .name:           _ZN9rocsparseL21csrmvt_general_kernelILj256ELj64Ellf21rocsparse_complex_numIfES2_S2_EEvbbT2_NS_24const_host_device_scalarIT6_EEPKT1_S9_PKS3_PKT3_PKT4_PT5_21rocsparse_index_base_b
    .private_segment_fixed_size: 0
    .sgpr_count:     25
    .sgpr_spill_count: 0
    .symbol:         _ZN9rocsparseL21csrmvt_general_kernelILj256ELj64Ellf21rocsparse_complex_numIfES2_S2_EEvbbT2_NS_24const_host_device_scalarIT6_EEPKT1_S9_PKS3_PKT3_PKT4_PT5_21rocsparse_index_base_b.kd
    .uniform_work_group_size: 1
    .uses_dynamic_stack: false
    .vgpr_count:     25
    .vgpr_spill_count: 0
    .wavefront_size: 32
  - .args:
      - .offset:         0
        .size:           1
        .value_kind:     by_value
      - .offset:         4
        .size:           4
        .value_kind:     by_value
      - .offset:         8
        .size:           8
        .value_kind:     by_value
      - .address_space:  global
        .offset:         16
        .size:           8
        .value_kind:     global_buffer
      - .address_space:  global
        .offset:         24
        .size:           8
        .value_kind:     global_buffer
      - .actual_access:  read_only
        .address_space:  global
        .offset:         32
        .size:           8
        .value_kind:     global_buffer
      - .actual_access:  read_only
        .address_space:  global
        .offset:         40
        .size:           8
        .value_kind:     global_buffer
      - .actual_access:  read_only
        .address_space:  global
        .offset:         48
        .size:           8
        .value_kind:     global_buffer
      - .offset:         56
        .size:           8
        .value_kind:     by_value
      - .address_space:  global
        .offset:         64
        .size:           8
        .value_kind:     global_buffer
      - .offset:         72
        .size:           4
        .value_kind:     by_value
      - .offset:         76
        .size:           1
        .value_kind:     by_value
      - .offset:         80
        .size:           4
        .value_kind:     hidden_block_count_x
      - .offset:         84
        .size:           4
        .value_kind:     hidden_block_count_y
      - .offset:         88
        .size:           4
        .value_kind:     hidden_block_count_z
      - .offset:         92
        .size:           2
        .value_kind:     hidden_group_size_x
      - .offset:         94
        .size:           2
        .value_kind:     hidden_group_size_y
      - .offset:         96
        .size:           2
        .value_kind:     hidden_group_size_z
      - .offset:         98
        .size:           2
        .value_kind:     hidden_remainder_x
      - .offset:         100
        .size:           2
        .value_kind:     hidden_remainder_y
      - .offset:         102
        .size:           2
        .value_kind:     hidden_remainder_z
      - .offset:         120
        .size:           8
        .value_kind:     hidden_global_offset_x
      - .offset:         128
        .size:           8
        .value_kind:     hidden_global_offset_y
      - .offset:         136
        .size:           8
        .value_kind:     hidden_global_offset_z
      - .offset:         144
        .size:           2
        .value_kind:     hidden_grid_dims
    .group_segment_fixed_size: 0
    .kernarg_segment_align: 8
    .kernarg_segment_size: 336
    .language:       OpenCL C
    .language_version:
      - 2
      - 0
    .max_flat_workgroup_size: 256
    .name:           _ZN9rocsparseL21csrmvn_general_kernelILj256ELj2EiifdddEEvbT2_NS_24const_host_device_scalarIT6_EEPKT1_S7_PKS1_PKT3_PKT4_S4_PT5_21rocsparse_index_base_b
    .private_segment_fixed_size: 0
    .sgpr_count:     23
    .sgpr_spill_count: 0
    .symbol:         _ZN9rocsparseL21csrmvn_general_kernelILj256ELj2EiifdddEEvbT2_NS_24const_host_device_scalarIT6_EEPKT1_S7_PKS1_PKT3_PKT4_S4_PT5_21rocsparse_index_base_b.kd
    .uniform_work_group_size: 1
    .uses_dynamic_stack: false
    .vgpr_count:     16
    .vgpr_spill_count: 0
    .wavefront_size: 32
  - .args:
      - .offset:         0
        .size:           1
        .value_kind:     by_value
      - .offset:         4
        .size:           4
        .value_kind:     by_value
      - .offset:         8
        .size:           8
        .value_kind:     by_value
      - .address_space:  global
        .offset:         16
        .size:           8
        .value_kind:     global_buffer
      - .address_space:  global
        .offset:         24
        .size:           8
        .value_kind:     global_buffer
      - .actual_access:  read_only
        .address_space:  global
        .offset:         32
        .size:           8
        .value_kind:     global_buffer
      - .actual_access:  read_only
        .address_space:  global
        .offset:         40
        .size:           8
        .value_kind:     global_buffer
      - .actual_access:  read_only
        .address_space:  global
        .offset:         48
        .size:           8
        .value_kind:     global_buffer
      - .offset:         56
        .size:           8
        .value_kind:     by_value
      - .address_space:  global
        .offset:         64
        .size:           8
        .value_kind:     global_buffer
      - .offset:         72
        .size:           4
        .value_kind:     by_value
      - .offset:         76
        .size:           1
        .value_kind:     by_value
      - .offset:         80
        .size:           4
        .value_kind:     hidden_block_count_x
      - .offset:         84
        .size:           4
        .value_kind:     hidden_block_count_y
      - .offset:         88
        .size:           4
        .value_kind:     hidden_block_count_z
      - .offset:         92
        .size:           2
        .value_kind:     hidden_group_size_x
      - .offset:         94
        .size:           2
        .value_kind:     hidden_group_size_y
      - .offset:         96
        .size:           2
        .value_kind:     hidden_group_size_z
      - .offset:         98
        .size:           2
        .value_kind:     hidden_remainder_x
      - .offset:         100
        .size:           2
        .value_kind:     hidden_remainder_y
      - .offset:         102
        .size:           2
        .value_kind:     hidden_remainder_z
      - .offset:         120
        .size:           8
        .value_kind:     hidden_global_offset_x
      - .offset:         128
        .size:           8
        .value_kind:     hidden_global_offset_y
      - .offset:         136
        .size:           8
        .value_kind:     hidden_global_offset_z
      - .offset:         144
        .size:           2
        .value_kind:     hidden_grid_dims
    .group_segment_fixed_size: 0
    .kernarg_segment_align: 8
    .kernarg_segment_size: 336
    .language:       OpenCL C
    .language_version:
      - 2
      - 0
    .max_flat_workgroup_size: 256
    .name:           _ZN9rocsparseL21csrmvn_general_kernelILj256ELj4EiifdddEEvbT2_NS_24const_host_device_scalarIT6_EEPKT1_S7_PKS1_PKT3_PKT4_S4_PT5_21rocsparse_index_base_b
    .private_segment_fixed_size: 0
    .sgpr_count:     23
    .sgpr_spill_count: 0
    .symbol:         _ZN9rocsparseL21csrmvn_general_kernelILj256ELj4EiifdddEEvbT2_NS_24const_host_device_scalarIT6_EEPKT1_S7_PKS1_PKT3_PKT4_S4_PT5_21rocsparse_index_base_b.kd
    .uniform_work_group_size: 1
    .uses_dynamic_stack: false
    .vgpr_count:     18
    .vgpr_spill_count: 0
    .wavefront_size: 32
  - .args:
      - .offset:         0
        .size:           1
        .value_kind:     by_value
      - .offset:         4
        .size:           4
        .value_kind:     by_value
      - .offset:         8
        .size:           8
        .value_kind:     by_value
      - .address_space:  global
        .offset:         16
        .size:           8
        .value_kind:     global_buffer
      - .address_space:  global
        .offset:         24
        .size:           8
        .value_kind:     global_buffer
      - .actual_access:  read_only
        .address_space:  global
        .offset:         32
        .size:           8
        .value_kind:     global_buffer
      - .actual_access:  read_only
        .address_space:  global
        .offset:         40
        .size:           8
        .value_kind:     global_buffer
      - .actual_access:  read_only
        .address_space:  global
        .offset:         48
        .size:           8
        .value_kind:     global_buffer
      - .offset:         56
        .size:           8
        .value_kind:     by_value
      - .address_space:  global
        .offset:         64
        .size:           8
        .value_kind:     global_buffer
      - .offset:         72
        .size:           4
        .value_kind:     by_value
      - .offset:         76
        .size:           1
        .value_kind:     by_value
      - .offset:         80
        .size:           4
        .value_kind:     hidden_block_count_x
      - .offset:         84
        .size:           4
        .value_kind:     hidden_block_count_y
      - .offset:         88
        .size:           4
        .value_kind:     hidden_block_count_z
      - .offset:         92
        .size:           2
        .value_kind:     hidden_group_size_x
      - .offset:         94
        .size:           2
        .value_kind:     hidden_group_size_y
      - .offset:         96
        .size:           2
        .value_kind:     hidden_group_size_z
      - .offset:         98
        .size:           2
        .value_kind:     hidden_remainder_x
      - .offset:         100
        .size:           2
        .value_kind:     hidden_remainder_y
      - .offset:         102
        .size:           2
        .value_kind:     hidden_remainder_z
      - .offset:         120
        .size:           8
        .value_kind:     hidden_global_offset_x
      - .offset:         128
        .size:           8
        .value_kind:     hidden_global_offset_y
      - .offset:         136
        .size:           8
        .value_kind:     hidden_global_offset_z
      - .offset:         144
        .size:           2
        .value_kind:     hidden_grid_dims
    .group_segment_fixed_size: 0
    .kernarg_segment_align: 8
    .kernarg_segment_size: 336
    .language:       OpenCL C
    .language_version:
      - 2
      - 0
    .max_flat_workgroup_size: 256
    .name:           _ZN9rocsparseL21csrmvn_general_kernelILj256ELj8EiifdddEEvbT2_NS_24const_host_device_scalarIT6_EEPKT1_S7_PKS1_PKT3_PKT4_S4_PT5_21rocsparse_index_base_b
    .private_segment_fixed_size: 0
    .sgpr_count:     23
    .sgpr_spill_count: 0
    .symbol:         _ZN9rocsparseL21csrmvn_general_kernelILj256ELj8EiifdddEEvbT2_NS_24const_host_device_scalarIT6_EEPKT1_S7_PKS1_PKT3_PKT4_S4_PT5_21rocsparse_index_base_b.kd
    .uniform_work_group_size: 1
    .uses_dynamic_stack: false
    .vgpr_count:     18
    .vgpr_spill_count: 0
    .wavefront_size: 32
  - .args:
      - .offset:         0
        .size:           1
        .value_kind:     by_value
      - .offset:         4
        .size:           4
        .value_kind:     by_value
      - .offset:         8
        .size:           8
        .value_kind:     by_value
      - .address_space:  global
        .offset:         16
        .size:           8
        .value_kind:     global_buffer
      - .address_space:  global
        .offset:         24
        .size:           8
        .value_kind:     global_buffer
      - .actual_access:  read_only
        .address_space:  global
        .offset:         32
        .size:           8
        .value_kind:     global_buffer
      - .actual_access:  read_only
        .address_space:  global
        .offset:         40
        .size:           8
        .value_kind:     global_buffer
      - .actual_access:  read_only
        .address_space:  global
        .offset:         48
        .size:           8
        .value_kind:     global_buffer
      - .offset:         56
        .size:           8
        .value_kind:     by_value
      - .address_space:  global
        .offset:         64
        .size:           8
        .value_kind:     global_buffer
      - .offset:         72
        .size:           4
        .value_kind:     by_value
      - .offset:         76
        .size:           1
        .value_kind:     by_value
      - .offset:         80
        .size:           4
        .value_kind:     hidden_block_count_x
      - .offset:         84
        .size:           4
        .value_kind:     hidden_block_count_y
      - .offset:         88
        .size:           4
        .value_kind:     hidden_block_count_z
      - .offset:         92
        .size:           2
        .value_kind:     hidden_group_size_x
      - .offset:         94
        .size:           2
        .value_kind:     hidden_group_size_y
      - .offset:         96
        .size:           2
        .value_kind:     hidden_group_size_z
      - .offset:         98
        .size:           2
        .value_kind:     hidden_remainder_x
      - .offset:         100
        .size:           2
        .value_kind:     hidden_remainder_y
      - .offset:         102
        .size:           2
        .value_kind:     hidden_remainder_z
      - .offset:         120
        .size:           8
        .value_kind:     hidden_global_offset_x
      - .offset:         128
        .size:           8
        .value_kind:     hidden_global_offset_y
      - .offset:         136
        .size:           8
        .value_kind:     hidden_global_offset_z
      - .offset:         144
        .size:           2
        .value_kind:     hidden_grid_dims
    .group_segment_fixed_size: 0
    .kernarg_segment_align: 8
    .kernarg_segment_size: 336
    .language:       OpenCL C
    .language_version:
      - 2
      - 0
    .max_flat_workgroup_size: 256
    .name:           _ZN9rocsparseL21csrmvn_general_kernelILj256ELj16EiifdddEEvbT2_NS_24const_host_device_scalarIT6_EEPKT1_S7_PKS1_PKT3_PKT4_S4_PT5_21rocsparse_index_base_b
    .private_segment_fixed_size: 0
    .sgpr_count:     23
    .sgpr_spill_count: 0
    .symbol:         _ZN9rocsparseL21csrmvn_general_kernelILj256ELj16EiifdddEEvbT2_NS_24const_host_device_scalarIT6_EEPKT1_S7_PKS1_PKT3_PKT4_S4_PT5_21rocsparse_index_base_b.kd
    .uniform_work_group_size: 1
    .uses_dynamic_stack: false
    .vgpr_count:     20
    .vgpr_spill_count: 0
    .wavefront_size: 32
  - .args:
      - .offset:         0
        .size:           1
        .value_kind:     by_value
      - .offset:         4
        .size:           4
        .value_kind:     by_value
      - .offset:         8
        .size:           8
        .value_kind:     by_value
      - .address_space:  global
        .offset:         16
        .size:           8
        .value_kind:     global_buffer
      - .address_space:  global
        .offset:         24
        .size:           8
        .value_kind:     global_buffer
      - .actual_access:  read_only
        .address_space:  global
        .offset:         32
        .size:           8
        .value_kind:     global_buffer
      - .actual_access:  read_only
        .address_space:  global
        .offset:         40
        .size:           8
        .value_kind:     global_buffer
      - .actual_access:  read_only
        .address_space:  global
        .offset:         48
        .size:           8
        .value_kind:     global_buffer
      - .offset:         56
        .size:           8
        .value_kind:     by_value
      - .address_space:  global
        .offset:         64
        .size:           8
        .value_kind:     global_buffer
      - .offset:         72
        .size:           4
        .value_kind:     by_value
      - .offset:         76
        .size:           1
        .value_kind:     by_value
      - .offset:         80
        .size:           4
        .value_kind:     hidden_block_count_x
      - .offset:         84
        .size:           4
        .value_kind:     hidden_block_count_y
      - .offset:         88
        .size:           4
        .value_kind:     hidden_block_count_z
      - .offset:         92
        .size:           2
        .value_kind:     hidden_group_size_x
      - .offset:         94
        .size:           2
        .value_kind:     hidden_group_size_y
      - .offset:         96
        .size:           2
        .value_kind:     hidden_group_size_z
      - .offset:         98
        .size:           2
        .value_kind:     hidden_remainder_x
      - .offset:         100
        .size:           2
        .value_kind:     hidden_remainder_y
      - .offset:         102
        .size:           2
        .value_kind:     hidden_remainder_z
      - .offset:         120
        .size:           8
        .value_kind:     hidden_global_offset_x
      - .offset:         128
        .size:           8
        .value_kind:     hidden_global_offset_y
      - .offset:         136
        .size:           8
        .value_kind:     hidden_global_offset_z
      - .offset:         144
        .size:           2
        .value_kind:     hidden_grid_dims
    .group_segment_fixed_size: 0
    .kernarg_segment_align: 8
    .kernarg_segment_size: 336
    .language:       OpenCL C
    .language_version:
      - 2
      - 0
    .max_flat_workgroup_size: 256
    .name:           _ZN9rocsparseL21csrmvn_general_kernelILj256ELj32EiifdddEEvbT2_NS_24const_host_device_scalarIT6_EEPKT1_S7_PKS1_PKT3_PKT4_S4_PT5_21rocsparse_index_base_b
    .private_segment_fixed_size: 0
    .sgpr_count:     23
    .sgpr_spill_count: 0
    .symbol:         _ZN9rocsparseL21csrmvn_general_kernelILj256ELj32EiifdddEEvbT2_NS_24const_host_device_scalarIT6_EEPKT1_S7_PKS1_PKT3_PKT4_S4_PT5_21rocsparse_index_base_b.kd
    .uniform_work_group_size: 1
    .uses_dynamic_stack: false
    .vgpr_count:     20
    .vgpr_spill_count: 0
    .wavefront_size: 32
  - .args:
      - .offset:         0
        .size:           1
        .value_kind:     by_value
      - .offset:         4
        .size:           4
        .value_kind:     by_value
      - .offset:         8
        .size:           8
        .value_kind:     by_value
      - .address_space:  global
        .offset:         16
        .size:           8
        .value_kind:     global_buffer
      - .address_space:  global
        .offset:         24
        .size:           8
        .value_kind:     global_buffer
      - .actual_access:  read_only
        .address_space:  global
        .offset:         32
        .size:           8
        .value_kind:     global_buffer
      - .actual_access:  read_only
        .address_space:  global
        .offset:         40
        .size:           8
        .value_kind:     global_buffer
      - .actual_access:  read_only
        .address_space:  global
        .offset:         48
        .size:           8
        .value_kind:     global_buffer
      - .offset:         56
        .size:           8
        .value_kind:     by_value
      - .address_space:  global
        .offset:         64
        .size:           8
        .value_kind:     global_buffer
      - .offset:         72
        .size:           4
        .value_kind:     by_value
      - .offset:         76
        .size:           1
        .value_kind:     by_value
      - .offset:         80
        .size:           4
        .value_kind:     hidden_block_count_x
      - .offset:         84
        .size:           4
        .value_kind:     hidden_block_count_y
      - .offset:         88
        .size:           4
        .value_kind:     hidden_block_count_z
      - .offset:         92
        .size:           2
        .value_kind:     hidden_group_size_x
      - .offset:         94
        .size:           2
        .value_kind:     hidden_group_size_y
      - .offset:         96
        .size:           2
        .value_kind:     hidden_group_size_z
      - .offset:         98
        .size:           2
        .value_kind:     hidden_remainder_x
      - .offset:         100
        .size:           2
        .value_kind:     hidden_remainder_y
      - .offset:         102
        .size:           2
        .value_kind:     hidden_remainder_z
      - .offset:         120
        .size:           8
        .value_kind:     hidden_global_offset_x
      - .offset:         128
        .size:           8
        .value_kind:     hidden_global_offset_y
      - .offset:         136
        .size:           8
        .value_kind:     hidden_global_offset_z
      - .offset:         144
        .size:           2
        .value_kind:     hidden_grid_dims
    .group_segment_fixed_size: 0
    .kernarg_segment_align: 8
    .kernarg_segment_size: 336
    .language:       OpenCL C
    .language_version:
      - 2
      - 0
    .max_flat_workgroup_size: 256
    .name:           _ZN9rocsparseL21csrmvn_general_kernelILj256ELj64EiifdddEEvbT2_NS_24const_host_device_scalarIT6_EEPKT1_S7_PKS1_PKT3_PKT4_S4_PT5_21rocsparse_index_base_b
    .private_segment_fixed_size: 0
    .sgpr_count:     23
    .sgpr_spill_count: 0
    .symbol:         _ZN9rocsparseL21csrmvn_general_kernelILj256ELj64EiifdddEEvbT2_NS_24const_host_device_scalarIT6_EEPKT1_S7_PKS1_PKT3_PKT4_S4_PT5_21rocsparse_index_base_b.kd
    .uniform_work_group_size: 1
    .uses_dynamic_stack: false
    .vgpr_count:     22
    .vgpr_spill_count: 0
    .wavefront_size: 32
  - .args:
      - .offset:         0
        .size:           1
        .value_kind:     by_value
      - .offset:         1
        .size:           1
        .value_kind:     by_value
      - .offset:         4
        .size:           4
        .value_kind:     by_value
      - .offset:         8
        .size:           8
        .value_kind:     by_value
      - .address_space:  global
        .offset:         16
        .size:           8
        .value_kind:     global_buffer
      - .address_space:  global
        .offset:         24
        .size:           8
        .value_kind:     global_buffer
      - .actual_access:  read_only
        .address_space:  global
        .offset:         32
        .size:           8
        .value_kind:     global_buffer
      - .actual_access:  read_only
        .address_space:  global
        .offset:         40
        .size:           8
        .value_kind:     global_buffer
      - .actual_access:  read_only
        .address_space:  global
        .offset:         48
        .size:           8
        .value_kind:     global_buffer
      - .address_space:  global
        .offset:         56
        .size:           8
        .value_kind:     global_buffer
      - .offset:         64
        .size:           4
        .value_kind:     by_value
      - .offset:         68
        .size:           1
        .value_kind:     by_value
      - .offset:         72
        .size:           4
        .value_kind:     hidden_block_count_x
      - .offset:         76
        .size:           4
        .value_kind:     hidden_block_count_y
      - .offset:         80
        .size:           4
        .value_kind:     hidden_block_count_z
      - .offset:         84
        .size:           2
        .value_kind:     hidden_group_size_x
      - .offset:         86
        .size:           2
        .value_kind:     hidden_group_size_y
      - .offset:         88
        .size:           2
        .value_kind:     hidden_group_size_z
      - .offset:         90
        .size:           2
        .value_kind:     hidden_remainder_x
      - .offset:         92
        .size:           2
        .value_kind:     hidden_remainder_y
      - .offset:         94
        .size:           2
        .value_kind:     hidden_remainder_z
      - .offset:         112
        .size:           8
        .value_kind:     hidden_global_offset_x
      - .offset:         120
        .size:           8
        .value_kind:     hidden_global_offset_y
      - .offset:         128
        .size:           8
        .value_kind:     hidden_global_offset_z
      - .offset:         136
        .size:           2
        .value_kind:     hidden_grid_dims
    .group_segment_fixed_size: 0
    .kernarg_segment_align: 8
    .kernarg_segment_size: 328
    .language:       OpenCL C
    .language_version:
      - 2
      - 0
    .max_flat_workgroup_size: 256
    .name:           _ZN9rocsparseL21csrmvt_general_kernelILj256ELj4EiifdddEEvbbT2_NS_24const_host_device_scalarIT6_EEPKT1_S7_PKS1_PKT3_PKT4_PT5_21rocsparse_index_base_b
    .private_segment_fixed_size: 0
    .sgpr_count:     22
    .sgpr_spill_count: 0
    .symbol:         _ZN9rocsparseL21csrmvt_general_kernelILj256ELj4EiifdddEEvbbT2_NS_24const_host_device_scalarIT6_EEPKT1_S7_PKS1_PKT3_PKT4_PT5_21rocsparse_index_base_b.kd
    .uniform_work_group_size: 1
    .uses_dynamic_stack: false
    .vgpr_count:     14
    .vgpr_spill_count: 0
    .wavefront_size: 32
  - .args:
      - .offset:         0
        .size:           1
        .value_kind:     by_value
      - .offset:         1
        .size:           1
        .value_kind:     by_value
      - .offset:         4
        .size:           4
        .value_kind:     by_value
      - .offset:         8
        .size:           8
        .value_kind:     by_value
      - .address_space:  global
        .offset:         16
        .size:           8
        .value_kind:     global_buffer
      - .address_space:  global
        .offset:         24
        .size:           8
        .value_kind:     global_buffer
      - .actual_access:  read_only
        .address_space:  global
        .offset:         32
        .size:           8
        .value_kind:     global_buffer
      - .actual_access:  read_only
        .address_space:  global
        .offset:         40
        .size:           8
        .value_kind:     global_buffer
      - .actual_access:  read_only
        .address_space:  global
        .offset:         48
        .size:           8
        .value_kind:     global_buffer
      - .address_space:  global
        .offset:         56
        .size:           8
        .value_kind:     global_buffer
      - .offset:         64
        .size:           4
        .value_kind:     by_value
      - .offset:         68
        .size:           1
        .value_kind:     by_value
      - .offset:         72
        .size:           4
        .value_kind:     hidden_block_count_x
      - .offset:         76
        .size:           4
        .value_kind:     hidden_block_count_y
      - .offset:         80
        .size:           4
        .value_kind:     hidden_block_count_z
      - .offset:         84
        .size:           2
        .value_kind:     hidden_group_size_x
      - .offset:         86
        .size:           2
        .value_kind:     hidden_group_size_y
      - .offset:         88
        .size:           2
        .value_kind:     hidden_group_size_z
      - .offset:         90
        .size:           2
        .value_kind:     hidden_remainder_x
      - .offset:         92
        .size:           2
        .value_kind:     hidden_remainder_y
      - .offset:         94
        .size:           2
        .value_kind:     hidden_remainder_z
      - .offset:         112
        .size:           8
        .value_kind:     hidden_global_offset_x
      - .offset:         120
        .size:           8
        .value_kind:     hidden_global_offset_y
      - .offset:         128
        .size:           8
        .value_kind:     hidden_global_offset_z
      - .offset:         136
        .size:           2
        .value_kind:     hidden_grid_dims
    .group_segment_fixed_size: 0
    .kernarg_segment_align: 8
    .kernarg_segment_size: 328
    .language:       OpenCL C
    .language_version:
      - 2
      - 0
    .max_flat_workgroup_size: 256
    .name:           _ZN9rocsparseL21csrmvt_general_kernelILj256ELj8EiifdddEEvbbT2_NS_24const_host_device_scalarIT6_EEPKT1_S7_PKS1_PKT3_PKT4_PT5_21rocsparse_index_base_b
    .private_segment_fixed_size: 0
    .sgpr_count:     22
    .sgpr_spill_count: 0
    .symbol:         _ZN9rocsparseL21csrmvt_general_kernelILj256ELj8EiifdddEEvbbT2_NS_24const_host_device_scalarIT6_EEPKT1_S7_PKS1_PKT3_PKT4_PT5_21rocsparse_index_base_b.kd
    .uniform_work_group_size: 1
    .uses_dynamic_stack: false
    .vgpr_count:     14
    .vgpr_spill_count: 0
    .wavefront_size: 32
  - .args:
      - .offset:         0
        .size:           1
        .value_kind:     by_value
      - .offset:         1
        .size:           1
        .value_kind:     by_value
      - .offset:         4
        .size:           4
        .value_kind:     by_value
      - .offset:         8
        .size:           8
        .value_kind:     by_value
      - .address_space:  global
        .offset:         16
        .size:           8
        .value_kind:     global_buffer
      - .address_space:  global
        .offset:         24
        .size:           8
        .value_kind:     global_buffer
      - .actual_access:  read_only
        .address_space:  global
        .offset:         32
        .size:           8
        .value_kind:     global_buffer
      - .actual_access:  read_only
        .address_space:  global
        .offset:         40
        .size:           8
        .value_kind:     global_buffer
      - .actual_access:  read_only
        .address_space:  global
        .offset:         48
        .size:           8
        .value_kind:     global_buffer
      - .address_space:  global
        .offset:         56
        .size:           8
        .value_kind:     global_buffer
      - .offset:         64
        .size:           4
        .value_kind:     by_value
      - .offset:         68
        .size:           1
        .value_kind:     by_value
      - .offset:         72
        .size:           4
        .value_kind:     hidden_block_count_x
      - .offset:         76
        .size:           4
        .value_kind:     hidden_block_count_y
      - .offset:         80
        .size:           4
        .value_kind:     hidden_block_count_z
      - .offset:         84
        .size:           2
        .value_kind:     hidden_group_size_x
      - .offset:         86
        .size:           2
        .value_kind:     hidden_group_size_y
      - .offset:         88
        .size:           2
        .value_kind:     hidden_group_size_z
      - .offset:         90
        .size:           2
        .value_kind:     hidden_remainder_x
      - .offset:         92
        .size:           2
        .value_kind:     hidden_remainder_y
      - .offset:         94
        .size:           2
        .value_kind:     hidden_remainder_z
      - .offset:         112
        .size:           8
        .value_kind:     hidden_global_offset_x
      - .offset:         120
        .size:           8
        .value_kind:     hidden_global_offset_y
      - .offset:         128
        .size:           8
        .value_kind:     hidden_global_offset_z
      - .offset:         136
        .size:           2
        .value_kind:     hidden_grid_dims
    .group_segment_fixed_size: 0
    .kernarg_segment_align: 8
    .kernarg_segment_size: 328
    .language:       OpenCL C
    .language_version:
      - 2
      - 0
    .max_flat_workgroup_size: 256
    .name:           _ZN9rocsparseL21csrmvt_general_kernelILj256ELj16EiifdddEEvbbT2_NS_24const_host_device_scalarIT6_EEPKT1_S7_PKS1_PKT3_PKT4_PT5_21rocsparse_index_base_b
    .private_segment_fixed_size: 0
    .sgpr_count:     22
    .sgpr_spill_count: 0
    .symbol:         _ZN9rocsparseL21csrmvt_general_kernelILj256ELj16EiifdddEEvbbT2_NS_24const_host_device_scalarIT6_EEPKT1_S7_PKS1_PKT3_PKT4_PT5_21rocsparse_index_base_b.kd
    .uniform_work_group_size: 1
    .uses_dynamic_stack: false
    .vgpr_count:     14
    .vgpr_spill_count: 0
    .wavefront_size: 32
  - .args:
      - .offset:         0
        .size:           1
        .value_kind:     by_value
      - .offset:         1
        .size:           1
        .value_kind:     by_value
      - .offset:         4
        .size:           4
        .value_kind:     by_value
      - .offset:         8
        .size:           8
        .value_kind:     by_value
      - .address_space:  global
        .offset:         16
        .size:           8
        .value_kind:     global_buffer
      - .address_space:  global
        .offset:         24
        .size:           8
        .value_kind:     global_buffer
      - .actual_access:  read_only
        .address_space:  global
        .offset:         32
        .size:           8
        .value_kind:     global_buffer
      - .actual_access:  read_only
        .address_space:  global
        .offset:         40
        .size:           8
        .value_kind:     global_buffer
      - .actual_access:  read_only
        .address_space:  global
        .offset:         48
        .size:           8
        .value_kind:     global_buffer
      - .address_space:  global
        .offset:         56
        .size:           8
        .value_kind:     global_buffer
      - .offset:         64
        .size:           4
        .value_kind:     by_value
      - .offset:         68
        .size:           1
        .value_kind:     by_value
      - .offset:         72
        .size:           4
        .value_kind:     hidden_block_count_x
      - .offset:         76
        .size:           4
        .value_kind:     hidden_block_count_y
      - .offset:         80
        .size:           4
        .value_kind:     hidden_block_count_z
      - .offset:         84
        .size:           2
        .value_kind:     hidden_group_size_x
      - .offset:         86
        .size:           2
        .value_kind:     hidden_group_size_y
      - .offset:         88
        .size:           2
        .value_kind:     hidden_group_size_z
      - .offset:         90
        .size:           2
        .value_kind:     hidden_remainder_x
      - .offset:         92
        .size:           2
        .value_kind:     hidden_remainder_y
      - .offset:         94
        .size:           2
        .value_kind:     hidden_remainder_z
      - .offset:         112
        .size:           8
        .value_kind:     hidden_global_offset_x
      - .offset:         120
        .size:           8
        .value_kind:     hidden_global_offset_y
      - .offset:         128
        .size:           8
        .value_kind:     hidden_global_offset_z
      - .offset:         136
        .size:           2
        .value_kind:     hidden_grid_dims
    .group_segment_fixed_size: 0
    .kernarg_segment_align: 8
    .kernarg_segment_size: 328
    .language:       OpenCL C
    .language_version:
      - 2
      - 0
    .max_flat_workgroup_size: 256
    .name:           _ZN9rocsparseL21csrmvt_general_kernelILj256ELj32EiifdddEEvbbT2_NS_24const_host_device_scalarIT6_EEPKT1_S7_PKS1_PKT3_PKT4_PT5_21rocsparse_index_base_b
    .private_segment_fixed_size: 0
    .sgpr_count:     22
    .sgpr_spill_count: 0
    .symbol:         _ZN9rocsparseL21csrmvt_general_kernelILj256ELj32EiifdddEEvbbT2_NS_24const_host_device_scalarIT6_EEPKT1_S7_PKS1_PKT3_PKT4_PT5_21rocsparse_index_base_b.kd
    .uniform_work_group_size: 1
    .uses_dynamic_stack: false
    .vgpr_count:     14
    .vgpr_spill_count: 0
    .wavefront_size: 32
  - .args:
      - .offset:         0
        .size:           1
        .value_kind:     by_value
      - .offset:         1
        .size:           1
        .value_kind:     by_value
      - .offset:         4
        .size:           4
        .value_kind:     by_value
      - .offset:         8
        .size:           8
        .value_kind:     by_value
      - .address_space:  global
        .offset:         16
        .size:           8
        .value_kind:     global_buffer
      - .address_space:  global
        .offset:         24
        .size:           8
        .value_kind:     global_buffer
      - .actual_access:  read_only
        .address_space:  global
        .offset:         32
        .size:           8
        .value_kind:     global_buffer
      - .actual_access:  read_only
        .address_space:  global
        .offset:         40
        .size:           8
        .value_kind:     global_buffer
      - .actual_access:  read_only
        .address_space:  global
        .offset:         48
        .size:           8
        .value_kind:     global_buffer
      - .address_space:  global
        .offset:         56
        .size:           8
        .value_kind:     global_buffer
      - .offset:         64
        .size:           4
        .value_kind:     by_value
      - .offset:         68
        .size:           1
        .value_kind:     by_value
      - .offset:         72
        .size:           4
        .value_kind:     hidden_block_count_x
      - .offset:         76
        .size:           4
        .value_kind:     hidden_block_count_y
      - .offset:         80
        .size:           4
        .value_kind:     hidden_block_count_z
      - .offset:         84
        .size:           2
        .value_kind:     hidden_group_size_x
      - .offset:         86
        .size:           2
        .value_kind:     hidden_group_size_y
      - .offset:         88
        .size:           2
        .value_kind:     hidden_group_size_z
      - .offset:         90
        .size:           2
        .value_kind:     hidden_remainder_x
      - .offset:         92
        .size:           2
        .value_kind:     hidden_remainder_y
      - .offset:         94
        .size:           2
        .value_kind:     hidden_remainder_z
      - .offset:         112
        .size:           8
        .value_kind:     hidden_global_offset_x
      - .offset:         120
        .size:           8
        .value_kind:     hidden_global_offset_y
      - .offset:         128
        .size:           8
        .value_kind:     hidden_global_offset_z
      - .offset:         136
        .size:           2
        .value_kind:     hidden_grid_dims
    .group_segment_fixed_size: 0
    .kernarg_segment_align: 8
    .kernarg_segment_size: 328
    .language:       OpenCL C
    .language_version:
      - 2
      - 0
    .max_flat_workgroup_size: 256
    .name:           _ZN9rocsparseL21csrmvt_general_kernelILj256ELj64EiifdddEEvbbT2_NS_24const_host_device_scalarIT6_EEPKT1_S7_PKS1_PKT3_PKT4_PT5_21rocsparse_index_base_b
    .private_segment_fixed_size: 0
    .sgpr_count:     22
    .sgpr_spill_count: 0
    .symbol:         _ZN9rocsparseL21csrmvt_general_kernelILj256ELj64EiifdddEEvbbT2_NS_24const_host_device_scalarIT6_EEPKT1_S7_PKS1_PKT3_PKT4_PT5_21rocsparse_index_base_b.kd
    .uniform_work_group_size: 1
    .uses_dynamic_stack: false
    .vgpr_count:     14
    .vgpr_spill_count: 0
    .wavefront_size: 32
  - .args:
      - .offset:         0
        .size:           1
        .value_kind:     by_value
      - .offset:         4
        .size:           4
        .value_kind:     by_value
      - .offset:         8
        .size:           8
        .value_kind:     by_value
      - .address_space:  global
        .offset:         16
        .size:           8
        .value_kind:     global_buffer
      - .address_space:  global
        .offset:         24
        .size:           8
        .value_kind:     global_buffer
      - .actual_access:  read_only
        .address_space:  global
        .offset:         32
        .size:           8
        .value_kind:     global_buffer
      - .actual_access:  read_only
        .address_space:  global
        .offset:         40
        .size:           8
        .value_kind:     global_buffer
      - .actual_access:  read_only
        .address_space:  global
        .offset:         48
        .size:           8
        .value_kind:     global_buffer
      - .offset:         56
        .size:           8
        .value_kind:     by_value
      - .address_space:  global
        .offset:         64
        .size:           8
        .value_kind:     global_buffer
      - .offset:         72
        .size:           4
        .value_kind:     by_value
      - .offset:         76
        .size:           1
        .value_kind:     by_value
      - .offset:         80
        .size:           4
        .value_kind:     hidden_block_count_x
      - .offset:         84
        .size:           4
        .value_kind:     hidden_block_count_y
      - .offset:         88
        .size:           4
        .value_kind:     hidden_block_count_z
      - .offset:         92
        .size:           2
        .value_kind:     hidden_group_size_x
      - .offset:         94
        .size:           2
        .value_kind:     hidden_group_size_y
      - .offset:         96
        .size:           2
        .value_kind:     hidden_group_size_z
      - .offset:         98
        .size:           2
        .value_kind:     hidden_remainder_x
      - .offset:         100
        .size:           2
        .value_kind:     hidden_remainder_y
      - .offset:         102
        .size:           2
        .value_kind:     hidden_remainder_z
      - .offset:         120
        .size:           8
        .value_kind:     hidden_global_offset_x
      - .offset:         128
        .size:           8
        .value_kind:     hidden_global_offset_y
      - .offset:         136
        .size:           8
        .value_kind:     hidden_global_offset_z
      - .offset:         144
        .size:           2
        .value_kind:     hidden_grid_dims
    .group_segment_fixed_size: 0
    .kernarg_segment_align: 8
    .kernarg_segment_size: 336
    .language:       OpenCL C
    .language_version:
      - 2
      - 0
    .max_flat_workgroup_size: 256
    .name:           _ZN9rocsparseL21csrmvn_general_kernelILj256ELj2ElifdddEEvbT2_NS_24const_host_device_scalarIT6_EEPKT1_S7_PKS1_PKT3_PKT4_S4_PT5_21rocsparse_index_base_b
    .private_segment_fixed_size: 0
    .sgpr_count:     23
    .sgpr_spill_count: 0
    .symbol:         _ZN9rocsparseL21csrmvn_general_kernelILj256ELj2ElifdddEEvbT2_NS_24const_host_device_scalarIT6_EEPKT1_S7_PKS1_PKT3_PKT4_S4_PT5_21rocsparse_index_base_b.kd
    .uniform_work_group_size: 1
    .uses_dynamic_stack: false
    .vgpr_count:     24
    .vgpr_spill_count: 0
    .wavefront_size: 32
  - .args:
      - .offset:         0
        .size:           1
        .value_kind:     by_value
      - .offset:         4
        .size:           4
        .value_kind:     by_value
      - .offset:         8
        .size:           8
        .value_kind:     by_value
      - .address_space:  global
        .offset:         16
        .size:           8
        .value_kind:     global_buffer
      - .address_space:  global
        .offset:         24
        .size:           8
        .value_kind:     global_buffer
      - .actual_access:  read_only
        .address_space:  global
        .offset:         32
        .size:           8
        .value_kind:     global_buffer
      - .actual_access:  read_only
        .address_space:  global
        .offset:         40
        .size:           8
        .value_kind:     global_buffer
      - .actual_access:  read_only
        .address_space:  global
        .offset:         48
        .size:           8
        .value_kind:     global_buffer
      - .offset:         56
        .size:           8
        .value_kind:     by_value
      - .address_space:  global
        .offset:         64
        .size:           8
        .value_kind:     global_buffer
      - .offset:         72
        .size:           4
        .value_kind:     by_value
      - .offset:         76
        .size:           1
        .value_kind:     by_value
      - .offset:         80
        .size:           4
        .value_kind:     hidden_block_count_x
      - .offset:         84
        .size:           4
        .value_kind:     hidden_block_count_y
      - .offset:         88
        .size:           4
        .value_kind:     hidden_block_count_z
      - .offset:         92
        .size:           2
        .value_kind:     hidden_group_size_x
      - .offset:         94
        .size:           2
        .value_kind:     hidden_group_size_y
      - .offset:         96
        .size:           2
        .value_kind:     hidden_group_size_z
      - .offset:         98
        .size:           2
        .value_kind:     hidden_remainder_x
      - .offset:         100
        .size:           2
        .value_kind:     hidden_remainder_y
      - .offset:         102
        .size:           2
        .value_kind:     hidden_remainder_z
      - .offset:         120
        .size:           8
        .value_kind:     hidden_global_offset_x
      - .offset:         128
        .size:           8
        .value_kind:     hidden_global_offset_y
      - .offset:         136
        .size:           8
        .value_kind:     hidden_global_offset_z
      - .offset:         144
        .size:           2
        .value_kind:     hidden_grid_dims
    .group_segment_fixed_size: 0
    .kernarg_segment_align: 8
    .kernarg_segment_size: 336
    .language:       OpenCL C
    .language_version:
      - 2
      - 0
    .max_flat_workgroup_size: 256
    .name:           _ZN9rocsparseL21csrmvn_general_kernelILj256ELj4ElifdddEEvbT2_NS_24const_host_device_scalarIT6_EEPKT1_S7_PKS1_PKT3_PKT4_S4_PT5_21rocsparse_index_base_b
    .private_segment_fixed_size: 0
    .sgpr_count:     23
    .sgpr_spill_count: 0
    .symbol:         _ZN9rocsparseL21csrmvn_general_kernelILj256ELj4ElifdddEEvbT2_NS_24const_host_device_scalarIT6_EEPKT1_S7_PKS1_PKT3_PKT4_S4_PT5_21rocsparse_index_base_b.kd
    .uniform_work_group_size: 1
    .uses_dynamic_stack: false
    .vgpr_count:     24
    .vgpr_spill_count: 0
    .wavefront_size: 32
  - .args:
      - .offset:         0
        .size:           1
        .value_kind:     by_value
      - .offset:         4
        .size:           4
        .value_kind:     by_value
      - .offset:         8
        .size:           8
        .value_kind:     by_value
      - .address_space:  global
        .offset:         16
        .size:           8
        .value_kind:     global_buffer
      - .address_space:  global
        .offset:         24
        .size:           8
        .value_kind:     global_buffer
      - .actual_access:  read_only
        .address_space:  global
        .offset:         32
        .size:           8
        .value_kind:     global_buffer
      - .actual_access:  read_only
        .address_space:  global
        .offset:         40
        .size:           8
        .value_kind:     global_buffer
      - .actual_access:  read_only
        .address_space:  global
        .offset:         48
        .size:           8
        .value_kind:     global_buffer
      - .offset:         56
        .size:           8
        .value_kind:     by_value
      - .address_space:  global
        .offset:         64
        .size:           8
        .value_kind:     global_buffer
      - .offset:         72
        .size:           4
        .value_kind:     by_value
      - .offset:         76
        .size:           1
        .value_kind:     by_value
      - .offset:         80
        .size:           4
        .value_kind:     hidden_block_count_x
      - .offset:         84
        .size:           4
        .value_kind:     hidden_block_count_y
      - .offset:         88
        .size:           4
        .value_kind:     hidden_block_count_z
      - .offset:         92
        .size:           2
        .value_kind:     hidden_group_size_x
      - .offset:         94
        .size:           2
        .value_kind:     hidden_group_size_y
      - .offset:         96
        .size:           2
        .value_kind:     hidden_group_size_z
      - .offset:         98
        .size:           2
        .value_kind:     hidden_remainder_x
      - .offset:         100
        .size:           2
        .value_kind:     hidden_remainder_y
      - .offset:         102
        .size:           2
        .value_kind:     hidden_remainder_z
      - .offset:         120
        .size:           8
        .value_kind:     hidden_global_offset_x
      - .offset:         128
        .size:           8
        .value_kind:     hidden_global_offset_y
      - .offset:         136
        .size:           8
        .value_kind:     hidden_global_offset_z
      - .offset:         144
        .size:           2
        .value_kind:     hidden_grid_dims
    .group_segment_fixed_size: 0
    .kernarg_segment_align: 8
    .kernarg_segment_size: 336
    .language:       OpenCL C
    .language_version:
      - 2
      - 0
    .max_flat_workgroup_size: 256
    .name:           _ZN9rocsparseL21csrmvn_general_kernelILj256ELj8ElifdddEEvbT2_NS_24const_host_device_scalarIT6_EEPKT1_S7_PKS1_PKT3_PKT4_S4_PT5_21rocsparse_index_base_b
    .private_segment_fixed_size: 0
    .sgpr_count:     23
    .sgpr_spill_count: 0
    .symbol:         _ZN9rocsparseL21csrmvn_general_kernelILj256ELj8ElifdddEEvbT2_NS_24const_host_device_scalarIT6_EEPKT1_S7_PKS1_PKT3_PKT4_S4_PT5_21rocsparse_index_base_b.kd
    .uniform_work_group_size: 1
    .uses_dynamic_stack: false
    .vgpr_count:     26
    .vgpr_spill_count: 0
    .wavefront_size: 32
  - .args:
      - .offset:         0
        .size:           1
        .value_kind:     by_value
      - .offset:         4
        .size:           4
        .value_kind:     by_value
      - .offset:         8
        .size:           8
        .value_kind:     by_value
      - .address_space:  global
        .offset:         16
        .size:           8
        .value_kind:     global_buffer
      - .address_space:  global
        .offset:         24
        .size:           8
        .value_kind:     global_buffer
      - .actual_access:  read_only
        .address_space:  global
        .offset:         32
        .size:           8
        .value_kind:     global_buffer
      - .actual_access:  read_only
        .address_space:  global
        .offset:         40
        .size:           8
        .value_kind:     global_buffer
      - .actual_access:  read_only
        .address_space:  global
        .offset:         48
        .size:           8
        .value_kind:     global_buffer
      - .offset:         56
        .size:           8
        .value_kind:     by_value
      - .address_space:  global
        .offset:         64
        .size:           8
        .value_kind:     global_buffer
      - .offset:         72
        .size:           4
        .value_kind:     by_value
      - .offset:         76
        .size:           1
        .value_kind:     by_value
      - .offset:         80
        .size:           4
        .value_kind:     hidden_block_count_x
      - .offset:         84
        .size:           4
        .value_kind:     hidden_block_count_y
      - .offset:         88
        .size:           4
        .value_kind:     hidden_block_count_z
      - .offset:         92
        .size:           2
        .value_kind:     hidden_group_size_x
      - .offset:         94
        .size:           2
        .value_kind:     hidden_group_size_y
      - .offset:         96
        .size:           2
        .value_kind:     hidden_group_size_z
      - .offset:         98
        .size:           2
        .value_kind:     hidden_remainder_x
      - .offset:         100
        .size:           2
        .value_kind:     hidden_remainder_y
      - .offset:         102
        .size:           2
        .value_kind:     hidden_remainder_z
      - .offset:         120
        .size:           8
        .value_kind:     hidden_global_offset_x
      - .offset:         128
        .size:           8
        .value_kind:     hidden_global_offset_y
      - .offset:         136
        .size:           8
        .value_kind:     hidden_global_offset_z
      - .offset:         144
        .size:           2
        .value_kind:     hidden_grid_dims
    .group_segment_fixed_size: 0
    .kernarg_segment_align: 8
    .kernarg_segment_size: 336
    .language:       OpenCL C
    .language_version:
      - 2
      - 0
    .max_flat_workgroup_size: 256
    .name:           _ZN9rocsparseL21csrmvn_general_kernelILj256ELj16ElifdddEEvbT2_NS_24const_host_device_scalarIT6_EEPKT1_S7_PKS1_PKT3_PKT4_S4_PT5_21rocsparse_index_base_b
    .private_segment_fixed_size: 0
    .sgpr_count:     23
    .sgpr_spill_count: 0
    .symbol:         _ZN9rocsparseL21csrmvn_general_kernelILj256ELj16ElifdddEEvbT2_NS_24const_host_device_scalarIT6_EEPKT1_S7_PKS1_PKT3_PKT4_S4_PT5_21rocsparse_index_base_b.kd
    .uniform_work_group_size: 1
    .uses_dynamic_stack: false
    .vgpr_count:     26
    .vgpr_spill_count: 0
    .wavefront_size: 32
  - .args:
      - .offset:         0
        .size:           1
        .value_kind:     by_value
      - .offset:         4
        .size:           4
        .value_kind:     by_value
      - .offset:         8
        .size:           8
        .value_kind:     by_value
      - .address_space:  global
        .offset:         16
        .size:           8
        .value_kind:     global_buffer
      - .address_space:  global
        .offset:         24
        .size:           8
        .value_kind:     global_buffer
      - .actual_access:  read_only
        .address_space:  global
        .offset:         32
        .size:           8
        .value_kind:     global_buffer
      - .actual_access:  read_only
        .address_space:  global
        .offset:         40
        .size:           8
        .value_kind:     global_buffer
      - .actual_access:  read_only
        .address_space:  global
        .offset:         48
        .size:           8
        .value_kind:     global_buffer
      - .offset:         56
        .size:           8
        .value_kind:     by_value
      - .address_space:  global
        .offset:         64
        .size:           8
        .value_kind:     global_buffer
      - .offset:         72
        .size:           4
        .value_kind:     by_value
      - .offset:         76
        .size:           1
        .value_kind:     by_value
      - .offset:         80
        .size:           4
        .value_kind:     hidden_block_count_x
      - .offset:         84
        .size:           4
        .value_kind:     hidden_block_count_y
      - .offset:         88
        .size:           4
        .value_kind:     hidden_block_count_z
      - .offset:         92
        .size:           2
        .value_kind:     hidden_group_size_x
      - .offset:         94
        .size:           2
        .value_kind:     hidden_group_size_y
      - .offset:         96
        .size:           2
        .value_kind:     hidden_group_size_z
      - .offset:         98
        .size:           2
        .value_kind:     hidden_remainder_x
      - .offset:         100
        .size:           2
        .value_kind:     hidden_remainder_y
      - .offset:         102
        .size:           2
        .value_kind:     hidden_remainder_z
      - .offset:         120
        .size:           8
        .value_kind:     hidden_global_offset_x
      - .offset:         128
        .size:           8
        .value_kind:     hidden_global_offset_y
      - .offset:         136
        .size:           8
        .value_kind:     hidden_global_offset_z
      - .offset:         144
        .size:           2
        .value_kind:     hidden_grid_dims
    .group_segment_fixed_size: 0
    .kernarg_segment_align: 8
    .kernarg_segment_size: 336
    .language:       OpenCL C
    .language_version:
      - 2
      - 0
    .max_flat_workgroup_size: 256
    .name:           _ZN9rocsparseL21csrmvn_general_kernelILj256ELj32ElifdddEEvbT2_NS_24const_host_device_scalarIT6_EEPKT1_S7_PKS1_PKT3_PKT4_S4_PT5_21rocsparse_index_base_b
    .private_segment_fixed_size: 0
    .sgpr_count:     23
    .sgpr_spill_count: 0
    .symbol:         _ZN9rocsparseL21csrmvn_general_kernelILj256ELj32ElifdddEEvbT2_NS_24const_host_device_scalarIT6_EEPKT1_S7_PKS1_PKT3_PKT4_S4_PT5_21rocsparse_index_base_b.kd
    .uniform_work_group_size: 1
    .uses_dynamic_stack: false
    .vgpr_count:     28
    .vgpr_spill_count: 0
    .wavefront_size: 32
  - .args:
      - .offset:         0
        .size:           1
        .value_kind:     by_value
      - .offset:         4
        .size:           4
        .value_kind:     by_value
      - .offset:         8
        .size:           8
        .value_kind:     by_value
      - .address_space:  global
        .offset:         16
        .size:           8
        .value_kind:     global_buffer
      - .address_space:  global
        .offset:         24
        .size:           8
        .value_kind:     global_buffer
      - .actual_access:  read_only
        .address_space:  global
        .offset:         32
        .size:           8
        .value_kind:     global_buffer
      - .actual_access:  read_only
        .address_space:  global
        .offset:         40
        .size:           8
        .value_kind:     global_buffer
      - .actual_access:  read_only
        .address_space:  global
        .offset:         48
        .size:           8
        .value_kind:     global_buffer
      - .offset:         56
        .size:           8
        .value_kind:     by_value
      - .address_space:  global
        .offset:         64
        .size:           8
        .value_kind:     global_buffer
      - .offset:         72
        .size:           4
        .value_kind:     by_value
      - .offset:         76
        .size:           1
        .value_kind:     by_value
      - .offset:         80
        .size:           4
        .value_kind:     hidden_block_count_x
      - .offset:         84
        .size:           4
        .value_kind:     hidden_block_count_y
      - .offset:         88
        .size:           4
        .value_kind:     hidden_block_count_z
      - .offset:         92
        .size:           2
        .value_kind:     hidden_group_size_x
      - .offset:         94
        .size:           2
        .value_kind:     hidden_group_size_y
      - .offset:         96
        .size:           2
        .value_kind:     hidden_group_size_z
      - .offset:         98
        .size:           2
        .value_kind:     hidden_remainder_x
      - .offset:         100
        .size:           2
        .value_kind:     hidden_remainder_y
      - .offset:         102
        .size:           2
        .value_kind:     hidden_remainder_z
      - .offset:         120
        .size:           8
        .value_kind:     hidden_global_offset_x
      - .offset:         128
        .size:           8
        .value_kind:     hidden_global_offset_y
      - .offset:         136
        .size:           8
        .value_kind:     hidden_global_offset_z
      - .offset:         144
        .size:           2
        .value_kind:     hidden_grid_dims
    .group_segment_fixed_size: 0
    .kernarg_segment_align: 8
    .kernarg_segment_size: 336
    .language:       OpenCL C
    .language_version:
      - 2
      - 0
    .max_flat_workgroup_size: 256
    .name:           _ZN9rocsparseL21csrmvn_general_kernelILj256ELj64ElifdddEEvbT2_NS_24const_host_device_scalarIT6_EEPKT1_S7_PKS1_PKT3_PKT4_S4_PT5_21rocsparse_index_base_b
    .private_segment_fixed_size: 0
    .sgpr_count:     23
    .sgpr_spill_count: 0
    .symbol:         _ZN9rocsparseL21csrmvn_general_kernelILj256ELj64ElifdddEEvbT2_NS_24const_host_device_scalarIT6_EEPKT1_S7_PKS1_PKT3_PKT4_S4_PT5_21rocsparse_index_base_b.kd
    .uniform_work_group_size: 1
    .uses_dynamic_stack: false
    .vgpr_count:     28
    .vgpr_spill_count: 0
    .wavefront_size: 32
  - .args:
      - .offset:         0
        .size:           1
        .value_kind:     by_value
      - .offset:         1
        .size:           1
        .value_kind:     by_value
      - .offset:         4
        .size:           4
        .value_kind:     by_value
      - .offset:         8
        .size:           8
        .value_kind:     by_value
      - .address_space:  global
        .offset:         16
        .size:           8
        .value_kind:     global_buffer
      - .address_space:  global
        .offset:         24
        .size:           8
        .value_kind:     global_buffer
      - .actual_access:  read_only
        .address_space:  global
        .offset:         32
        .size:           8
        .value_kind:     global_buffer
      - .actual_access:  read_only
        .address_space:  global
        .offset:         40
        .size:           8
        .value_kind:     global_buffer
      - .actual_access:  read_only
        .address_space:  global
        .offset:         48
        .size:           8
        .value_kind:     global_buffer
      - .address_space:  global
        .offset:         56
        .size:           8
        .value_kind:     global_buffer
      - .offset:         64
        .size:           4
        .value_kind:     by_value
      - .offset:         68
        .size:           1
        .value_kind:     by_value
      - .offset:         72
        .size:           4
        .value_kind:     hidden_block_count_x
      - .offset:         76
        .size:           4
        .value_kind:     hidden_block_count_y
      - .offset:         80
        .size:           4
        .value_kind:     hidden_block_count_z
      - .offset:         84
        .size:           2
        .value_kind:     hidden_group_size_x
      - .offset:         86
        .size:           2
        .value_kind:     hidden_group_size_y
      - .offset:         88
        .size:           2
        .value_kind:     hidden_group_size_z
      - .offset:         90
        .size:           2
        .value_kind:     hidden_remainder_x
      - .offset:         92
        .size:           2
        .value_kind:     hidden_remainder_y
      - .offset:         94
        .size:           2
        .value_kind:     hidden_remainder_z
      - .offset:         112
        .size:           8
        .value_kind:     hidden_global_offset_x
      - .offset:         120
        .size:           8
        .value_kind:     hidden_global_offset_y
      - .offset:         128
        .size:           8
        .value_kind:     hidden_global_offset_z
      - .offset:         136
        .size:           2
        .value_kind:     hidden_grid_dims
    .group_segment_fixed_size: 0
    .kernarg_segment_align: 8
    .kernarg_segment_size: 328
    .language:       OpenCL C
    .language_version:
      - 2
      - 0
    .max_flat_workgroup_size: 256
    .name:           _ZN9rocsparseL21csrmvt_general_kernelILj256ELj4ElifdddEEvbbT2_NS_24const_host_device_scalarIT6_EEPKT1_S7_PKS1_PKT3_PKT4_PT5_21rocsparse_index_base_b
    .private_segment_fixed_size: 0
    .sgpr_count:     23
    .sgpr_spill_count: 0
    .symbol:         _ZN9rocsparseL21csrmvt_general_kernelILj256ELj4ElifdddEEvbbT2_NS_24const_host_device_scalarIT6_EEPKT1_S7_PKS1_PKT3_PKT4_PT5_21rocsparse_index_base_b.kd
    .uniform_work_group_size: 1
    .uses_dynamic_stack: false
    .vgpr_count:     22
    .vgpr_spill_count: 0
    .wavefront_size: 32
  - .args:
      - .offset:         0
        .size:           1
        .value_kind:     by_value
      - .offset:         1
        .size:           1
        .value_kind:     by_value
      - .offset:         4
        .size:           4
        .value_kind:     by_value
      - .offset:         8
        .size:           8
        .value_kind:     by_value
      - .address_space:  global
        .offset:         16
        .size:           8
        .value_kind:     global_buffer
      - .address_space:  global
        .offset:         24
        .size:           8
        .value_kind:     global_buffer
      - .actual_access:  read_only
        .address_space:  global
        .offset:         32
        .size:           8
        .value_kind:     global_buffer
      - .actual_access:  read_only
        .address_space:  global
        .offset:         40
        .size:           8
        .value_kind:     global_buffer
      - .actual_access:  read_only
        .address_space:  global
        .offset:         48
        .size:           8
        .value_kind:     global_buffer
      - .address_space:  global
        .offset:         56
        .size:           8
        .value_kind:     global_buffer
      - .offset:         64
        .size:           4
        .value_kind:     by_value
      - .offset:         68
        .size:           1
        .value_kind:     by_value
      - .offset:         72
        .size:           4
        .value_kind:     hidden_block_count_x
      - .offset:         76
        .size:           4
        .value_kind:     hidden_block_count_y
      - .offset:         80
        .size:           4
        .value_kind:     hidden_block_count_z
      - .offset:         84
        .size:           2
        .value_kind:     hidden_group_size_x
      - .offset:         86
        .size:           2
        .value_kind:     hidden_group_size_y
      - .offset:         88
        .size:           2
        .value_kind:     hidden_group_size_z
      - .offset:         90
        .size:           2
        .value_kind:     hidden_remainder_x
      - .offset:         92
        .size:           2
        .value_kind:     hidden_remainder_y
      - .offset:         94
        .size:           2
        .value_kind:     hidden_remainder_z
      - .offset:         112
        .size:           8
        .value_kind:     hidden_global_offset_x
      - .offset:         120
        .size:           8
        .value_kind:     hidden_global_offset_y
      - .offset:         128
        .size:           8
        .value_kind:     hidden_global_offset_z
      - .offset:         136
        .size:           2
        .value_kind:     hidden_grid_dims
    .group_segment_fixed_size: 0
    .kernarg_segment_align: 8
    .kernarg_segment_size: 328
    .language:       OpenCL C
    .language_version:
      - 2
      - 0
    .max_flat_workgroup_size: 256
    .name:           _ZN9rocsparseL21csrmvt_general_kernelILj256ELj8ElifdddEEvbbT2_NS_24const_host_device_scalarIT6_EEPKT1_S7_PKS1_PKT3_PKT4_PT5_21rocsparse_index_base_b
    .private_segment_fixed_size: 0
    .sgpr_count:     23
    .sgpr_spill_count: 0
    .symbol:         _ZN9rocsparseL21csrmvt_general_kernelILj256ELj8ElifdddEEvbbT2_NS_24const_host_device_scalarIT6_EEPKT1_S7_PKS1_PKT3_PKT4_PT5_21rocsparse_index_base_b.kd
    .uniform_work_group_size: 1
    .uses_dynamic_stack: false
    .vgpr_count:     22
    .vgpr_spill_count: 0
    .wavefront_size: 32
  - .args:
      - .offset:         0
        .size:           1
        .value_kind:     by_value
      - .offset:         1
        .size:           1
        .value_kind:     by_value
      - .offset:         4
        .size:           4
        .value_kind:     by_value
      - .offset:         8
        .size:           8
        .value_kind:     by_value
      - .address_space:  global
        .offset:         16
        .size:           8
        .value_kind:     global_buffer
      - .address_space:  global
        .offset:         24
        .size:           8
        .value_kind:     global_buffer
      - .actual_access:  read_only
        .address_space:  global
        .offset:         32
        .size:           8
        .value_kind:     global_buffer
      - .actual_access:  read_only
        .address_space:  global
        .offset:         40
        .size:           8
        .value_kind:     global_buffer
      - .actual_access:  read_only
        .address_space:  global
        .offset:         48
        .size:           8
        .value_kind:     global_buffer
      - .address_space:  global
        .offset:         56
        .size:           8
        .value_kind:     global_buffer
      - .offset:         64
        .size:           4
        .value_kind:     by_value
      - .offset:         68
        .size:           1
        .value_kind:     by_value
      - .offset:         72
        .size:           4
        .value_kind:     hidden_block_count_x
      - .offset:         76
        .size:           4
        .value_kind:     hidden_block_count_y
      - .offset:         80
        .size:           4
        .value_kind:     hidden_block_count_z
      - .offset:         84
        .size:           2
        .value_kind:     hidden_group_size_x
      - .offset:         86
        .size:           2
        .value_kind:     hidden_group_size_y
      - .offset:         88
        .size:           2
        .value_kind:     hidden_group_size_z
      - .offset:         90
        .size:           2
        .value_kind:     hidden_remainder_x
      - .offset:         92
        .size:           2
        .value_kind:     hidden_remainder_y
      - .offset:         94
        .size:           2
        .value_kind:     hidden_remainder_z
      - .offset:         112
        .size:           8
        .value_kind:     hidden_global_offset_x
      - .offset:         120
        .size:           8
        .value_kind:     hidden_global_offset_y
      - .offset:         128
        .size:           8
        .value_kind:     hidden_global_offset_z
      - .offset:         136
        .size:           2
        .value_kind:     hidden_grid_dims
    .group_segment_fixed_size: 0
    .kernarg_segment_align: 8
    .kernarg_segment_size: 328
    .language:       OpenCL C
    .language_version:
      - 2
      - 0
    .max_flat_workgroup_size: 256
    .name:           _ZN9rocsparseL21csrmvt_general_kernelILj256ELj16ElifdddEEvbbT2_NS_24const_host_device_scalarIT6_EEPKT1_S7_PKS1_PKT3_PKT4_PT5_21rocsparse_index_base_b
    .private_segment_fixed_size: 0
    .sgpr_count:     23
    .sgpr_spill_count: 0
    .symbol:         _ZN9rocsparseL21csrmvt_general_kernelILj256ELj16ElifdddEEvbbT2_NS_24const_host_device_scalarIT6_EEPKT1_S7_PKS1_PKT3_PKT4_PT5_21rocsparse_index_base_b.kd
    .uniform_work_group_size: 1
    .uses_dynamic_stack: false
    .vgpr_count:     22
    .vgpr_spill_count: 0
    .wavefront_size: 32
  - .args:
      - .offset:         0
        .size:           1
        .value_kind:     by_value
      - .offset:         1
        .size:           1
        .value_kind:     by_value
      - .offset:         4
        .size:           4
        .value_kind:     by_value
      - .offset:         8
        .size:           8
        .value_kind:     by_value
      - .address_space:  global
        .offset:         16
        .size:           8
        .value_kind:     global_buffer
      - .address_space:  global
        .offset:         24
        .size:           8
        .value_kind:     global_buffer
      - .actual_access:  read_only
        .address_space:  global
        .offset:         32
        .size:           8
        .value_kind:     global_buffer
      - .actual_access:  read_only
        .address_space:  global
        .offset:         40
        .size:           8
        .value_kind:     global_buffer
      - .actual_access:  read_only
        .address_space:  global
        .offset:         48
        .size:           8
        .value_kind:     global_buffer
      - .address_space:  global
        .offset:         56
        .size:           8
        .value_kind:     global_buffer
      - .offset:         64
        .size:           4
        .value_kind:     by_value
      - .offset:         68
        .size:           1
        .value_kind:     by_value
      - .offset:         72
        .size:           4
        .value_kind:     hidden_block_count_x
      - .offset:         76
        .size:           4
        .value_kind:     hidden_block_count_y
      - .offset:         80
        .size:           4
        .value_kind:     hidden_block_count_z
      - .offset:         84
        .size:           2
        .value_kind:     hidden_group_size_x
      - .offset:         86
        .size:           2
        .value_kind:     hidden_group_size_y
      - .offset:         88
        .size:           2
        .value_kind:     hidden_group_size_z
      - .offset:         90
        .size:           2
        .value_kind:     hidden_remainder_x
      - .offset:         92
        .size:           2
        .value_kind:     hidden_remainder_y
      - .offset:         94
        .size:           2
        .value_kind:     hidden_remainder_z
      - .offset:         112
        .size:           8
        .value_kind:     hidden_global_offset_x
      - .offset:         120
        .size:           8
        .value_kind:     hidden_global_offset_y
      - .offset:         128
        .size:           8
        .value_kind:     hidden_global_offset_z
      - .offset:         136
        .size:           2
        .value_kind:     hidden_grid_dims
    .group_segment_fixed_size: 0
    .kernarg_segment_align: 8
    .kernarg_segment_size: 328
    .language:       OpenCL C
    .language_version:
      - 2
      - 0
    .max_flat_workgroup_size: 256
    .name:           _ZN9rocsparseL21csrmvt_general_kernelILj256ELj32ElifdddEEvbbT2_NS_24const_host_device_scalarIT6_EEPKT1_S7_PKS1_PKT3_PKT4_PT5_21rocsparse_index_base_b
    .private_segment_fixed_size: 0
    .sgpr_count:     23
    .sgpr_spill_count: 0
    .symbol:         _ZN9rocsparseL21csrmvt_general_kernelILj256ELj32ElifdddEEvbbT2_NS_24const_host_device_scalarIT6_EEPKT1_S7_PKS1_PKT3_PKT4_PT5_21rocsparse_index_base_b.kd
    .uniform_work_group_size: 1
    .uses_dynamic_stack: false
    .vgpr_count:     22
    .vgpr_spill_count: 0
    .wavefront_size: 32
  - .args:
      - .offset:         0
        .size:           1
        .value_kind:     by_value
      - .offset:         1
        .size:           1
        .value_kind:     by_value
      - .offset:         4
        .size:           4
        .value_kind:     by_value
      - .offset:         8
        .size:           8
        .value_kind:     by_value
      - .address_space:  global
        .offset:         16
        .size:           8
        .value_kind:     global_buffer
      - .address_space:  global
        .offset:         24
        .size:           8
        .value_kind:     global_buffer
      - .actual_access:  read_only
        .address_space:  global
        .offset:         32
        .size:           8
        .value_kind:     global_buffer
      - .actual_access:  read_only
        .address_space:  global
        .offset:         40
        .size:           8
        .value_kind:     global_buffer
      - .actual_access:  read_only
        .address_space:  global
        .offset:         48
        .size:           8
        .value_kind:     global_buffer
      - .address_space:  global
        .offset:         56
        .size:           8
        .value_kind:     global_buffer
      - .offset:         64
        .size:           4
        .value_kind:     by_value
      - .offset:         68
        .size:           1
        .value_kind:     by_value
      - .offset:         72
        .size:           4
        .value_kind:     hidden_block_count_x
      - .offset:         76
        .size:           4
        .value_kind:     hidden_block_count_y
      - .offset:         80
        .size:           4
        .value_kind:     hidden_block_count_z
      - .offset:         84
        .size:           2
        .value_kind:     hidden_group_size_x
      - .offset:         86
        .size:           2
        .value_kind:     hidden_group_size_y
      - .offset:         88
        .size:           2
        .value_kind:     hidden_group_size_z
      - .offset:         90
        .size:           2
        .value_kind:     hidden_remainder_x
      - .offset:         92
        .size:           2
        .value_kind:     hidden_remainder_y
      - .offset:         94
        .size:           2
        .value_kind:     hidden_remainder_z
      - .offset:         112
        .size:           8
        .value_kind:     hidden_global_offset_x
      - .offset:         120
        .size:           8
        .value_kind:     hidden_global_offset_y
      - .offset:         128
        .size:           8
        .value_kind:     hidden_global_offset_z
      - .offset:         136
        .size:           2
        .value_kind:     hidden_grid_dims
    .group_segment_fixed_size: 0
    .kernarg_segment_align: 8
    .kernarg_segment_size: 328
    .language:       OpenCL C
    .language_version:
      - 2
      - 0
    .max_flat_workgroup_size: 256
    .name:           _ZN9rocsparseL21csrmvt_general_kernelILj256ELj64ElifdddEEvbbT2_NS_24const_host_device_scalarIT6_EEPKT1_S7_PKS1_PKT3_PKT4_PT5_21rocsparse_index_base_b
    .private_segment_fixed_size: 0
    .sgpr_count:     23
    .sgpr_spill_count: 0
    .symbol:         _ZN9rocsparseL21csrmvt_general_kernelILj256ELj64ElifdddEEvbbT2_NS_24const_host_device_scalarIT6_EEPKT1_S7_PKS1_PKT3_PKT4_PT5_21rocsparse_index_base_b.kd
    .uniform_work_group_size: 1
    .uses_dynamic_stack: false
    .vgpr_count:     22
    .vgpr_spill_count: 0
    .wavefront_size: 32
  - .args:
      - .offset:         0
        .size:           1
        .value_kind:     by_value
      - .offset:         8
        .size:           8
        .value_kind:     by_value
      - .offset:         16
        .size:           8
        .value_kind:     by_value
      - .address_space:  global
        .offset:         24
        .size:           8
        .value_kind:     global_buffer
      - .address_space:  global
        .offset:         32
        .size:           8
        .value_kind:     global_buffer
      - .actual_access:  read_only
        .address_space:  global
        .offset:         40
        .size:           8
        .value_kind:     global_buffer
      - .actual_access:  read_only
        .address_space:  global
        .offset:         48
        .size:           8
        .value_kind:     global_buffer
      - .actual_access:  read_only
        .address_space:  global
        .offset:         56
        .size:           8
        .value_kind:     global_buffer
      - .offset:         64
        .size:           8
        .value_kind:     by_value
      - .address_space:  global
        .offset:         72
        .size:           8
        .value_kind:     global_buffer
      - .offset:         80
        .size:           4
        .value_kind:     by_value
      - .offset:         84
        .size:           1
        .value_kind:     by_value
      - .offset:         88
        .size:           4
        .value_kind:     hidden_block_count_x
      - .offset:         92
        .size:           4
        .value_kind:     hidden_block_count_y
      - .offset:         96
        .size:           4
        .value_kind:     hidden_block_count_z
      - .offset:         100
        .size:           2
        .value_kind:     hidden_group_size_x
      - .offset:         102
        .size:           2
        .value_kind:     hidden_group_size_y
      - .offset:         104
        .size:           2
        .value_kind:     hidden_group_size_z
      - .offset:         106
        .size:           2
        .value_kind:     hidden_remainder_x
      - .offset:         108
        .size:           2
        .value_kind:     hidden_remainder_y
      - .offset:         110
        .size:           2
        .value_kind:     hidden_remainder_z
      - .offset:         128
        .size:           8
        .value_kind:     hidden_global_offset_x
      - .offset:         136
        .size:           8
        .value_kind:     hidden_global_offset_y
      - .offset:         144
        .size:           8
        .value_kind:     hidden_global_offset_z
      - .offset:         152
        .size:           2
        .value_kind:     hidden_grid_dims
    .group_segment_fixed_size: 0
    .kernarg_segment_align: 8
    .kernarg_segment_size: 344
    .language:       OpenCL C
    .language_version:
      - 2
      - 0
    .max_flat_workgroup_size: 256
    .name:           _ZN9rocsparseL21csrmvn_general_kernelILj256ELj2EllfdddEEvbT2_NS_24const_host_device_scalarIT6_EEPKT1_S7_PKS1_PKT3_PKT4_S4_PT5_21rocsparse_index_base_b
    .private_segment_fixed_size: 0
    .sgpr_count:     25
    .sgpr_spill_count: 0
    .symbol:         _ZN9rocsparseL21csrmvn_general_kernelILj256ELj2EllfdddEEvbT2_NS_24const_host_device_scalarIT6_EEPKT1_S7_PKS1_PKT3_PKT4_S4_PT5_21rocsparse_index_base_b.kd
    .uniform_work_group_size: 1
    .uses_dynamic_stack: false
    .vgpr_count:     24
    .vgpr_spill_count: 0
    .wavefront_size: 32
  - .args:
      - .offset:         0
        .size:           1
        .value_kind:     by_value
      - .offset:         8
        .size:           8
        .value_kind:     by_value
      - .offset:         16
        .size:           8
        .value_kind:     by_value
      - .address_space:  global
        .offset:         24
        .size:           8
        .value_kind:     global_buffer
      - .address_space:  global
        .offset:         32
        .size:           8
        .value_kind:     global_buffer
      - .actual_access:  read_only
        .address_space:  global
        .offset:         40
        .size:           8
        .value_kind:     global_buffer
      - .actual_access:  read_only
        .address_space:  global
        .offset:         48
        .size:           8
        .value_kind:     global_buffer
      - .actual_access:  read_only
        .address_space:  global
        .offset:         56
        .size:           8
        .value_kind:     global_buffer
      - .offset:         64
        .size:           8
        .value_kind:     by_value
      - .address_space:  global
        .offset:         72
        .size:           8
        .value_kind:     global_buffer
      - .offset:         80
        .size:           4
        .value_kind:     by_value
      - .offset:         84
        .size:           1
        .value_kind:     by_value
      - .offset:         88
        .size:           4
        .value_kind:     hidden_block_count_x
      - .offset:         92
        .size:           4
        .value_kind:     hidden_block_count_y
      - .offset:         96
        .size:           4
        .value_kind:     hidden_block_count_z
      - .offset:         100
        .size:           2
        .value_kind:     hidden_group_size_x
      - .offset:         102
        .size:           2
        .value_kind:     hidden_group_size_y
      - .offset:         104
        .size:           2
        .value_kind:     hidden_group_size_z
      - .offset:         106
        .size:           2
        .value_kind:     hidden_remainder_x
      - .offset:         108
        .size:           2
        .value_kind:     hidden_remainder_y
      - .offset:         110
        .size:           2
        .value_kind:     hidden_remainder_z
      - .offset:         128
        .size:           8
        .value_kind:     hidden_global_offset_x
      - .offset:         136
        .size:           8
        .value_kind:     hidden_global_offset_y
      - .offset:         144
        .size:           8
        .value_kind:     hidden_global_offset_z
      - .offset:         152
        .size:           2
        .value_kind:     hidden_grid_dims
    .group_segment_fixed_size: 0
    .kernarg_segment_align: 8
    .kernarg_segment_size: 344
    .language:       OpenCL C
    .language_version:
      - 2
      - 0
    .max_flat_workgroup_size: 256
    .name:           _ZN9rocsparseL21csrmvn_general_kernelILj256ELj4EllfdddEEvbT2_NS_24const_host_device_scalarIT6_EEPKT1_S7_PKS1_PKT3_PKT4_S4_PT5_21rocsparse_index_base_b
    .private_segment_fixed_size: 0
    .sgpr_count:     25
    .sgpr_spill_count: 0
    .symbol:         _ZN9rocsparseL21csrmvn_general_kernelILj256ELj4EllfdddEEvbT2_NS_24const_host_device_scalarIT6_EEPKT1_S7_PKS1_PKT3_PKT4_S4_PT5_21rocsparse_index_base_b.kd
    .uniform_work_group_size: 1
    .uses_dynamic_stack: false
    .vgpr_count:     24
    .vgpr_spill_count: 0
    .wavefront_size: 32
  - .args:
      - .offset:         0
        .size:           1
        .value_kind:     by_value
      - .offset:         8
        .size:           8
        .value_kind:     by_value
      - .offset:         16
        .size:           8
        .value_kind:     by_value
      - .address_space:  global
        .offset:         24
        .size:           8
        .value_kind:     global_buffer
      - .address_space:  global
        .offset:         32
        .size:           8
        .value_kind:     global_buffer
      - .actual_access:  read_only
        .address_space:  global
        .offset:         40
        .size:           8
        .value_kind:     global_buffer
      - .actual_access:  read_only
        .address_space:  global
        .offset:         48
        .size:           8
        .value_kind:     global_buffer
      - .actual_access:  read_only
        .address_space:  global
        .offset:         56
        .size:           8
        .value_kind:     global_buffer
      - .offset:         64
        .size:           8
        .value_kind:     by_value
      - .address_space:  global
        .offset:         72
        .size:           8
        .value_kind:     global_buffer
      - .offset:         80
        .size:           4
        .value_kind:     by_value
      - .offset:         84
        .size:           1
        .value_kind:     by_value
      - .offset:         88
        .size:           4
        .value_kind:     hidden_block_count_x
      - .offset:         92
        .size:           4
        .value_kind:     hidden_block_count_y
      - .offset:         96
        .size:           4
        .value_kind:     hidden_block_count_z
      - .offset:         100
        .size:           2
        .value_kind:     hidden_group_size_x
      - .offset:         102
        .size:           2
        .value_kind:     hidden_group_size_y
      - .offset:         104
        .size:           2
        .value_kind:     hidden_group_size_z
      - .offset:         106
        .size:           2
        .value_kind:     hidden_remainder_x
      - .offset:         108
        .size:           2
        .value_kind:     hidden_remainder_y
      - .offset:         110
        .size:           2
        .value_kind:     hidden_remainder_z
      - .offset:         128
        .size:           8
        .value_kind:     hidden_global_offset_x
      - .offset:         136
        .size:           8
        .value_kind:     hidden_global_offset_y
      - .offset:         144
        .size:           8
        .value_kind:     hidden_global_offset_z
      - .offset:         152
        .size:           2
        .value_kind:     hidden_grid_dims
    .group_segment_fixed_size: 0
    .kernarg_segment_align: 8
    .kernarg_segment_size: 344
    .language:       OpenCL C
    .language_version:
      - 2
      - 0
    .max_flat_workgroup_size: 256
    .name:           _ZN9rocsparseL21csrmvn_general_kernelILj256ELj8EllfdddEEvbT2_NS_24const_host_device_scalarIT6_EEPKT1_S7_PKS1_PKT3_PKT4_S4_PT5_21rocsparse_index_base_b
    .private_segment_fixed_size: 0
    .sgpr_count:     25
    .sgpr_spill_count: 0
    .symbol:         _ZN9rocsparseL21csrmvn_general_kernelILj256ELj8EllfdddEEvbT2_NS_24const_host_device_scalarIT6_EEPKT1_S7_PKS1_PKT3_PKT4_S4_PT5_21rocsparse_index_base_b.kd
    .uniform_work_group_size: 1
    .uses_dynamic_stack: false
    .vgpr_count:     26
    .vgpr_spill_count: 0
    .wavefront_size: 32
  - .args:
      - .offset:         0
        .size:           1
        .value_kind:     by_value
      - .offset:         8
        .size:           8
        .value_kind:     by_value
      - .offset:         16
        .size:           8
        .value_kind:     by_value
      - .address_space:  global
        .offset:         24
        .size:           8
        .value_kind:     global_buffer
      - .address_space:  global
        .offset:         32
        .size:           8
        .value_kind:     global_buffer
      - .actual_access:  read_only
        .address_space:  global
        .offset:         40
        .size:           8
        .value_kind:     global_buffer
      - .actual_access:  read_only
        .address_space:  global
        .offset:         48
        .size:           8
        .value_kind:     global_buffer
      - .actual_access:  read_only
        .address_space:  global
        .offset:         56
        .size:           8
        .value_kind:     global_buffer
      - .offset:         64
        .size:           8
        .value_kind:     by_value
      - .address_space:  global
        .offset:         72
        .size:           8
        .value_kind:     global_buffer
      - .offset:         80
        .size:           4
        .value_kind:     by_value
      - .offset:         84
        .size:           1
        .value_kind:     by_value
      - .offset:         88
        .size:           4
        .value_kind:     hidden_block_count_x
      - .offset:         92
        .size:           4
        .value_kind:     hidden_block_count_y
      - .offset:         96
        .size:           4
        .value_kind:     hidden_block_count_z
      - .offset:         100
        .size:           2
        .value_kind:     hidden_group_size_x
      - .offset:         102
        .size:           2
        .value_kind:     hidden_group_size_y
      - .offset:         104
        .size:           2
        .value_kind:     hidden_group_size_z
      - .offset:         106
        .size:           2
        .value_kind:     hidden_remainder_x
      - .offset:         108
        .size:           2
        .value_kind:     hidden_remainder_y
      - .offset:         110
        .size:           2
        .value_kind:     hidden_remainder_z
      - .offset:         128
        .size:           8
        .value_kind:     hidden_global_offset_x
      - .offset:         136
        .size:           8
        .value_kind:     hidden_global_offset_y
      - .offset:         144
        .size:           8
        .value_kind:     hidden_global_offset_z
      - .offset:         152
        .size:           2
        .value_kind:     hidden_grid_dims
    .group_segment_fixed_size: 0
    .kernarg_segment_align: 8
    .kernarg_segment_size: 344
    .language:       OpenCL C
    .language_version:
      - 2
      - 0
    .max_flat_workgroup_size: 256
    .name:           _ZN9rocsparseL21csrmvn_general_kernelILj256ELj16EllfdddEEvbT2_NS_24const_host_device_scalarIT6_EEPKT1_S7_PKS1_PKT3_PKT4_S4_PT5_21rocsparse_index_base_b
    .private_segment_fixed_size: 0
    .sgpr_count:     25
    .sgpr_spill_count: 0
    .symbol:         _ZN9rocsparseL21csrmvn_general_kernelILj256ELj16EllfdddEEvbT2_NS_24const_host_device_scalarIT6_EEPKT1_S7_PKS1_PKT3_PKT4_S4_PT5_21rocsparse_index_base_b.kd
    .uniform_work_group_size: 1
    .uses_dynamic_stack: false
    .vgpr_count:     26
    .vgpr_spill_count: 0
    .wavefront_size: 32
  - .args:
      - .offset:         0
        .size:           1
        .value_kind:     by_value
      - .offset:         8
        .size:           8
        .value_kind:     by_value
      - .offset:         16
        .size:           8
        .value_kind:     by_value
      - .address_space:  global
        .offset:         24
        .size:           8
        .value_kind:     global_buffer
      - .address_space:  global
        .offset:         32
        .size:           8
        .value_kind:     global_buffer
      - .actual_access:  read_only
        .address_space:  global
        .offset:         40
        .size:           8
        .value_kind:     global_buffer
      - .actual_access:  read_only
        .address_space:  global
        .offset:         48
        .size:           8
        .value_kind:     global_buffer
      - .actual_access:  read_only
        .address_space:  global
        .offset:         56
        .size:           8
        .value_kind:     global_buffer
      - .offset:         64
        .size:           8
        .value_kind:     by_value
      - .address_space:  global
        .offset:         72
        .size:           8
        .value_kind:     global_buffer
      - .offset:         80
        .size:           4
        .value_kind:     by_value
      - .offset:         84
        .size:           1
        .value_kind:     by_value
      - .offset:         88
        .size:           4
        .value_kind:     hidden_block_count_x
      - .offset:         92
        .size:           4
        .value_kind:     hidden_block_count_y
      - .offset:         96
        .size:           4
        .value_kind:     hidden_block_count_z
      - .offset:         100
        .size:           2
        .value_kind:     hidden_group_size_x
      - .offset:         102
        .size:           2
        .value_kind:     hidden_group_size_y
      - .offset:         104
        .size:           2
        .value_kind:     hidden_group_size_z
      - .offset:         106
        .size:           2
        .value_kind:     hidden_remainder_x
      - .offset:         108
        .size:           2
        .value_kind:     hidden_remainder_y
      - .offset:         110
        .size:           2
        .value_kind:     hidden_remainder_z
      - .offset:         128
        .size:           8
        .value_kind:     hidden_global_offset_x
      - .offset:         136
        .size:           8
        .value_kind:     hidden_global_offset_y
      - .offset:         144
        .size:           8
        .value_kind:     hidden_global_offset_z
      - .offset:         152
        .size:           2
        .value_kind:     hidden_grid_dims
    .group_segment_fixed_size: 0
    .kernarg_segment_align: 8
    .kernarg_segment_size: 344
    .language:       OpenCL C
    .language_version:
      - 2
      - 0
    .max_flat_workgroup_size: 256
    .name:           _ZN9rocsparseL21csrmvn_general_kernelILj256ELj32EllfdddEEvbT2_NS_24const_host_device_scalarIT6_EEPKT1_S7_PKS1_PKT3_PKT4_S4_PT5_21rocsparse_index_base_b
    .private_segment_fixed_size: 0
    .sgpr_count:     25
    .sgpr_spill_count: 0
    .symbol:         _ZN9rocsparseL21csrmvn_general_kernelILj256ELj32EllfdddEEvbT2_NS_24const_host_device_scalarIT6_EEPKT1_S7_PKS1_PKT3_PKT4_S4_PT5_21rocsparse_index_base_b.kd
    .uniform_work_group_size: 1
    .uses_dynamic_stack: false
    .vgpr_count:     28
    .vgpr_spill_count: 0
    .wavefront_size: 32
  - .args:
      - .offset:         0
        .size:           1
        .value_kind:     by_value
      - .offset:         8
        .size:           8
        .value_kind:     by_value
      - .offset:         16
        .size:           8
        .value_kind:     by_value
      - .address_space:  global
        .offset:         24
        .size:           8
        .value_kind:     global_buffer
      - .address_space:  global
        .offset:         32
        .size:           8
        .value_kind:     global_buffer
      - .actual_access:  read_only
        .address_space:  global
        .offset:         40
        .size:           8
        .value_kind:     global_buffer
      - .actual_access:  read_only
        .address_space:  global
        .offset:         48
        .size:           8
        .value_kind:     global_buffer
      - .actual_access:  read_only
        .address_space:  global
        .offset:         56
        .size:           8
        .value_kind:     global_buffer
      - .offset:         64
        .size:           8
        .value_kind:     by_value
      - .address_space:  global
        .offset:         72
        .size:           8
        .value_kind:     global_buffer
      - .offset:         80
        .size:           4
        .value_kind:     by_value
      - .offset:         84
        .size:           1
        .value_kind:     by_value
      - .offset:         88
        .size:           4
        .value_kind:     hidden_block_count_x
      - .offset:         92
        .size:           4
        .value_kind:     hidden_block_count_y
      - .offset:         96
        .size:           4
        .value_kind:     hidden_block_count_z
      - .offset:         100
        .size:           2
        .value_kind:     hidden_group_size_x
      - .offset:         102
        .size:           2
        .value_kind:     hidden_group_size_y
      - .offset:         104
        .size:           2
        .value_kind:     hidden_group_size_z
      - .offset:         106
        .size:           2
        .value_kind:     hidden_remainder_x
      - .offset:         108
        .size:           2
        .value_kind:     hidden_remainder_y
      - .offset:         110
        .size:           2
        .value_kind:     hidden_remainder_z
      - .offset:         128
        .size:           8
        .value_kind:     hidden_global_offset_x
      - .offset:         136
        .size:           8
        .value_kind:     hidden_global_offset_y
      - .offset:         144
        .size:           8
        .value_kind:     hidden_global_offset_z
      - .offset:         152
        .size:           2
        .value_kind:     hidden_grid_dims
    .group_segment_fixed_size: 0
    .kernarg_segment_align: 8
    .kernarg_segment_size: 344
    .language:       OpenCL C
    .language_version:
      - 2
      - 0
    .max_flat_workgroup_size: 256
    .name:           _ZN9rocsparseL21csrmvn_general_kernelILj256ELj64EllfdddEEvbT2_NS_24const_host_device_scalarIT6_EEPKT1_S7_PKS1_PKT3_PKT4_S4_PT5_21rocsparse_index_base_b
    .private_segment_fixed_size: 0
    .sgpr_count:     25
    .sgpr_spill_count: 0
    .symbol:         _ZN9rocsparseL21csrmvn_general_kernelILj256ELj64EllfdddEEvbT2_NS_24const_host_device_scalarIT6_EEPKT1_S7_PKS1_PKT3_PKT4_S4_PT5_21rocsparse_index_base_b.kd
    .uniform_work_group_size: 1
    .uses_dynamic_stack: false
    .vgpr_count:     28
    .vgpr_spill_count: 0
    .wavefront_size: 32
  - .args:
      - .offset:         0
        .size:           1
        .value_kind:     by_value
      - .offset:         1
        .size:           1
        .value_kind:     by_value
      - .offset:         8
        .size:           8
        .value_kind:     by_value
      - .offset:         16
        .size:           8
        .value_kind:     by_value
      - .address_space:  global
        .offset:         24
        .size:           8
        .value_kind:     global_buffer
      - .address_space:  global
        .offset:         32
        .size:           8
        .value_kind:     global_buffer
      - .actual_access:  read_only
        .address_space:  global
        .offset:         40
        .size:           8
        .value_kind:     global_buffer
      - .actual_access:  read_only
        .address_space:  global
        .offset:         48
        .size:           8
        .value_kind:     global_buffer
      - .actual_access:  read_only
        .address_space:  global
        .offset:         56
        .size:           8
        .value_kind:     global_buffer
      - .address_space:  global
        .offset:         64
        .size:           8
        .value_kind:     global_buffer
      - .offset:         72
        .size:           4
        .value_kind:     by_value
      - .offset:         76
        .size:           1
        .value_kind:     by_value
      - .offset:         80
        .size:           4
        .value_kind:     hidden_block_count_x
      - .offset:         84
        .size:           4
        .value_kind:     hidden_block_count_y
      - .offset:         88
        .size:           4
        .value_kind:     hidden_block_count_z
      - .offset:         92
        .size:           2
        .value_kind:     hidden_group_size_x
      - .offset:         94
        .size:           2
        .value_kind:     hidden_group_size_y
      - .offset:         96
        .size:           2
        .value_kind:     hidden_group_size_z
      - .offset:         98
        .size:           2
        .value_kind:     hidden_remainder_x
      - .offset:         100
        .size:           2
        .value_kind:     hidden_remainder_y
      - .offset:         102
        .size:           2
        .value_kind:     hidden_remainder_z
      - .offset:         120
        .size:           8
        .value_kind:     hidden_global_offset_x
      - .offset:         128
        .size:           8
        .value_kind:     hidden_global_offset_y
      - .offset:         136
        .size:           8
        .value_kind:     hidden_global_offset_z
      - .offset:         144
        .size:           2
        .value_kind:     hidden_grid_dims
    .group_segment_fixed_size: 0
    .kernarg_segment_align: 8
    .kernarg_segment_size: 336
    .language:       OpenCL C
    .language_version:
      - 2
      - 0
    .max_flat_workgroup_size: 256
    .name:           _ZN9rocsparseL21csrmvt_general_kernelILj256ELj4EllfdddEEvbbT2_NS_24const_host_device_scalarIT6_EEPKT1_S7_PKS1_PKT3_PKT4_PT5_21rocsparse_index_base_b
    .private_segment_fixed_size: 0
    .sgpr_count:     25
    .sgpr_spill_count: 0
    .symbol:         _ZN9rocsparseL21csrmvt_general_kernelILj256ELj4EllfdddEEvbbT2_NS_24const_host_device_scalarIT6_EEPKT1_S7_PKS1_PKT3_PKT4_PT5_21rocsparse_index_base_b.kd
    .uniform_work_group_size: 1
    .uses_dynamic_stack: false
    .vgpr_count:     24
    .vgpr_spill_count: 0
    .wavefront_size: 32
  - .args:
      - .offset:         0
        .size:           1
        .value_kind:     by_value
      - .offset:         1
        .size:           1
        .value_kind:     by_value
      - .offset:         8
        .size:           8
        .value_kind:     by_value
      - .offset:         16
        .size:           8
        .value_kind:     by_value
      - .address_space:  global
        .offset:         24
        .size:           8
        .value_kind:     global_buffer
      - .address_space:  global
        .offset:         32
        .size:           8
        .value_kind:     global_buffer
      - .actual_access:  read_only
        .address_space:  global
        .offset:         40
        .size:           8
        .value_kind:     global_buffer
      - .actual_access:  read_only
        .address_space:  global
        .offset:         48
        .size:           8
        .value_kind:     global_buffer
      - .actual_access:  read_only
        .address_space:  global
        .offset:         56
        .size:           8
        .value_kind:     global_buffer
      - .address_space:  global
        .offset:         64
        .size:           8
        .value_kind:     global_buffer
      - .offset:         72
        .size:           4
        .value_kind:     by_value
      - .offset:         76
        .size:           1
        .value_kind:     by_value
      - .offset:         80
        .size:           4
        .value_kind:     hidden_block_count_x
      - .offset:         84
        .size:           4
        .value_kind:     hidden_block_count_y
      - .offset:         88
        .size:           4
        .value_kind:     hidden_block_count_z
      - .offset:         92
        .size:           2
        .value_kind:     hidden_group_size_x
      - .offset:         94
        .size:           2
        .value_kind:     hidden_group_size_y
      - .offset:         96
        .size:           2
        .value_kind:     hidden_group_size_z
      - .offset:         98
        .size:           2
        .value_kind:     hidden_remainder_x
      - .offset:         100
        .size:           2
        .value_kind:     hidden_remainder_y
      - .offset:         102
        .size:           2
        .value_kind:     hidden_remainder_z
      - .offset:         120
        .size:           8
        .value_kind:     hidden_global_offset_x
      - .offset:         128
        .size:           8
        .value_kind:     hidden_global_offset_y
      - .offset:         136
        .size:           8
        .value_kind:     hidden_global_offset_z
      - .offset:         144
        .size:           2
        .value_kind:     hidden_grid_dims
    .group_segment_fixed_size: 0
    .kernarg_segment_align: 8
    .kernarg_segment_size: 336
    .language:       OpenCL C
    .language_version:
      - 2
      - 0
    .max_flat_workgroup_size: 256
    .name:           _ZN9rocsparseL21csrmvt_general_kernelILj256ELj8EllfdddEEvbbT2_NS_24const_host_device_scalarIT6_EEPKT1_S7_PKS1_PKT3_PKT4_PT5_21rocsparse_index_base_b
    .private_segment_fixed_size: 0
    .sgpr_count:     25
    .sgpr_spill_count: 0
    .symbol:         _ZN9rocsparseL21csrmvt_general_kernelILj256ELj8EllfdddEEvbbT2_NS_24const_host_device_scalarIT6_EEPKT1_S7_PKS1_PKT3_PKT4_PT5_21rocsparse_index_base_b.kd
    .uniform_work_group_size: 1
    .uses_dynamic_stack: false
    .vgpr_count:     24
    .vgpr_spill_count: 0
    .wavefront_size: 32
  - .args:
      - .offset:         0
        .size:           1
        .value_kind:     by_value
      - .offset:         1
        .size:           1
        .value_kind:     by_value
      - .offset:         8
        .size:           8
        .value_kind:     by_value
      - .offset:         16
        .size:           8
        .value_kind:     by_value
      - .address_space:  global
        .offset:         24
        .size:           8
        .value_kind:     global_buffer
      - .address_space:  global
        .offset:         32
        .size:           8
        .value_kind:     global_buffer
      - .actual_access:  read_only
        .address_space:  global
        .offset:         40
        .size:           8
        .value_kind:     global_buffer
      - .actual_access:  read_only
        .address_space:  global
        .offset:         48
        .size:           8
        .value_kind:     global_buffer
      - .actual_access:  read_only
        .address_space:  global
        .offset:         56
        .size:           8
        .value_kind:     global_buffer
      - .address_space:  global
        .offset:         64
        .size:           8
        .value_kind:     global_buffer
      - .offset:         72
        .size:           4
        .value_kind:     by_value
      - .offset:         76
        .size:           1
        .value_kind:     by_value
      - .offset:         80
        .size:           4
        .value_kind:     hidden_block_count_x
      - .offset:         84
        .size:           4
        .value_kind:     hidden_block_count_y
      - .offset:         88
        .size:           4
        .value_kind:     hidden_block_count_z
      - .offset:         92
        .size:           2
        .value_kind:     hidden_group_size_x
      - .offset:         94
        .size:           2
        .value_kind:     hidden_group_size_y
      - .offset:         96
        .size:           2
        .value_kind:     hidden_group_size_z
      - .offset:         98
        .size:           2
        .value_kind:     hidden_remainder_x
      - .offset:         100
        .size:           2
        .value_kind:     hidden_remainder_y
      - .offset:         102
        .size:           2
        .value_kind:     hidden_remainder_z
      - .offset:         120
        .size:           8
        .value_kind:     hidden_global_offset_x
      - .offset:         128
        .size:           8
        .value_kind:     hidden_global_offset_y
      - .offset:         136
        .size:           8
        .value_kind:     hidden_global_offset_z
      - .offset:         144
        .size:           2
        .value_kind:     hidden_grid_dims
    .group_segment_fixed_size: 0
    .kernarg_segment_align: 8
    .kernarg_segment_size: 336
    .language:       OpenCL C
    .language_version:
      - 2
      - 0
    .max_flat_workgroup_size: 256
    .name:           _ZN9rocsparseL21csrmvt_general_kernelILj256ELj16EllfdddEEvbbT2_NS_24const_host_device_scalarIT6_EEPKT1_S7_PKS1_PKT3_PKT4_PT5_21rocsparse_index_base_b
    .private_segment_fixed_size: 0
    .sgpr_count:     25
    .sgpr_spill_count: 0
    .symbol:         _ZN9rocsparseL21csrmvt_general_kernelILj256ELj16EllfdddEEvbbT2_NS_24const_host_device_scalarIT6_EEPKT1_S7_PKS1_PKT3_PKT4_PT5_21rocsparse_index_base_b.kd
    .uniform_work_group_size: 1
    .uses_dynamic_stack: false
    .vgpr_count:     24
    .vgpr_spill_count: 0
    .wavefront_size: 32
  - .args:
      - .offset:         0
        .size:           1
        .value_kind:     by_value
      - .offset:         1
        .size:           1
        .value_kind:     by_value
      - .offset:         8
        .size:           8
        .value_kind:     by_value
      - .offset:         16
        .size:           8
        .value_kind:     by_value
      - .address_space:  global
        .offset:         24
        .size:           8
        .value_kind:     global_buffer
      - .address_space:  global
        .offset:         32
        .size:           8
        .value_kind:     global_buffer
      - .actual_access:  read_only
        .address_space:  global
        .offset:         40
        .size:           8
        .value_kind:     global_buffer
      - .actual_access:  read_only
        .address_space:  global
        .offset:         48
        .size:           8
        .value_kind:     global_buffer
      - .actual_access:  read_only
        .address_space:  global
        .offset:         56
        .size:           8
        .value_kind:     global_buffer
      - .address_space:  global
        .offset:         64
        .size:           8
        .value_kind:     global_buffer
      - .offset:         72
        .size:           4
        .value_kind:     by_value
      - .offset:         76
        .size:           1
        .value_kind:     by_value
      - .offset:         80
        .size:           4
        .value_kind:     hidden_block_count_x
      - .offset:         84
        .size:           4
        .value_kind:     hidden_block_count_y
      - .offset:         88
        .size:           4
        .value_kind:     hidden_block_count_z
      - .offset:         92
        .size:           2
        .value_kind:     hidden_group_size_x
      - .offset:         94
        .size:           2
        .value_kind:     hidden_group_size_y
      - .offset:         96
        .size:           2
        .value_kind:     hidden_group_size_z
      - .offset:         98
        .size:           2
        .value_kind:     hidden_remainder_x
      - .offset:         100
        .size:           2
        .value_kind:     hidden_remainder_y
      - .offset:         102
        .size:           2
        .value_kind:     hidden_remainder_z
      - .offset:         120
        .size:           8
        .value_kind:     hidden_global_offset_x
      - .offset:         128
        .size:           8
        .value_kind:     hidden_global_offset_y
      - .offset:         136
        .size:           8
        .value_kind:     hidden_global_offset_z
      - .offset:         144
        .size:           2
        .value_kind:     hidden_grid_dims
    .group_segment_fixed_size: 0
    .kernarg_segment_align: 8
    .kernarg_segment_size: 336
    .language:       OpenCL C
    .language_version:
      - 2
      - 0
    .max_flat_workgroup_size: 256
    .name:           _ZN9rocsparseL21csrmvt_general_kernelILj256ELj32EllfdddEEvbbT2_NS_24const_host_device_scalarIT6_EEPKT1_S7_PKS1_PKT3_PKT4_PT5_21rocsparse_index_base_b
    .private_segment_fixed_size: 0
    .sgpr_count:     25
    .sgpr_spill_count: 0
    .symbol:         _ZN9rocsparseL21csrmvt_general_kernelILj256ELj32EllfdddEEvbbT2_NS_24const_host_device_scalarIT6_EEPKT1_S7_PKS1_PKT3_PKT4_PT5_21rocsparse_index_base_b.kd
    .uniform_work_group_size: 1
    .uses_dynamic_stack: false
    .vgpr_count:     24
    .vgpr_spill_count: 0
    .wavefront_size: 32
  - .args:
      - .offset:         0
        .size:           1
        .value_kind:     by_value
      - .offset:         1
        .size:           1
        .value_kind:     by_value
      - .offset:         8
        .size:           8
        .value_kind:     by_value
      - .offset:         16
        .size:           8
        .value_kind:     by_value
      - .address_space:  global
        .offset:         24
        .size:           8
        .value_kind:     global_buffer
      - .address_space:  global
        .offset:         32
        .size:           8
        .value_kind:     global_buffer
      - .actual_access:  read_only
        .address_space:  global
        .offset:         40
        .size:           8
        .value_kind:     global_buffer
      - .actual_access:  read_only
        .address_space:  global
        .offset:         48
        .size:           8
        .value_kind:     global_buffer
      - .actual_access:  read_only
        .address_space:  global
        .offset:         56
        .size:           8
        .value_kind:     global_buffer
      - .address_space:  global
        .offset:         64
        .size:           8
        .value_kind:     global_buffer
      - .offset:         72
        .size:           4
        .value_kind:     by_value
      - .offset:         76
        .size:           1
        .value_kind:     by_value
      - .offset:         80
        .size:           4
        .value_kind:     hidden_block_count_x
      - .offset:         84
        .size:           4
        .value_kind:     hidden_block_count_y
      - .offset:         88
        .size:           4
        .value_kind:     hidden_block_count_z
      - .offset:         92
        .size:           2
        .value_kind:     hidden_group_size_x
      - .offset:         94
        .size:           2
        .value_kind:     hidden_group_size_y
      - .offset:         96
        .size:           2
        .value_kind:     hidden_group_size_z
      - .offset:         98
        .size:           2
        .value_kind:     hidden_remainder_x
      - .offset:         100
        .size:           2
        .value_kind:     hidden_remainder_y
      - .offset:         102
        .size:           2
        .value_kind:     hidden_remainder_z
      - .offset:         120
        .size:           8
        .value_kind:     hidden_global_offset_x
      - .offset:         128
        .size:           8
        .value_kind:     hidden_global_offset_y
      - .offset:         136
        .size:           8
        .value_kind:     hidden_global_offset_z
      - .offset:         144
        .size:           2
        .value_kind:     hidden_grid_dims
    .group_segment_fixed_size: 0
    .kernarg_segment_align: 8
    .kernarg_segment_size: 336
    .language:       OpenCL C
    .language_version:
      - 2
      - 0
    .max_flat_workgroup_size: 256
    .name:           _ZN9rocsparseL21csrmvt_general_kernelILj256ELj64EllfdddEEvbbT2_NS_24const_host_device_scalarIT6_EEPKT1_S7_PKS1_PKT3_PKT4_PT5_21rocsparse_index_base_b
    .private_segment_fixed_size: 0
    .sgpr_count:     25
    .sgpr_spill_count: 0
    .symbol:         _ZN9rocsparseL21csrmvt_general_kernelILj256ELj64EllfdddEEvbbT2_NS_24const_host_device_scalarIT6_EEPKT1_S7_PKS1_PKT3_PKT4_PT5_21rocsparse_index_base_b.kd
    .uniform_work_group_size: 1
    .uses_dynamic_stack: false
    .vgpr_count:     24
    .vgpr_spill_count: 0
    .wavefront_size: 32
  - .args:
      - .offset:         0
        .size:           1
        .value_kind:     by_value
      - .offset:         4
        .size:           4
        .value_kind:     by_value
      - .offset:         8
        .size:           16
        .value_kind:     by_value
      - .address_space:  global
        .offset:         24
        .size:           8
        .value_kind:     global_buffer
      - .address_space:  global
        .offset:         32
        .size:           8
        .value_kind:     global_buffer
      - .actual_access:  read_only
        .address_space:  global
        .offset:         40
        .size:           8
        .value_kind:     global_buffer
      - .actual_access:  read_only
        .address_space:  global
        .offset:         48
        .size:           8
        .value_kind:     global_buffer
      - .actual_access:  read_only
        .address_space:  global
        .offset:         56
        .size:           8
        .value_kind:     global_buffer
      - .offset:         64
        .size:           16
        .value_kind:     by_value
      - .address_space:  global
        .offset:         80
        .size:           8
        .value_kind:     global_buffer
      - .offset:         88
        .size:           4
        .value_kind:     by_value
      - .offset:         92
        .size:           1
        .value_kind:     by_value
      - .offset:         96
        .size:           4
        .value_kind:     hidden_block_count_x
      - .offset:         100
        .size:           4
        .value_kind:     hidden_block_count_y
      - .offset:         104
        .size:           4
        .value_kind:     hidden_block_count_z
      - .offset:         108
        .size:           2
        .value_kind:     hidden_group_size_x
      - .offset:         110
        .size:           2
        .value_kind:     hidden_group_size_y
      - .offset:         112
        .size:           2
        .value_kind:     hidden_group_size_z
      - .offset:         114
        .size:           2
        .value_kind:     hidden_remainder_x
      - .offset:         116
        .size:           2
        .value_kind:     hidden_remainder_y
      - .offset:         118
        .size:           2
        .value_kind:     hidden_remainder_z
      - .offset:         136
        .size:           8
        .value_kind:     hidden_global_offset_x
      - .offset:         144
        .size:           8
        .value_kind:     hidden_global_offset_y
      - .offset:         152
        .size:           8
        .value_kind:     hidden_global_offset_z
      - .offset:         160
        .size:           2
        .value_kind:     hidden_grid_dims
    .group_segment_fixed_size: 0
    .kernarg_segment_align: 8
    .kernarg_segment_size: 352
    .language:       OpenCL C
    .language_version:
      - 2
      - 0
    .max_flat_workgroup_size: 256
    .name:           _ZN9rocsparseL21csrmvn_general_kernelILj256ELj2Eiid21rocsparse_complex_numIdES2_S2_EEvbT2_NS_24const_host_device_scalarIT6_EEPKT1_S9_PKS3_PKT3_PKT4_S6_PT5_21rocsparse_index_base_b
    .private_segment_fixed_size: 0
    .sgpr_count:     25
    .sgpr_spill_count: 0
    .symbol:         _ZN9rocsparseL21csrmvn_general_kernelILj256ELj2Eiid21rocsparse_complex_numIdES2_S2_EEvbT2_NS_24const_host_device_scalarIT6_EEPKT1_S9_PKS3_PKT3_PKT4_S6_PT5_21rocsparse_index_base_b.kd
    .uniform_work_group_size: 1
    .uses_dynamic_stack: false
    .vgpr_count:     30
    .vgpr_spill_count: 0
    .wavefront_size: 32
  - .args:
      - .offset:         0
        .size:           1
        .value_kind:     by_value
      - .offset:         4
        .size:           4
        .value_kind:     by_value
      - .offset:         8
        .size:           16
        .value_kind:     by_value
      - .address_space:  global
        .offset:         24
        .size:           8
        .value_kind:     global_buffer
      - .address_space:  global
        .offset:         32
        .size:           8
        .value_kind:     global_buffer
      - .actual_access:  read_only
        .address_space:  global
        .offset:         40
        .size:           8
        .value_kind:     global_buffer
      - .actual_access:  read_only
        .address_space:  global
        .offset:         48
        .size:           8
        .value_kind:     global_buffer
      - .actual_access:  read_only
        .address_space:  global
        .offset:         56
        .size:           8
        .value_kind:     global_buffer
      - .offset:         64
        .size:           16
        .value_kind:     by_value
      - .address_space:  global
        .offset:         80
        .size:           8
        .value_kind:     global_buffer
      - .offset:         88
        .size:           4
        .value_kind:     by_value
      - .offset:         92
        .size:           1
        .value_kind:     by_value
      - .offset:         96
        .size:           4
        .value_kind:     hidden_block_count_x
      - .offset:         100
        .size:           4
        .value_kind:     hidden_block_count_y
      - .offset:         104
        .size:           4
        .value_kind:     hidden_block_count_z
      - .offset:         108
        .size:           2
        .value_kind:     hidden_group_size_x
      - .offset:         110
        .size:           2
        .value_kind:     hidden_group_size_y
      - .offset:         112
        .size:           2
        .value_kind:     hidden_group_size_z
      - .offset:         114
        .size:           2
        .value_kind:     hidden_remainder_x
      - .offset:         116
        .size:           2
        .value_kind:     hidden_remainder_y
      - .offset:         118
        .size:           2
        .value_kind:     hidden_remainder_z
      - .offset:         136
        .size:           8
        .value_kind:     hidden_global_offset_x
      - .offset:         144
        .size:           8
        .value_kind:     hidden_global_offset_y
      - .offset:         152
        .size:           8
        .value_kind:     hidden_global_offset_z
      - .offset:         160
        .size:           2
        .value_kind:     hidden_grid_dims
    .group_segment_fixed_size: 0
    .kernarg_segment_align: 8
    .kernarg_segment_size: 352
    .language:       OpenCL C
    .language_version:
      - 2
      - 0
    .max_flat_workgroup_size: 256
    .name:           _ZN9rocsparseL21csrmvn_general_kernelILj256ELj4Eiid21rocsparse_complex_numIdES2_S2_EEvbT2_NS_24const_host_device_scalarIT6_EEPKT1_S9_PKS3_PKT3_PKT4_S6_PT5_21rocsparse_index_base_b
    .private_segment_fixed_size: 0
    .sgpr_count:     25
    .sgpr_spill_count: 0
    .symbol:         _ZN9rocsparseL21csrmvn_general_kernelILj256ELj4Eiid21rocsparse_complex_numIdES2_S2_EEvbT2_NS_24const_host_device_scalarIT6_EEPKT1_S9_PKS3_PKT3_PKT4_S6_PT5_21rocsparse_index_base_b.kd
    .uniform_work_group_size: 1
    .uses_dynamic_stack: false
    .vgpr_count:     32
    .vgpr_spill_count: 0
    .wavefront_size: 32
  - .args:
      - .offset:         0
        .size:           1
        .value_kind:     by_value
      - .offset:         4
        .size:           4
        .value_kind:     by_value
      - .offset:         8
        .size:           16
        .value_kind:     by_value
      - .address_space:  global
        .offset:         24
        .size:           8
        .value_kind:     global_buffer
      - .address_space:  global
        .offset:         32
        .size:           8
        .value_kind:     global_buffer
      - .actual_access:  read_only
        .address_space:  global
        .offset:         40
        .size:           8
        .value_kind:     global_buffer
      - .actual_access:  read_only
        .address_space:  global
        .offset:         48
        .size:           8
        .value_kind:     global_buffer
      - .actual_access:  read_only
        .address_space:  global
        .offset:         56
        .size:           8
        .value_kind:     global_buffer
      - .offset:         64
        .size:           16
        .value_kind:     by_value
      - .address_space:  global
        .offset:         80
        .size:           8
        .value_kind:     global_buffer
      - .offset:         88
        .size:           4
        .value_kind:     by_value
      - .offset:         92
        .size:           1
        .value_kind:     by_value
      - .offset:         96
        .size:           4
        .value_kind:     hidden_block_count_x
      - .offset:         100
        .size:           4
        .value_kind:     hidden_block_count_y
      - .offset:         104
        .size:           4
        .value_kind:     hidden_block_count_z
      - .offset:         108
        .size:           2
        .value_kind:     hidden_group_size_x
      - .offset:         110
        .size:           2
        .value_kind:     hidden_group_size_y
      - .offset:         112
        .size:           2
        .value_kind:     hidden_group_size_z
      - .offset:         114
        .size:           2
        .value_kind:     hidden_remainder_x
      - .offset:         116
        .size:           2
        .value_kind:     hidden_remainder_y
      - .offset:         118
        .size:           2
        .value_kind:     hidden_remainder_z
      - .offset:         136
        .size:           8
        .value_kind:     hidden_global_offset_x
      - .offset:         144
        .size:           8
        .value_kind:     hidden_global_offset_y
      - .offset:         152
        .size:           8
        .value_kind:     hidden_global_offset_z
      - .offset:         160
        .size:           2
        .value_kind:     hidden_grid_dims
    .group_segment_fixed_size: 0
    .kernarg_segment_align: 8
    .kernarg_segment_size: 352
    .language:       OpenCL C
    .language_version:
      - 2
      - 0
    .max_flat_workgroup_size: 256
    .name:           _ZN9rocsparseL21csrmvn_general_kernelILj256ELj8Eiid21rocsparse_complex_numIdES2_S2_EEvbT2_NS_24const_host_device_scalarIT6_EEPKT1_S9_PKS3_PKT3_PKT4_S6_PT5_21rocsparse_index_base_b
    .private_segment_fixed_size: 0
    .sgpr_count:     25
    .sgpr_spill_count: 0
    .symbol:         _ZN9rocsparseL21csrmvn_general_kernelILj256ELj8Eiid21rocsparse_complex_numIdES2_S2_EEvbT2_NS_24const_host_device_scalarIT6_EEPKT1_S9_PKS3_PKT3_PKT4_S6_PT5_21rocsparse_index_base_b.kd
    .uniform_work_group_size: 1
    .uses_dynamic_stack: false
    .vgpr_count:     32
    .vgpr_spill_count: 0
    .wavefront_size: 32
  - .args:
      - .offset:         0
        .size:           1
        .value_kind:     by_value
      - .offset:         4
        .size:           4
        .value_kind:     by_value
      - .offset:         8
        .size:           16
        .value_kind:     by_value
      - .address_space:  global
        .offset:         24
        .size:           8
        .value_kind:     global_buffer
      - .address_space:  global
        .offset:         32
        .size:           8
        .value_kind:     global_buffer
      - .actual_access:  read_only
        .address_space:  global
        .offset:         40
        .size:           8
        .value_kind:     global_buffer
      - .actual_access:  read_only
        .address_space:  global
        .offset:         48
        .size:           8
        .value_kind:     global_buffer
      - .actual_access:  read_only
        .address_space:  global
        .offset:         56
        .size:           8
        .value_kind:     global_buffer
      - .offset:         64
        .size:           16
        .value_kind:     by_value
      - .address_space:  global
        .offset:         80
        .size:           8
        .value_kind:     global_buffer
      - .offset:         88
        .size:           4
        .value_kind:     by_value
      - .offset:         92
        .size:           1
        .value_kind:     by_value
      - .offset:         96
        .size:           4
        .value_kind:     hidden_block_count_x
      - .offset:         100
        .size:           4
        .value_kind:     hidden_block_count_y
      - .offset:         104
        .size:           4
        .value_kind:     hidden_block_count_z
      - .offset:         108
        .size:           2
        .value_kind:     hidden_group_size_x
      - .offset:         110
        .size:           2
        .value_kind:     hidden_group_size_y
      - .offset:         112
        .size:           2
        .value_kind:     hidden_group_size_z
      - .offset:         114
        .size:           2
        .value_kind:     hidden_remainder_x
      - .offset:         116
        .size:           2
        .value_kind:     hidden_remainder_y
      - .offset:         118
        .size:           2
        .value_kind:     hidden_remainder_z
      - .offset:         136
        .size:           8
        .value_kind:     hidden_global_offset_x
      - .offset:         144
        .size:           8
        .value_kind:     hidden_global_offset_y
      - .offset:         152
        .size:           8
        .value_kind:     hidden_global_offset_z
      - .offset:         160
        .size:           2
        .value_kind:     hidden_grid_dims
    .group_segment_fixed_size: 0
    .kernarg_segment_align: 8
    .kernarg_segment_size: 352
    .language:       OpenCL C
    .language_version:
      - 2
      - 0
    .max_flat_workgroup_size: 256
    .name:           _ZN9rocsparseL21csrmvn_general_kernelILj256ELj16Eiid21rocsparse_complex_numIdES2_S2_EEvbT2_NS_24const_host_device_scalarIT6_EEPKT1_S9_PKS3_PKT3_PKT4_S6_PT5_21rocsparse_index_base_b
    .private_segment_fixed_size: 0
    .sgpr_count:     25
    .sgpr_spill_count: 0
    .symbol:         _ZN9rocsparseL21csrmvn_general_kernelILj256ELj16Eiid21rocsparse_complex_numIdES2_S2_EEvbT2_NS_24const_host_device_scalarIT6_EEPKT1_S9_PKS3_PKT3_PKT4_S6_PT5_21rocsparse_index_base_b.kd
    .uniform_work_group_size: 1
    .uses_dynamic_stack: false
    .vgpr_count:     34
    .vgpr_spill_count: 0
    .wavefront_size: 32
  - .args:
      - .offset:         0
        .size:           1
        .value_kind:     by_value
      - .offset:         4
        .size:           4
        .value_kind:     by_value
      - .offset:         8
        .size:           16
        .value_kind:     by_value
      - .address_space:  global
        .offset:         24
        .size:           8
        .value_kind:     global_buffer
      - .address_space:  global
        .offset:         32
        .size:           8
        .value_kind:     global_buffer
      - .actual_access:  read_only
        .address_space:  global
        .offset:         40
        .size:           8
        .value_kind:     global_buffer
      - .actual_access:  read_only
        .address_space:  global
        .offset:         48
        .size:           8
        .value_kind:     global_buffer
      - .actual_access:  read_only
        .address_space:  global
        .offset:         56
        .size:           8
        .value_kind:     global_buffer
      - .offset:         64
        .size:           16
        .value_kind:     by_value
      - .address_space:  global
        .offset:         80
        .size:           8
        .value_kind:     global_buffer
      - .offset:         88
        .size:           4
        .value_kind:     by_value
      - .offset:         92
        .size:           1
        .value_kind:     by_value
      - .offset:         96
        .size:           4
        .value_kind:     hidden_block_count_x
      - .offset:         100
        .size:           4
        .value_kind:     hidden_block_count_y
      - .offset:         104
        .size:           4
        .value_kind:     hidden_block_count_z
      - .offset:         108
        .size:           2
        .value_kind:     hidden_group_size_x
      - .offset:         110
        .size:           2
        .value_kind:     hidden_group_size_y
      - .offset:         112
        .size:           2
        .value_kind:     hidden_group_size_z
      - .offset:         114
        .size:           2
        .value_kind:     hidden_remainder_x
      - .offset:         116
        .size:           2
        .value_kind:     hidden_remainder_y
      - .offset:         118
        .size:           2
        .value_kind:     hidden_remainder_z
      - .offset:         136
        .size:           8
        .value_kind:     hidden_global_offset_x
      - .offset:         144
        .size:           8
        .value_kind:     hidden_global_offset_y
      - .offset:         152
        .size:           8
        .value_kind:     hidden_global_offset_z
      - .offset:         160
        .size:           2
        .value_kind:     hidden_grid_dims
    .group_segment_fixed_size: 0
    .kernarg_segment_align: 8
    .kernarg_segment_size: 352
    .language:       OpenCL C
    .language_version:
      - 2
      - 0
    .max_flat_workgroup_size: 256
    .name:           _ZN9rocsparseL21csrmvn_general_kernelILj256ELj32Eiid21rocsparse_complex_numIdES2_S2_EEvbT2_NS_24const_host_device_scalarIT6_EEPKT1_S9_PKS3_PKT3_PKT4_S6_PT5_21rocsparse_index_base_b
    .private_segment_fixed_size: 0
    .sgpr_count:     25
    .sgpr_spill_count: 0
    .symbol:         _ZN9rocsparseL21csrmvn_general_kernelILj256ELj32Eiid21rocsparse_complex_numIdES2_S2_EEvbT2_NS_24const_host_device_scalarIT6_EEPKT1_S9_PKS3_PKT3_PKT4_S6_PT5_21rocsparse_index_base_b.kd
    .uniform_work_group_size: 1
    .uses_dynamic_stack: false
    .vgpr_count:     34
    .vgpr_spill_count: 0
    .wavefront_size: 32
  - .args:
      - .offset:         0
        .size:           1
        .value_kind:     by_value
      - .offset:         4
        .size:           4
        .value_kind:     by_value
      - .offset:         8
        .size:           16
        .value_kind:     by_value
      - .address_space:  global
        .offset:         24
        .size:           8
        .value_kind:     global_buffer
      - .address_space:  global
        .offset:         32
        .size:           8
        .value_kind:     global_buffer
      - .actual_access:  read_only
        .address_space:  global
        .offset:         40
        .size:           8
        .value_kind:     global_buffer
      - .actual_access:  read_only
        .address_space:  global
        .offset:         48
        .size:           8
        .value_kind:     global_buffer
      - .actual_access:  read_only
        .address_space:  global
        .offset:         56
        .size:           8
        .value_kind:     global_buffer
      - .offset:         64
        .size:           16
        .value_kind:     by_value
      - .address_space:  global
        .offset:         80
        .size:           8
        .value_kind:     global_buffer
      - .offset:         88
        .size:           4
        .value_kind:     by_value
      - .offset:         92
        .size:           1
        .value_kind:     by_value
      - .offset:         96
        .size:           4
        .value_kind:     hidden_block_count_x
      - .offset:         100
        .size:           4
        .value_kind:     hidden_block_count_y
      - .offset:         104
        .size:           4
        .value_kind:     hidden_block_count_z
      - .offset:         108
        .size:           2
        .value_kind:     hidden_group_size_x
      - .offset:         110
        .size:           2
        .value_kind:     hidden_group_size_y
      - .offset:         112
        .size:           2
        .value_kind:     hidden_group_size_z
      - .offset:         114
        .size:           2
        .value_kind:     hidden_remainder_x
      - .offset:         116
        .size:           2
        .value_kind:     hidden_remainder_y
      - .offset:         118
        .size:           2
        .value_kind:     hidden_remainder_z
      - .offset:         136
        .size:           8
        .value_kind:     hidden_global_offset_x
      - .offset:         144
        .size:           8
        .value_kind:     hidden_global_offset_y
      - .offset:         152
        .size:           8
        .value_kind:     hidden_global_offset_z
      - .offset:         160
        .size:           2
        .value_kind:     hidden_grid_dims
    .group_segment_fixed_size: 0
    .kernarg_segment_align: 8
    .kernarg_segment_size: 352
    .language:       OpenCL C
    .language_version:
      - 2
      - 0
    .max_flat_workgroup_size: 256
    .name:           _ZN9rocsparseL21csrmvn_general_kernelILj256ELj64Eiid21rocsparse_complex_numIdES2_S2_EEvbT2_NS_24const_host_device_scalarIT6_EEPKT1_S9_PKS3_PKT3_PKT4_S6_PT5_21rocsparse_index_base_b
    .private_segment_fixed_size: 0
    .sgpr_count:     23
    .sgpr_spill_count: 0
    .symbol:         _ZN9rocsparseL21csrmvn_general_kernelILj256ELj64Eiid21rocsparse_complex_numIdES2_S2_EEvbT2_NS_24const_host_device_scalarIT6_EEPKT1_S9_PKS3_PKT3_PKT4_S6_PT5_21rocsparse_index_base_b.kd
    .uniform_work_group_size: 1
    .uses_dynamic_stack: false
    .vgpr_count:     36
    .vgpr_spill_count: 0
    .wavefront_size: 32
  - .args:
      - .offset:         0
        .size:           1
        .value_kind:     by_value
      - .offset:         1
        .size:           1
        .value_kind:     by_value
      - .offset:         4
        .size:           4
        .value_kind:     by_value
      - .offset:         8
        .size:           16
        .value_kind:     by_value
      - .address_space:  global
        .offset:         24
        .size:           8
        .value_kind:     global_buffer
      - .address_space:  global
        .offset:         32
        .size:           8
        .value_kind:     global_buffer
      - .actual_access:  read_only
        .address_space:  global
        .offset:         40
        .size:           8
        .value_kind:     global_buffer
      - .actual_access:  read_only
        .address_space:  global
        .offset:         48
        .size:           8
        .value_kind:     global_buffer
      - .actual_access:  read_only
        .address_space:  global
        .offset:         56
        .size:           8
        .value_kind:     global_buffer
      - .address_space:  global
        .offset:         64
        .size:           8
        .value_kind:     global_buffer
      - .offset:         72
        .size:           4
        .value_kind:     by_value
      - .offset:         76
        .size:           1
        .value_kind:     by_value
      - .offset:         80
        .size:           4
        .value_kind:     hidden_block_count_x
      - .offset:         84
        .size:           4
        .value_kind:     hidden_block_count_y
      - .offset:         88
        .size:           4
        .value_kind:     hidden_block_count_z
      - .offset:         92
        .size:           2
        .value_kind:     hidden_group_size_x
      - .offset:         94
        .size:           2
        .value_kind:     hidden_group_size_y
      - .offset:         96
        .size:           2
        .value_kind:     hidden_group_size_z
      - .offset:         98
        .size:           2
        .value_kind:     hidden_remainder_x
      - .offset:         100
        .size:           2
        .value_kind:     hidden_remainder_y
      - .offset:         102
        .size:           2
        .value_kind:     hidden_remainder_z
      - .offset:         120
        .size:           8
        .value_kind:     hidden_global_offset_x
      - .offset:         128
        .size:           8
        .value_kind:     hidden_global_offset_y
      - .offset:         136
        .size:           8
        .value_kind:     hidden_global_offset_z
      - .offset:         144
        .size:           2
        .value_kind:     hidden_grid_dims
    .group_segment_fixed_size: 0
    .kernarg_segment_align: 8
    .kernarg_segment_size: 336
    .language:       OpenCL C
    .language_version:
      - 2
      - 0
    .max_flat_workgroup_size: 256
    .name:           _ZN9rocsparseL21csrmvt_general_kernelILj256ELj4Eiid21rocsparse_complex_numIdES2_S2_EEvbbT2_NS_24const_host_device_scalarIT6_EEPKT1_S9_PKS3_PKT3_PKT4_PT5_21rocsparse_index_base_b
    .private_segment_fixed_size: 0
    .sgpr_count:     22
    .sgpr_spill_count: 0
    .symbol:         _ZN9rocsparseL21csrmvt_general_kernelILj256ELj4Eiid21rocsparse_complex_numIdES2_S2_EEvbbT2_NS_24const_host_device_scalarIT6_EEPKT1_S9_PKS3_PKT3_PKT4_PT5_21rocsparse_index_base_b.kd
    .uniform_work_group_size: 1
    .uses_dynamic_stack: false
    .vgpr_count:     26
    .vgpr_spill_count: 0
    .wavefront_size: 32
  - .args:
      - .offset:         0
        .size:           1
        .value_kind:     by_value
      - .offset:         1
        .size:           1
        .value_kind:     by_value
      - .offset:         4
        .size:           4
        .value_kind:     by_value
      - .offset:         8
        .size:           16
        .value_kind:     by_value
      - .address_space:  global
        .offset:         24
        .size:           8
        .value_kind:     global_buffer
      - .address_space:  global
        .offset:         32
        .size:           8
        .value_kind:     global_buffer
      - .actual_access:  read_only
        .address_space:  global
        .offset:         40
        .size:           8
        .value_kind:     global_buffer
      - .actual_access:  read_only
        .address_space:  global
        .offset:         48
        .size:           8
        .value_kind:     global_buffer
      - .actual_access:  read_only
        .address_space:  global
        .offset:         56
        .size:           8
        .value_kind:     global_buffer
      - .address_space:  global
        .offset:         64
        .size:           8
        .value_kind:     global_buffer
      - .offset:         72
        .size:           4
        .value_kind:     by_value
      - .offset:         76
        .size:           1
        .value_kind:     by_value
      - .offset:         80
        .size:           4
        .value_kind:     hidden_block_count_x
      - .offset:         84
        .size:           4
        .value_kind:     hidden_block_count_y
      - .offset:         88
        .size:           4
        .value_kind:     hidden_block_count_z
      - .offset:         92
        .size:           2
        .value_kind:     hidden_group_size_x
      - .offset:         94
        .size:           2
        .value_kind:     hidden_group_size_y
      - .offset:         96
        .size:           2
        .value_kind:     hidden_group_size_z
      - .offset:         98
        .size:           2
        .value_kind:     hidden_remainder_x
      - .offset:         100
        .size:           2
        .value_kind:     hidden_remainder_y
      - .offset:         102
        .size:           2
        .value_kind:     hidden_remainder_z
      - .offset:         120
        .size:           8
        .value_kind:     hidden_global_offset_x
      - .offset:         128
        .size:           8
        .value_kind:     hidden_global_offset_y
      - .offset:         136
        .size:           8
        .value_kind:     hidden_global_offset_z
      - .offset:         144
        .size:           2
        .value_kind:     hidden_grid_dims
    .group_segment_fixed_size: 0
    .kernarg_segment_align: 8
    .kernarg_segment_size: 336
    .language:       OpenCL C
    .language_version:
      - 2
      - 0
    .max_flat_workgroup_size: 256
    .name:           _ZN9rocsparseL21csrmvt_general_kernelILj256ELj8Eiid21rocsparse_complex_numIdES2_S2_EEvbbT2_NS_24const_host_device_scalarIT6_EEPKT1_S9_PKS3_PKT3_PKT4_PT5_21rocsparse_index_base_b
    .private_segment_fixed_size: 0
    .sgpr_count:     22
    .sgpr_spill_count: 0
    .symbol:         _ZN9rocsparseL21csrmvt_general_kernelILj256ELj8Eiid21rocsparse_complex_numIdES2_S2_EEvbbT2_NS_24const_host_device_scalarIT6_EEPKT1_S9_PKS3_PKT3_PKT4_PT5_21rocsparse_index_base_b.kd
    .uniform_work_group_size: 1
    .uses_dynamic_stack: false
    .vgpr_count:     26
    .vgpr_spill_count: 0
    .wavefront_size: 32
  - .args:
      - .offset:         0
        .size:           1
        .value_kind:     by_value
      - .offset:         1
        .size:           1
        .value_kind:     by_value
      - .offset:         4
        .size:           4
        .value_kind:     by_value
      - .offset:         8
        .size:           16
        .value_kind:     by_value
      - .address_space:  global
        .offset:         24
        .size:           8
        .value_kind:     global_buffer
      - .address_space:  global
        .offset:         32
        .size:           8
        .value_kind:     global_buffer
      - .actual_access:  read_only
        .address_space:  global
        .offset:         40
        .size:           8
        .value_kind:     global_buffer
      - .actual_access:  read_only
        .address_space:  global
        .offset:         48
        .size:           8
        .value_kind:     global_buffer
      - .actual_access:  read_only
        .address_space:  global
        .offset:         56
        .size:           8
        .value_kind:     global_buffer
      - .address_space:  global
        .offset:         64
        .size:           8
        .value_kind:     global_buffer
      - .offset:         72
        .size:           4
        .value_kind:     by_value
      - .offset:         76
        .size:           1
        .value_kind:     by_value
      - .offset:         80
        .size:           4
        .value_kind:     hidden_block_count_x
      - .offset:         84
        .size:           4
        .value_kind:     hidden_block_count_y
      - .offset:         88
        .size:           4
        .value_kind:     hidden_block_count_z
      - .offset:         92
        .size:           2
        .value_kind:     hidden_group_size_x
      - .offset:         94
        .size:           2
        .value_kind:     hidden_group_size_y
      - .offset:         96
        .size:           2
        .value_kind:     hidden_group_size_z
      - .offset:         98
        .size:           2
        .value_kind:     hidden_remainder_x
      - .offset:         100
        .size:           2
        .value_kind:     hidden_remainder_y
      - .offset:         102
        .size:           2
        .value_kind:     hidden_remainder_z
      - .offset:         120
        .size:           8
        .value_kind:     hidden_global_offset_x
      - .offset:         128
        .size:           8
        .value_kind:     hidden_global_offset_y
      - .offset:         136
        .size:           8
        .value_kind:     hidden_global_offset_z
      - .offset:         144
        .size:           2
        .value_kind:     hidden_grid_dims
    .group_segment_fixed_size: 0
    .kernarg_segment_align: 8
    .kernarg_segment_size: 336
    .language:       OpenCL C
    .language_version:
      - 2
      - 0
    .max_flat_workgroup_size: 256
    .name:           _ZN9rocsparseL21csrmvt_general_kernelILj256ELj16Eiid21rocsparse_complex_numIdES2_S2_EEvbbT2_NS_24const_host_device_scalarIT6_EEPKT1_S9_PKS3_PKT3_PKT4_PT5_21rocsparse_index_base_b
    .private_segment_fixed_size: 0
    .sgpr_count:     22
    .sgpr_spill_count: 0
    .symbol:         _ZN9rocsparseL21csrmvt_general_kernelILj256ELj16Eiid21rocsparse_complex_numIdES2_S2_EEvbbT2_NS_24const_host_device_scalarIT6_EEPKT1_S9_PKS3_PKT3_PKT4_PT5_21rocsparse_index_base_b.kd
    .uniform_work_group_size: 1
    .uses_dynamic_stack: false
    .vgpr_count:     26
    .vgpr_spill_count: 0
    .wavefront_size: 32
  - .args:
      - .offset:         0
        .size:           1
        .value_kind:     by_value
      - .offset:         1
        .size:           1
        .value_kind:     by_value
      - .offset:         4
        .size:           4
        .value_kind:     by_value
      - .offset:         8
        .size:           16
        .value_kind:     by_value
      - .address_space:  global
        .offset:         24
        .size:           8
        .value_kind:     global_buffer
      - .address_space:  global
        .offset:         32
        .size:           8
        .value_kind:     global_buffer
      - .actual_access:  read_only
        .address_space:  global
        .offset:         40
        .size:           8
        .value_kind:     global_buffer
      - .actual_access:  read_only
        .address_space:  global
        .offset:         48
        .size:           8
        .value_kind:     global_buffer
      - .actual_access:  read_only
        .address_space:  global
        .offset:         56
        .size:           8
        .value_kind:     global_buffer
      - .address_space:  global
        .offset:         64
        .size:           8
        .value_kind:     global_buffer
      - .offset:         72
        .size:           4
        .value_kind:     by_value
      - .offset:         76
        .size:           1
        .value_kind:     by_value
      - .offset:         80
        .size:           4
        .value_kind:     hidden_block_count_x
      - .offset:         84
        .size:           4
        .value_kind:     hidden_block_count_y
      - .offset:         88
        .size:           4
        .value_kind:     hidden_block_count_z
      - .offset:         92
        .size:           2
        .value_kind:     hidden_group_size_x
      - .offset:         94
        .size:           2
        .value_kind:     hidden_group_size_y
      - .offset:         96
        .size:           2
        .value_kind:     hidden_group_size_z
      - .offset:         98
        .size:           2
        .value_kind:     hidden_remainder_x
      - .offset:         100
        .size:           2
        .value_kind:     hidden_remainder_y
      - .offset:         102
        .size:           2
        .value_kind:     hidden_remainder_z
      - .offset:         120
        .size:           8
        .value_kind:     hidden_global_offset_x
      - .offset:         128
        .size:           8
        .value_kind:     hidden_global_offset_y
      - .offset:         136
        .size:           8
        .value_kind:     hidden_global_offset_z
      - .offset:         144
        .size:           2
        .value_kind:     hidden_grid_dims
    .group_segment_fixed_size: 0
    .kernarg_segment_align: 8
    .kernarg_segment_size: 336
    .language:       OpenCL C
    .language_version:
      - 2
      - 0
    .max_flat_workgroup_size: 256
    .name:           _ZN9rocsparseL21csrmvt_general_kernelILj256ELj32Eiid21rocsparse_complex_numIdES2_S2_EEvbbT2_NS_24const_host_device_scalarIT6_EEPKT1_S9_PKS3_PKT3_PKT4_PT5_21rocsparse_index_base_b
    .private_segment_fixed_size: 0
    .sgpr_count:     22
    .sgpr_spill_count: 0
    .symbol:         _ZN9rocsparseL21csrmvt_general_kernelILj256ELj32Eiid21rocsparse_complex_numIdES2_S2_EEvbbT2_NS_24const_host_device_scalarIT6_EEPKT1_S9_PKS3_PKT3_PKT4_PT5_21rocsparse_index_base_b.kd
    .uniform_work_group_size: 1
    .uses_dynamic_stack: false
    .vgpr_count:     26
    .vgpr_spill_count: 0
    .wavefront_size: 32
  - .args:
      - .offset:         0
        .size:           1
        .value_kind:     by_value
      - .offset:         1
        .size:           1
        .value_kind:     by_value
      - .offset:         4
        .size:           4
        .value_kind:     by_value
      - .offset:         8
        .size:           16
        .value_kind:     by_value
      - .address_space:  global
        .offset:         24
        .size:           8
        .value_kind:     global_buffer
      - .address_space:  global
        .offset:         32
        .size:           8
        .value_kind:     global_buffer
      - .actual_access:  read_only
        .address_space:  global
        .offset:         40
        .size:           8
        .value_kind:     global_buffer
      - .actual_access:  read_only
        .address_space:  global
        .offset:         48
        .size:           8
        .value_kind:     global_buffer
      - .actual_access:  read_only
        .address_space:  global
        .offset:         56
        .size:           8
        .value_kind:     global_buffer
      - .address_space:  global
        .offset:         64
        .size:           8
        .value_kind:     global_buffer
      - .offset:         72
        .size:           4
        .value_kind:     by_value
      - .offset:         76
        .size:           1
        .value_kind:     by_value
      - .offset:         80
        .size:           4
        .value_kind:     hidden_block_count_x
      - .offset:         84
        .size:           4
        .value_kind:     hidden_block_count_y
      - .offset:         88
        .size:           4
        .value_kind:     hidden_block_count_z
      - .offset:         92
        .size:           2
        .value_kind:     hidden_group_size_x
      - .offset:         94
        .size:           2
        .value_kind:     hidden_group_size_y
      - .offset:         96
        .size:           2
        .value_kind:     hidden_group_size_z
      - .offset:         98
        .size:           2
        .value_kind:     hidden_remainder_x
      - .offset:         100
        .size:           2
        .value_kind:     hidden_remainder_y
      - .offset:         102
        .size:           2
        .value_kind:     hidden_remainder_z
      - .offset:         120
        .size:           8
        .value_kind:     hidden_global_offset_x
      - .offset:         128
        .size:           8
        .value_kind:     hidden_global_offset_y
      - .offset:         136
        .size:           8
        .value_kind:     hidden_global_offset_z
      - .offset:         144
        .size:           2
        .value_kind:     hidden_grid_dims
    .group_segment_fixed_size: 0
    .kernarg_segment_align: 8
    .kernarg_segment_size: 336
    .language:       OpenCL C
    .language_version:
      - 2
      - 0
    .max_flat_workgroup_size: 256
    .name:           _ZN9rocsparseL21csrmvt_general_kernelILj256ELj64Eiid21rocsparse_complex_numIdES2_S2_EEvbbT2_NS_24const_host_device_scalarIT6_EEPKT1_S9_PKS3_PKT3_PKT4_PT5_21rocsparse_index_base_b
    .private_segment_fixed_size: 0
    .sgpr_count:     22
    .sgpr_spill_count: 0
    .symbol:         _ZN9rocsparseL21csrmvt_general_kernelILj256ELj64Eiid21rocsparse_complex_numIdES2_S2_EEvbbT2_NS_24const_host_device_scalarIT6_EEPKT1_S9_PKS3_PKT3_PKT4_PT5_21rocsparse_index_base_b.kd
    .uniform_work_group_size: 1
    .uses_dynamic_stack: false
    .vgpr_count:     26
    .vgpr_spill_count: 0
    .wavefront_size: 32
  - .args:
      - .offset:         0
        .size:           1
        .value_kind:     by_value
      - .offset:         4
        .size:           4
        .value_kind:     by_value
      - .offset:         8
        .size:           16
        .value_kind:     by_value
      - .address_space:  global
        .offset:         24
        .size:           8
        .value_kind:     global_buffer
      - .address_space:  global
        .offset:         32
        .size:           8
        .value_kind:     global_buffer
      - .actual_access:  read_only
        .address_space:  global
        .offset:         40
        .size:           8
        .value_kind:     global_buffer
      - .actual_access:  read_only
        .address_space:  global
        .offset:         48
        .size:           8
        .value_kind:     global_buffer
      - .actual_access:  read_only
        .address_space:  global
        .offset:         56
        .size:           8
        .value_kind:     global_buffer
      - .offset:         64
        .size:           16
        .value_kind:     by_value
      - .address_space:  global
        .offset:         80
        .size:           8
        .value_kind:     global_buffer
      - .offset:         88
        .size:           4
        .value_kind:     by_value
      - .offset:         92
        .size:           1
        .value_kind:     by_value
      - .offset:         96
        .size:           4
        .value_kind:     hidden_block_count_x
      - .offset:         100
        .size:           4
        .value_kind:     hidden_block_count_y
      - .offset:         104
        .size:           4
        .value_kind:     hidden_block_count_z
      - .offset:         108
        .size:           2
        .value_kind:     hidden_group_size_x
      - .offset:         110
        .size:           2
        .value_kind:     hidden_group_size_y
      - .offset:         112
        .size:           2
        .value_kind:     hidden_group_size_z
      - .offset:         114
        .size:           2
        .value_kind:     hidden_remainder_x
      - .offset:         116
        .size:           2
        .value_kind:     hidden_remainder_y
      - .offset:         118
        .size:           2
        .value_kind:     hidden_remainder_z
      - .offset:         136
        .size:           8
        .value_kind:     hidden_global_offset_x
      - .offset:         144
        .size:           8
        .value_kind:     hidden_global_offset_y
      - .offset:         152
        .size:           8
        .value_kind:     hidden_global_offset_z
      - .offset:         160
        .size:           2
        .value_kind:     hidden_grid_dims
    .group_segment_fixed_size: 0
    .kernarg_segment_align: 8
    .kernarg_segment_size: 352
    .language:       OpenCL C
    .language_version:
      - 2
      - 0
    .max_flat_workgroup_size: 256
    .name:           _ZN9rocsparseL21csrmvn_general_kernelILj256ELj2Elid21rocsparse_complex_numIdES2_S2_EEvbT2_NS_24const_host_device_scalarIT6_EEPKT1_S9_PKS3_PKT3_PKT4_S6_PT5_21rocsparse_index_base_b
    .private_segment_fixed_size: 0
    .sgpr_count:     24
    .sgpr_spill_count: 0
    .symbol:         _ZN9rocsparseL21csrmvn_general_kernelILj256ELj2Elid21rocsparse_complex_numIdES2_S2_EEvbT2_NS_24const_host_device_scalarIT6_EEPKT1_S9_PKS3_PKT3_PKT4_S6_PT5_21rocsparse_index_base_b.kd
    .uniform_work_group_size: 1
    .uses_dynamic_stack: false
    .vgpr_count:     38
    .vgpr_spill_count: 0
    .wavefront_size: 32
  - .args:
      - .offset:         0
        .size:           1
        .value_kind:     by_value
      - .offset:         4
        .size:           4
        .value_kind:     by_value
      - .offset:         8
        .size:           16
        .value_kind:     by_value
      - .address_space:  global
        .offset:         24
        .size:           8
        .value_kind:     global_buffer
      - .address_space:  global
        .offset:         32
        .size:           8
        .value_kind:     global_buffer
      - .actual_access:  read_only
        .address_space:  global
        .offset:         40
        .size:           8
        .value_kind:     global_buffer
      - .actual_access:  read_only
        .address_space:  global
        .offset:         48
        .size:           8
        .value_kind:     global_buffer
      - .actual_access:  read_only
        .address_space:  global
        .offset:         56
        .size:           8
        .value_kind:     global_buffer
      - .offset:         64
        .size:           16
        .value_kind:     by_value
      - .address_space:  global
        .offset:         80
        .size:           8
        .value_kind:     global_buffer
      - .offset:         88
        .size:           4
        .value_kind:     by_value
      - .offset:         92
        .size:           1
        .value_kind:     by_value
      - .offset:         96
        .size:           4
        .value_kind:     hidden_block_count_x
      - .offset:         100
        .size:           4
        .value_kind:     hidden_block_count_y
      - .offset:         104
        .size:           4
        .value_kind:     hidden_block_count_z
      - .offset:         108
        .size:           2
        .value_kind:     hidden_group_size_x
      - .offset:         110
        .size:           2
        .value_kind:     hidden_group_size_y
      - .offset:         112
        .size:           2
        .value_kind:     hidden_group_size_z
      - .offset:         114
        .size:           2
        .value_kind:     hidden_remainder_x
      - .offset:         116
        .size:           2
        .value_kind:     hidden_remainder_y
      - .offset:         118
        .size:           2
        .value_kind:     hidden_remainder_z
      - .offset:         136
        .size:           8
        .value_kind:     hidden_global_offset_x
      - .offset:         144
        .size:           8
        .value_kind:     hidden_global_offset_y
      - .offset:         152
        .size:           8
        .value_kind:     hidden_global_offset_z
      - .offset:         160
        .size:           2
        .value_kind:     hidden_grid_dims
    .group_segment_fixed_size: 0
    .kernarg_segment_align: 8
    .kernarg_segment_size: 352
    .language:       OpenCL C
    .language_version:
      - 2
      - 0
    .max_flat_workgroup_size: 256
    .name:           _ZN9rocsparseL21csrmvn_general_kernelILj256ELj4Elid21rocsparse_complex_numIdES2_S2_EEvbT2_NS_24const_host_device_scalarIT6_EEPKT1_S9_PKS3_PKT3_PKT4_S6_PT5_21rocsparse_index_base_b
    .private_segment_fixed_size: 0
    .sgpr_count:     24
    .sgpr_spill_count: 0
    .symbol:         _ZN9rocsparseL21csrmvn_general_kernelILj256ELj4Elid21rocsparse_complex_numIdES2_S2_EEvbT2_NS_24const_host_device_scalarIT6_EEPKT1_S9_PKS3_PKT3_PKT4_S6_PT5_21rocsparse_index_base_b.kd
    .uniform_work_group_size: 1
    .uses_dynamic_stack: false
    .vgpr_count:     38
    .vgpr_spill_count: 0
    .wavefront_size: 32
  - .args:
      - .offset:         0
        .size:           1
        .value_kind:     by_value
      - .offset:         4
        .size:           4
        .value_kind:     by_value
      - .offset:         8
        .size:           16
        .value_kind:     by_value
      - .address_space:  global
        .offset:         24
        .size:           8
        .value_kind:     global_buffer
      - .address_space:  global
        .offset:         32
        .size:           8
        .value_kind:     global_buffer
      - .actual_access:  read_only
        .address_space:  global
        .offset:         40
        .size:           8
        .value_kind:     global_buffer
      - .actual_access:  read_only
        .address_space:  global
        .offset:         48
        .size:           8
        .value_kind:     global_buffer
      - .actual_access:  read_only
        .address_space:  global
        .offset:         56
        .size:           8
        .value_kind:     global_buffer
      - .offset:         64
        .size:           16
        .value_kind:     by_value
      - .address_space:  global
        .offset:         80
        .size:           8
        .value_kind:     global_buffer
      - .offset:         88
        .size:           4
        .value_kind:     by_value
      - .offset:         92
        .size:           1
        .value_kind:     by_value
      - .offset:         96
        .size:           4
        .value_kind:     hidden_block_count_x
      - .offset:         100
        .size:           4
        .value_kind:     hidden_block_count_y
      - .offset:         104
        .size:           4
        .value_kind:     hidden_block_count_z
      - .offset:         108
        .size:           2
        .value_kind:     hidden_group_size_x
      - .offset:         110
        .size:           2
        .value_kind:     hidden_group_size_y
      - .offset:         112
        .size:           2
        .value_kind:     hidden_group_size_z
      - .offset:         114
        .size:           2
        .value_kind:     hidden_remainder_x
      - .offset:         116
        .size:           2
        .value_kind:     hidden_remainder_y
      - .offset:         118
        .size:           2
        .value_kind:     hidden_remainder_z
      - .offset:         136
        .size:           8
        .value_kind:     hidden_global_offset_x
      - .offset:         144
        .size:           8
        .value_kind:     hidden_global_offset_y
      - .offset:         152
        .size:           8
        .value_kind:     hidden_global_offset_z
      - .offset:         160
        .size:           2
        .value_kind:     hidden_grid_dims
    .group_segment_fixed_size: 0
    .kernarg_segment_align: 8
    .kernarg_segment_size: 352
    .language:       OpenCL C
    .language_version:
      - 2
      - 0
    .max_flat_workgroup_size: 256
    .name:           _ZN9rocsparseL21csrmvn_general_kernelILj256ELj8Elid21rocsparse_complex_numIdES2_S2_EEvbT2_NS_24const_host_device_scalarIT6_EEPKT1_S9_PKS3_PKT3_PKT4_S6_PT5_21rocsparse_index_base_b
    .private_segment_fixed_size: 0
    .sgpr_count:     24
    .sgpr_spill_count: 0
    .symbol:         _ZN9rocsparseL21csrmvn_general_kernelILj256ELj8Elid21rocsparse_complex_numIdES2_S2_EEvbT2_NS_24const_host_device_scalarIT6_EEPKT1_S9_PKS3_PKT3_PKT4_S6_PT5_21rocsparse_index_base_b.kd
    .uniform_work_group_size: 1
    .uses_dynamic_stack: false
    .vgpr_count:     40
    .vgpr_spill_count: 0
    .wavefront_size: 32
  - .args:
      - .offset:         0
        .size:           1
        .value_kind:     by_value
      - .offset:         4
        .size:           4
        .value_kind:     by_value
      - .offset:         8
        .size:           16
        .value_kind:     by_value
      - .address_space:  global
        .offset:         24
        .size:           8
        .value_kind:     global_buffer
      - .address_space:  global
        .offset:         32
        .size:           8
        .value_kind:     global_buffer
      - .actual_access:  read_only
        .address_space:  global
        .offset:         40
        .size:           8
        .value_kind:     global_buffer
      - .actual_access:  read_only
        .address_space:  global
        .offset:         48
        .size:           8
        .value_kind:     global_buffer
      - .actual_access:  read_only
        .address_space:  global
        .offset:         56
        .size:           8
        .value_kind:     global_buffer
      - .offset:         64
        .size:           16
        .value_kind:     by_value
      - .address_space:  global
        .offset:         80
        .size:           8
        .value_kind:     global_buffer
      - .offset:         88
        .size:           4
        .value_kind:     by_value
      - .offset:         92
        .size:           1
        .value_kind:     by_value
      - .offset:         96
        .size:           4
        .value_kind:     hidden_block_count_x
      - .offset:         100
        .size:           4
        .value_kind:     hidden_block_count_y
      - .offset:         104
        .size:           4
        .value_kind:     hidden_block_count_z
      - .offset:         108
        .size:           2
        .value_kind:     hidden_group_size_x
      - .offset:         110
        .size:           2
        .value_kind:     hidden_group_size_y
      - .offset:         112
        .size:           2
        .value_kind:     hidden_group_size_z
      - .offset:         114
        .size:           2
        .value_kind:     hidden_remainder_x
      - .offset:         116
        .size:           2
        .value_kind:     hidden_remainder_y
      - .offset:         118
        .size:           2
        .value_kind:     hidden_remainder_z
      - .offset:         136
        .size:           8
        .value_kind:     hidden_global_offset_x
      - .offset:         144
        .size:           8
        .value_kind:     hidden_global_offset_y
      - .offset:         152
        .size:           8
        .value_kind:     hidden_global_offset_z
      - .offset:         160
        .size:           2
        .value_kind:     hidden_grid_dims
    .group_segment_fixed_size: 0
    .kernarg_segment_align: 8
    .kernarg_segment_size: 352
    .language:       OpenCL C
    .language_version:
      - 2
      - 0
    .max_flat_workgroup_size: 256
    .name:           _ZN9rocsparseL21csrmvn_general_kernelILj256ELj16Elid21rocsparse_complex_numIdES2_S2_EEvbT2_NS_24const_host_device_scalarIT6_EEPKT1_S9_PKS3_PKT3_PKT4_S6_PT5_21rocsparse_index_base_b
    .private_segment_fixed_size: 0
    .sgpr_count:     24
    .sgpr_spill_count: 0
    .symbol:         _ZN9rocsparseL21csrmvn_general_kernelILj256ELj16Elid21rocsparse_complex_numIdES2_S2_EEvbT2_NS_24const_host_device_scalarIT6_EEPKT1_S9_PKS3_PKT3_PKT4_S6_PT5_21rocsparse_index_base_b.kd
    .uniform_work_group_size: 1
    .uses_dynamic_stack: false
    .vgpr_count:     40
    .vgpr_spill_count: 0
    .wavefront_size: 32
  - .args:
      - .offset:         0
        .size:           1
        .value_kind:     by_value
      - .offset:         4
        .size:           4
        .value_kind:     by_value
      - .offset:         8
        .size:           16
        .value_kind:     by_value
      - .address_space:  global
        .offset:         24
        .size:           8
        .value_kind:     global_buffer
      - .address_space:  global
        .offset:         32
        .size:           8
        .value_kind:     global_buffer
      - .actual_access:  read_only
        .address_space:  global
        .offset:         40
        .size:           8
        .value_kind:     global_buffer
      - .actual_access:  read_only
        .address_space:  global
        .offset:         48
        .size:           8
        .value_kind:     global_buffer
      - .actual_access:  read_only
        .address_space:  global
        .offset:         56
        .size:           8
        .value_kind:     global_buffer
      - .offset:         64
        .size:           16
        .value_kind:     by_value
      - .address_space:  global
        .offset:         80
        .size:           8
        .value_kind:     global_buffer
      - .offset:         88
        .size:           4
        .value_kind:     by_value
      - .offset:         92
        .size:           1
        .value_kind:     by_value
      - .offset:         96
        .size:           4
        .value_kind:     hidden_block_count_x
      - .offset:         100
        .size:           4
        .value_kind:     hidden_block_count_y
      - .offset:         104
        .size:           4
        .value_kind:     hidden_block_count_z
      - .offset:         108
        .size:           2
        .value_kind:     hidden_group_size_x
      - .offset:         110
        .size:           2
        .value_kind:     hidden_group_size_y
      - .offset:         112
        .size:           2
        .value_kind:     hidden_group_size_z
      - .offset:         114
        .size:           2
        .value_kind:     hidden_remainder_x
      - .offset:         116
        .size:           2
        .value_kind:     hidden_remainder_y
      - .offset:         118
        .size:           2
        .value_kind:     hidden_remainder_z
      - .offset:         136
        .size:           8
        .value_kind:     hidden_global_offset_x
      - .offset:         144
        .size:           8
        .value_kind:     hidden_global_offset_y
      - .offset:         152
        .size:           8
        .value_kind:     hidden_global_offset_z
      - .offset:         160
        .size:           2
        .value_kind:     hidden_grid_dims
    .group_segment_fixed_size: 0
    .kernarg_segment_align: 8
    .kernarg_segment_size: 352
    .language:       OpenCL C
    .language_version:
      - 2
      - 0
    .max_flat_workgroup_size: 256
    .name:           _ZN9rocsparseL21csrmvn_general_kernelILj256ELj32Elid21rocsparse_complex_numIdES2_S2_EEvbT2_NS_24const_host_device_scalarIT6_EEPKT1_S9_PKS3_PKT3_PKT4_S6_PT5_21rocsparse_index_base_b
    .private_segment_fixed_size: 0
    .sgpr_count:     23
    .sgpr_spill_count: 0
    .symbol:         _ZN9rocsparseL21csrmvn_general_kernelILj256ELj32Elid21rocsparse_complex_numIdES2_S2_EEvbT2_NS_24const_host_device_scalarIT6_EEPKT1_S9_PKS3_PKT3_PKT4_S6_PT5_21rocsparse_index_base_b.kd
    .uniform_work_group_size: 1
    .uses_dynamic_stack: false
    .vgpr_count:     42
    .vgpr_spill_count: 0
    .wavefront_size: 32
  - .args:
      - .offset:         0
        .size:           1
        .value_kind:     by_value
      - .offset:         4
        .size:           4
        .value_kind:     by_value
      - .offset:         8
        .size:           16
        .value_kind:     by_value
      - .address_space:  global
        .offset:         24
        .size:           8
        .value_kind:     global_buffer
      - .address_space:  global
        .offset:         32
        .size:           8
        .value_kind:     global_buffer
      - .actual_access:  read_only
        .address_space:  global
        .offset:         40
        .size:           8
        .value_kind:     global_buffer
      - .actual_access:  read_only
        .address_space:  global
        .offset:         48
        .size:           8
        .value_kind:     global_buffer
      - .actual_access:  read_only
        .address_space:  global
        .offset:         56
        .size:           8
        .value_kind:     global_buffer
      - .offset:         64
        .size:           16
        .value_kind:     by_value
      - .address_space:  global
        .offset:         80
        .size:           8
        .value_kind:     global_buffer
      - .offset:         88
        .size:           4
        .value_kind:     by_value
      - .offset:         92
        .size:           1
        .value_kind:     by_value
      - .offset:         96
        .size:           4
        .value_kind:     hidden_block_count_x
      - .offset:         100
        .size:           4
        .value_kind:     hidden_block_count_y
      - .offset:         104
        .size:           4
        .value_kind:     hidden_block_count_z
      - .offset:         108
        .size:           2
        .value_kind:     hidden_group_size_x
      - .offset:         110
        .size:           2
        .value_kind:     hidden_group_size_y
      - .offset:         112
        .size:           2
        .value_kind:     hidden_group_size_z
      - .offset:         114
        .size:           2
        .value_kind:     hidden_remainder_x
      - .offset:         116
        .size:           2
        .value_kind:     hidden_remainder_y
      - .offset:         118
        .size:           2
        .value_kind:     hidden_remainder_z
      - .offset:         136
        .size:           8
        .value_kind:     hidden_global_offset_x
      - .offset:         144
        .size:           8
        .value_kind:     hidden_global_offset_y
      - .offset:         152
        .size:           8
        .value_kind:     hidden_global_offset_z
      - .offset:         160
        .size:           2
        .value_kind:     hidden_grid_dims
    .group_segment_fixed_size: 0
    .kernarg_segment_align: 8
    .kernarg_segment_size: 352
    .language:       OpenCL C
    .language_version:
      - 2
      - 0
    .max_flat_workgroup_size: 256
    .name:           _ZN9rocsparseL21csrmvn_general_kernelILj256ELj64Elid21rocsparse_complex_numIdES2_S2_EEvbT2_NS_24const_host_device_scalarIT6_EEPKT1_S9_PKS3_PKT3_PKT4_S6_PT5_21rocsparse_index_base_b
    .private_segment_fixed_size: 0
    .sgpr_count:     24
    .sgpr_spill_count: 0
    .symbol:         _ZN9rocsparseL21csrmvn_general_kernelILj256ELj64Elid21rocsparse_complex_numIdES2_S2_EEvbT2_NS_24const_host_device_scalarIT6_EEPKT1_S9_PKS3_PKT3_PKT4_S6_PT5_21rocsparse_index_base_b.kd
    .uniform_work_group_size: 1
    .uses_dynamic_stack: false
    .vgpr_count:     42
    .vgpr_spill_count: 0
    .wavefront_size: 32
  - .args:
      - .offset:         0
        .size:           1
        .value_kind:     by_value
      - .offset:         1
        .size:           1
        .value_kind:     by_value
      - .offset:         4
        .size:           4
        .value_kind:     by_value
      - .offset:         8
        .size:           16
        .value_kind:     by_value
      - .address_space:  global
        .offset:         24
        .size:           8
        .value_kind:     global_buffer
      - .address_space:  global
        .offset:         32
        .size:           8
        .value_kind:     global_buffer
      - .actual_access:  read_only
        .address_space:  global
        .offset:         40
        .size:           8
        .value_kind:     global_buffer
      - .actual_access:  read_only
        .address_space:  global
        .offset:         48
        .size:           8
        .value_kind:     global_buffer
      - .actual_access:  read_only
        .address_space:  global
        .offset:         56
        .size:           8
        .value_kind:     global_buffer
      - .address_space:  global
        .offset:         64
        .size:           8
        .value_kind:     global_buffer
      - .offset:         72
        .size:           4
        .value_kind:     by_value
      - .offset:         76
        .size:           1
        .value_kind:     by_value
      - .offset:         80
        .size:           4
        .value_kind:     hidden_block_count_x
      - .offset:         84
        .size:           4
        .value_kind:     hidden_block_count_y
      - .offset:         88
        .size:           4
        .value_kind:     hidden_block_count_z
      - .offset:         92
        .size:           2
        .value_kind:     hidden_group_size_x
      - .offset:         94
        .size:           2
        .value_kind:     hidden_group_size_y
      - .offset:         96
        .size:           2
        .value_kind:     hidden_group_size_z
      - .offset:         98
        .size:           2
        .value_kind:     hidden_remainder_x
      - .offset:         100
        .size:           2
        .value_kind:     hidden_remainder_y
      - .offset:         102
        .size:           2
        .value_kind:     hidden_remainder_z
      - .offset:         120
        .size:           8
        .value_kind:     hidden_global_offset_x
      - .offset:         128
        .size:           8
        .value_kind:     hidden_global_offset_y
      - .offset:         136
        .size:           8
        .value_kind:     hidden_global_offset_z
      - .offset:         144
        .size:           2
        .value_kind:     hidden_grid_dims
    .group_segment_fixed_size: 0
    .kernarg_segment_align: 8
    .kernarg_segment_size: 336
    .language:       OpenCL C
    .language_version:
      - 2
      - 0
    .max_flat_workgroup_size: 256
    .name:           _ZN9rocsparseL21csrmvt_general_kernelILj256ELj4Elid21rocsparse_complex_numIdES2_S2_EEvbbT2_NS_24const_host_device_scalarIT6_EEPKT1_S9_PKS3_PKT3_PKT4_PT5_21rocsparse_index_base_b
    .private_segment_fixed_size: 0
    .sgpr_count:     23
    .sgpr_spill_count: 0
    .symbol:         _ZN9rocsparseL21csrmvt_general_kernelILj256ELj4Elid21rocsparse_complex_numIdES2_S2_EEvbbT2_NS_24const_host_device_scalarIT6_EEPKT1_S9_PKS3_PKT3_PKT4_PT5_21rocsparse_index_base_b.kd
    .uniform_work_group_size: 1
    .uses_dynamic_stack: false
    .vgpr_count:     34
    .vgpr_spill_count: 0
    .wavefront_size: 32
  - .args:
      - .offset:         0
        .size:           1
        .value_kind:     by_value
      - .offset:         1
        .size:           1
        .value_kind:     by_value
      - .offset:         4
        .size:           4
        .value_kind:     by_value
      - .offset:         8
        .size:           16
        .value_kind:     by_value
      - .address_space:  global
        .offset:         24
        .size:           8
        .value_kind:     global_buffer
      - .address_space:  global
        .offset:         32
        .size:           8
        .value_kind:     global_buffer
      - .actual_access:  read_only
        .address_space:  global
        .offset:         40
        .size:           8
        .value_kind:     global_buffer
      - .actual_access:  read_only
        .address_space:  global
        .offset:         48
        .size:           8
        .value_kind:     global_buffer
      - .actual_access:  read_only
        .address_space:  global
        .offset:         56
        .size:           8
        .value_kind:     global_buffer
      - .address_space:  global
        .offset:         64
        .size:           8
        .value_kind:     global_buffer
      - .offset:         72
        .size:           4
        .value_kind:     by_value
      - .offset:         76
        .size:           1
        .value_kind:     by_value
      - .offset:         80
        .size:           4
        .value_kind:     hidden_block_count_x
      - .offset:         84
        .size:           4
        .value_kind:     hidden_block_count_y
      - .offset:         88
        .size:           4
        .value_kind:     hidden_block_count_z
      - .offset:         92
        .size:           2
        .value_kind:     hidden_group_size_x
      - .offset:         94
        .size:           2
        .value_kind:     hidden_group_size_y
      - .offset:         96
        .size:           2
        .value_kind:     hidden_group_size_z
      - .offset:         98
        .size:           2
        .value_kind:     hidden_remainder_x
      - .offset:         100
        .size:           2
        .value_kind:     hidden_remainder_y
      - .offset:         102
        .size:           2
        .value_kind:     hidden_remainder_z
      - .offset:         120
        .size:           8
        .value_kind:     hidden_global_offset_x
      - .offset:         128
        .size:           8
        .value_kind:     hidden_global_offset_y
      - .offset:         136
        .size:           8
        .value_kind:     hidden_global_offset_z
      - .offset:         144
        .size:           2
        .value_kind:     hidden_grid_dims
    .group_segment_fixed_size: 0
    .kernarg_segment_align: 8
    .kernarg_segment_size: 336
    .language:       OpenCL C
    .language_version:
      - 2
      - 0
    .max_flat_workgroup_size: 256
    .name:           _ZN9rocsparseL21csrmvt_general_kernelILj256ELj8Elid21rocsparse_complex_numIdES2_S2_EEvbbT2_NS_24const_host_device_scalarIT6_EEPKT1_S9_PKS3_PKT3_PKT4_PT5_21rocsparse_index_base_b
    .private_segment_fixed_size: 0
    .sgpr_count:     23
    .sgpr_spill_count: 0
    .symbol:         _ZN9rocsparseL21csrmvt_general_kernelILj256ELj8Elid21rocsparse_complex_numIdES2_S2_EEvbbT2_NS_24const_host_device_scalarIT6_EEPKT1_S9_PKS3_PKT3_PKT4_PT5_21rocsparse_index_base_b.kd
    .uniform_work_group_size: 1
    .uses_dynamic_stack: false
    .vgpr_count:     34
    .vgpr_spill_count: 0
    .wavefront_size: 32
  - .args:
      - .offset:         0
        .size:           1
        .value_kind:     by_value
      - .offset:         1
        .size:           1
        .value_kind:     by_value
      - .offset:         4
        .size:           4
        .value_kind:     by_value
      - .offset:         8
        .size:           16
        .value_kind:     by_value
      - .address_space:  global
        .offset:         24
        .size:           8
        .value_kind:     global_buffer
      - .address_space:  global
        .offset:         32
        .size:           8
        .value_kind:     global_buffer
      - .actual_access:  read_only
        .address_space:  global
        .offset:         40
        .size:           8
        .value_kind:     global_buffer
      - .actual_access:  read_only
        .address_space:  global
        .offset:         48
        .size:           8
        .value_kind:     global_buffer
      - .actual_access:  read_only
        .address_space:  global
        .offset:         56
        .size:           8
        .value_kind:     global_buffer
      - .address_space:  global
        .offset:         64
        .size:           8
        .value_kind:     global_buffer
      - .offset:         72
        .size:           4
        .value_kind:     by_value
      - .offset:         76
        .size:           1
        .value_kind:     by_value
      - .offset:         80
        .size:           4
        .value_kind:     hidden_block_count_x
      - .offset:         84
        .size:           4
        .value_kind:     hidden_block_count_y
      - .offset:         88
        .size:           4
        .value_kind:     hidden_block_count_z
      - .offset:         92
        .size:           2
        .value_kind:     hidden_group_size_x
      - .offset:         94
        .size:           2
        .value_kind:     hidden_group_size_y
      - .offset:         96
        .size:           2
        .value_kind:     hidden_group_size_z
      - .offset:         98
        .size:           2
        .value_kind:     hidden_remainder_x
      - .offset:         100
        .size:           2
        .value_kind:     hidden_remainder_y
      - .offset:         102
        .size:           2
        .value_kind:     hidden_remainder_z
      - .offset:         120
        .size:           8
        .value_kind:     hidden_global_offset_x
      - .offset:         128
        .size:           8
        .value_kind:     hidden_global_offset_y
      - .offset:         136
        .size:           8
        .value_kind:     hidden_global_offset_z
      - .offset:         144
        .size:           2
        .value_kind:     hidden_grid_dims
    .group_segment_fixed_size: 0
    .kernarg_segment_align: 8
    .kernarg_segment_size: 336
    .language:       OpenCL C
    .language_version:
      - 2
      - 0
    .max_flat_workgroup_size: 256
    .name:           _ZN9rocsparseL21csrmvt_general_kernelILj256ELj16Elid21rocsparse_complex_numIdES2_S2_EEvbbT2_NS_24const_host_device_scalarIT6_EEPKT1_S9_PKS3_PKT3_PKT4_PT5_21rocsparse_index_base_b
    .private_segment_fixed_size: 0
    .sgpr_count:     23
    .sgpr_spill_count: 0
    .symbol:         _ZN9rocsparseL21csrmvt_general_kernelILj256ELj16Elid21rocsparse_complex_numIdES2_S2_EEvbbT2_NS_24const_host_device_scalarIT6_EEPKT1_S9_PKS3_PKT3_PKT4_PT5_21rocsparse_index_base_b.kd
    .uniform_work_group_size: 1
    .uses_dynamic_stack: false
    .vgpr_count:     34
    .vgpr_spill_count: 0
    .wavefront_size: 32
  - .args:
      - .offset:         0
        .size:           1
        .value_kind:     by_value
      - .offset:         1
        .size:           1
        .value_kind:     by_value
      - .offset:         4
        .size:           4
        .value_kind:     by_value
      - .offset:         8
        .size:           16
        .value_kind:     by_value
      - .address_space:  global
        .offset:         24
        .size:           8
        .value_kind:     global_buffer
      - .address_space:  global
        .offset:         32
        .size:           8
        .value_kind:     global_buffer
      - .actual_access:  read_only
        .address_space:  global
        .offset:         40
        .size:           8
        .value_kind:     global_buffer
      - .actual_access:  read_only
        .address_space:  global
        .offset:         48
        .size:           8
        .value_kind:     global_buffer
      - .actual_access:  read_only
        .address_space:  global
        .offset:         56
        .size:           8
        .value_kind:     global_buffer
      - .address_space:  global
        .offset:         64
        .size:           8
        .value_kind:     global_buffer
      - .offset:         72
        .size:           4
        .value_kind:     by_value
      - .offset:         76
        .size:           1
        .value_kind:     by_value
      - .offset:         80
        .size:           4
        .value_kind:     hidden_block_count_x
      - .offset:         84
        .size:           4
        .value_kind:     hidden_block_count_y
      - .offset:         88
        .size:           4
        .value_kind:     hidden_block_count_z
      - .offset:         92
        .size:           2
        .value_kind:     hidden_group_size_x
      - .offset:         94
        .size:           2
        .value_kind:     hidden_group_size_y
      - .offset:         96
        .size:           2
        .value_kind:     hidden_group_size_z
      - .offset:         98
        .size:           2
        .value_kind:     hidden_remainder_x
      - .offset:         100
        .size:           2
        .value_kind:     hidden_remainder_y
      - .offset:         102
        .size:           2
        .value_kind:     hidden_remainder_z
      - .offset:         120
        .size:           8
        .value_kind:     hidden_global_offset_x
      - .offset:         128
        .size:           8
        .value_kind:     hidden_global_offset_y
      - .offset:         136
        .size:           8
        .value_kind:     hidden_global_offset_z
      - .offset:         144
        .size:           2
        .value_kind:     hidden_grid_dims
    .group_segment_fixed_size: 0
    .kernarg_segment_align: 8
    .kernarg_segment_size: 336
    .language:       OpenCL C
    .language_version:
      - 2
      - 0
    .max_flat_workgroup_size: 256
    .name:           _ZN9rocsparseL21csrmvt_general_kernelILj256ELj32Elid21rocsparse_complex_numIdES2_S2_EEvbbT2_NS_24const_host_device_scalarIT6_EEPKT1_S9_PKS3_PKT3_PKT4_PT5_21rocsparse_index_base_b
    .private_segment_fixed_size: 0
    .sgpr_count:     23
    .sgpr_spill_count: 0
    .symbol:         _ZN9rocsparseL21csrmvt_general_kernelILj256ELj32Elid21rocsparse_complex_numIdES2_S2_EEvbbT2_NS_24const_host_device_scalarIT6_EEPKT1_S9_PKS3_PKT3_PKT4_PT5_21rocsparse_index_base_b.kd
    .uniform_work_group_size: 1
    .uses_dynamic_stack: false
    .vgpr_count:     34
    .vgpr_spill_count: 0
    .wavefront_size: 32
  - .args:
      - .offset:         0
        .size:           1
        .value_kind:     by_value
      - .offset:         1
        .size:           1
        .value_kind:     by_value
      - .offset:         4
        .size:           4
        .value_kind:     by_value
      - .offset:         8
        .size:           16
        .value_kind:     by_value
      - .address_space:  global
        .offset:         24
        .size:           8
        .value_kind:     global_buffer
      - .address_space:  global
        .offset:         32
        .size:           8
        .value_kind:     global_buffer
      - .actual_access:  read_only
        .address_space:  global
        .offset:         40
        .size:           8
        .value_kind:     global_buffer
      - .actual_access:  read_only
        .address_space:  global
        .offset:         48
        .size:           8
        .value_kind:     global_buffer
      - .actual_access:  read_only
        .address_space:  global
        .offset:         56
        .size:           8
        .value_kind:     global_buffer
      - .address_space:  global
        .offset:         64
        .size:           8
        .value_kind:     global_buffer
      - .offset:         72
        .size:           4
        .value_kind:     by_value
      - .offset:         76
        .size:           1
        .value_kind:     by_value
      - .offset:         80
        .size:           4
        .value_kind:     hidden_block_count_x
      - .offset:         84
        .size:           4
        .value_kind:     hidden_block_count_y
      - .offset:         88
        .size:           4
        .value_kind:     hidden_block_count_z
      - .offset:         92
        .size:           2
        .value_kind:     hidden_group_size_x
      - .offset:         94
        .size:           2
        .value_kind:     hidden_group_size_y
      - .offset:         96
        .size:           2
        .value_kind:     hidden_group_size_z
      - .offset:         98
        .size:           2
        .value_kind:     hidden_remainder_x
      - .offset:         100
        .size:           2
        .value_kind:     hidden_remainder_y
      - .offset:         102
        .size:           2
        .value_kind:     hidden_remainder_z
      - .offset:         120
        .size:           8
        .value_kind:     hidden_global_offset_x
      - .offset:         128
        .size:           8
        .value_kind:     hidden_global_offset_y
      - .offset:         136
        .size:           8
        .value_kind:     hidden_global_offset_z
      - .offset:         144
        .size:           2
        .value_kind:     hidden_grid_dims
    .group_segment_fixed_size: 0
    .kernarg_segment_align: 8
    .kernarg_segment_size: 336
    .language:       OpenCL C
    .language_version:
      - 2
      - 0
    .max_flat_workgroup_size: 256
    .name:           _ZN9rocsparseL21csrmvt_general_kernelILj256ELj64Elid21rocsparse_complex_numIdES2_S2_EEvbbT2_NS_24const_host_device_scalarIT6_EEPKT1_S9_PKS3_PKT3_PKT4_PT5_21rocsparse_index_base_b
    .private_segment_fixed_size: 0
    .sgpr_count:     23
    .sgpr_spill_count: 0
    .symbol:         _ZN9rocsparseL21csrmvt_general_kernelILj256ELj64Elid21rocsparse_complex_numIdES2_S2_EEvbbT2_NS_24const_host_device_scalarIT6_EEPKT1_S9_PKS3_PKT3_PKT4_PT5_21rocsparse_index_base_b.kd
    .uniform_work_group_size: 1
    .uses_dynamic_stack: false
    .vgpr_count:     34
    .vgpr_spill_count: 0
    .wavefront_size: 32
  - .args:
      - .offset:         0
        .size:           1
        .value_kind:     by_value
      - .offset:         8
        .size:           8
        .value_kind:     by_value
      - .offset:         16
        .size:           16
        .value_kind:     by_value
      - .address_space:  global
        .offset:         32
        .size:           8
        .value_kind:     global_buffer
      - .address_space:  global
        .offset:         40
        .size:           8
        .value_kind:     global_buffer
      - .actual_access:  read_only
        .address_space:  global
        .offset:         48
        .size:           8
        .value_kind:     global_buffer
      - .actual_access:  read_only
        .address_space:  global
        .offset:         56
        .size:           8
        .value_kind:     global_buffer
      - .actual_access:  read_only
        .address_space:  global
        .offset:         64
        .size:           8
        .value_kind:     global_buffer
      - .offset:         72
        .size:           16
        .value_kind:     by_value
      - .address_space:  global
        .offset:         88
        .size:           8
        .value_kind:     global_buffer
      - .offset:         96
        .size:           4
        .value_kind:     by_value
      - .offset:         100
        .size:           1
        .value_kind:     by_value
      - .offset:         104
        .size:           4
        .value_kind:     hidden_block_count_x
      - .offset:         108
        .size:           4
        .value_kind:     hidden_block_count_y
      - .offset:         112
        .size:           4
        .value_kind:     hidden_block_count_z
      - .offset:         116
        .size:           2
        .value_kind:     hidden_group_size_x
      - .offset:         118
        .size:           2
        .value_kind:     hidden_group_size_y
      - .offset:         120
        .size:           2
        .value_kind:     hidden_group_size_z
      - .offset:         122
        .size:           2
        .value_kind:     hidden_remainder_x
      - .offset:         124
        .size:           2
        .value_kind:     hidden_remainder_y
      - .offset:         126
        .size:           2
        .value_kind:     hidden_remainder_z
      - .offset:         144
        .size:           8
        .value_kind:     hidden_global_offset_x
      - .offset:         152
        .size:           8
        .value_kind:     hidden_global_offset_y
      - .offset:         160
        .size:           8
        .value_kind:     hidden_global_offset_z
      - .offset:         168
        .size:           2
        .value_kind:     hidden_grid_dims
    .group_segment_fixed_size: 0
    .kernarg_segment_align: 8
    .kernarg_segment_size: 360
    .language:       OpenCL C
    .language_version:
      - 2
      - 0
    .max_flat_workgroup_size: 256
    .name:           _ZN9rocsparseL21csrmvn_general_kernelILj256ELj2Elld21rocsparse_complex_numIdES2_S2_EEvbT2_NS_24const_host_device_scalarIT6_EEPKT1_S9_PKS3_PKT3_PKT4_S6_PT5_21rocsparse_index_base_b
    .private_segment_fixed_size: 0
    .sgpr_count:     25
    .sgpr_spill_count: 0
    .symbol:         _ZN9rocsparseL21csrmvn_general_kernelILj256ELj2Elld21rocsparse_complex_numIdES2_S2_EEvbT2_NS_24const_host_device_scalarIT6_EEPKT1_S9_PKS3_PKT3_PKT4_S6_PT5_21rocsparse_index_base_b.kd
    .uniform_work_group_size: 1
    .uses_dynamic_stack: false
    .vgpr_count:     38
    .vgpr_spill_count: 0
    .wavefront_size: 32
  - .args:
      - .offset:         0
        .size:           1
        .value_kind:     by_value
      - .offset:         8
        .size:           8
        .value_kind:     by_value
      - .offset:         16
        .size:           16
        .value_kind:     by_value
      - .address_space:  global
        .offset:         32
        .size:           8
        .value_kind:     global_buffer
      - .address_space:  global
        .offset:         40
        .size:           8
        .value_kind:     global_buffer
      - .actual_access:  read_only
        .address_space:  global
        .offset:         48
        .size:           8
        .value_kind:     global_buffer
      - .actual_access:  read_only
        .address_space:  global
        .offset:         56
        .size:           8
        .value_kind:     global_buffer
      - .actual_access:  read_only
        .address_space:  global
        .offset:         64
        .size:           8
        .value_kind:     global_buffer
      - .offset:         72
        .size:           16
        .value_kind:     by_value
      - .address_space:  global
        .offset:         88
        .size:           8
        .value_kind:     global_buffer
      - .offset:         96
        .size:           4
        .value_kind:     by_value
      - .offset:         100
        .size:           1
        .value_kind:     by_value
      - .offset:         104
        .size:           4
        .value_kind:     hidden_block_count_x
      - .offset:         108
        .size:           4
        .value_kind:     hidden_block_count_y
      - .offset:         112
        .size:           4
        .value_kind:     hidden_block_count_z
      - .offset:         116
        .size:           2
        .value_kind:     hidden_group_size_x
      - .offset:         118
        .size:           2
        .value_kind:     hidden_group_size_y
      - .offset:         120
        .size:           2
        .value_kind:     hidden_group_size_z
      - .offset:         122
        .size:           2
        .value_kind:     hidden_remainder_x
      - .offset:         124
        .size:           2
        .value_kind:     hidden_remainder_y
      - .offset:         126
        .size:           2
        .value_kind:     hidden_remainder_z
      - .offset:         144
        .size:           8
        .value_kind:     hidden_global_offset_x
      - .offset:         152
        .size:           8
        .value_kind:     hidden_global_offset_y
      - .offset:         160
        .size:           8
        .value_kind:     hidden_global_offset_z
      - .offset:         168
        .size:           2
        .value_kind:     hidden_grid_dims
    .group_segment_fixed_size: 0
    .kernarg_segment_align: 8
    .kernarg_segment_size: 360
    .language:       OpenCL C
    .language_version:
      - 2
      - 0
    .max_flat_workgroup_size: 256
    .name:           _ZN9rocsparseL21csrmvn_general_kernelILj256ELj4Elld21rocsparse_complex_numIdES2_S2_EEvbT2_NS_24const_host_device_scalarIT6_EEPKT1_S9_PKS3_PKT3_PKT4_S6_PT5_21rocsparse_index_base_b
    .private_segment_fixed_size: 0
    .sgpr_count:     25
    .sgpr_spill_count: 0
    .symbol:         _ZN9rocsparseL21csrmvn_general_kernelILj256ELj4Elld21rocsparse_complex_numIdES2_S2_EEvbT2_NS_24const_host_device_scalarIT6_EEPKT1_S9_PKS3_PKT3_PKT4_S6_PT5_21rocsparse_index_base_b.kd
    .uniform_work_group_size: 1
    .uses_dynamic_stack: false
    .vgpr_count:     38
    .vgpr_spill_count: 0
    .wavefront_size: 32
  - .args:
      - .offset:         0
        .size:           1
        .value_kind:     by_value
      - .offset:         8
        .size:           8
        .value_kind:     by_value
      - .offset:         16
        .size:           16
        .value_kind:     by_value
      - .address_space:  global
        .offset:         32
        .size:           8
        .value_kind:     global_buffer
      - .address_space:  global
        .offset:         40
        .size:           8
        .value_kind:     global_buffer
      - .actual_access:  read_only
        .address_space:  global
        .offset:         48
        .size:           8
        .value_kind:     global_buffer
      - .actual_access:  read_only
        .address_space:  global
        .offset:         56
        .size:           8
        .value_kind:     global_buffer
      - .actual_access:  read_only
        .address_space:  global
        .offset:         64
        .size:           8
        .value_kind:     global_buffer
      - .offset:         72
        .size:           16
        .value_kind:     by_value
      - .address_space:  global
        .offset:         88
        .size:           8
        .value_kind:     global_buffer
      - .offset:         96
        .size:           4
        .value_kind:     by_value
      - .offset:         100
        .size:           1
        .value_kind:     by_value
      - .offset:         104
        .size:           4
        .value_kind:     hidden_block_count_x
      - .offset:         108
        .size:           4
        .value_kind:     hidden_block_count_y
      - .offset:         112
        .size:           4
        .value_kind:     hidden_block_count_z
      - .offset:         116
        .size:           2
        .value_kind:     hidden_group_size_x
      - .offset:         118
        .size:           2
        .value_kind:     hidden_group_size_y
      - .offset:         120
        .size:           2
        .value_kind:     hidden_group_size_z
      - .offset:         122
        .size:           2
        .value_kind:     hidden_remainder_x
      - .offset:         124
        .size:           2
        .value_kind:     hidden_remainder_y
      - .offset:         126
        .size:           2
        .value_kind:     hidden_remainder_z
      - .offset:         144
        .size:           8
        .value_kind:     hidden_global_offset_x
      - .offset:         152
        .size:           8
        .value_kind:     hidden_global_offset_y
      - .offset:         160
        .size:           8
        .value_kind:     hidden_global_offset_z
      - .offset:         168
        .size:           2
        .value_kind:     hidden_grid_dims
    .group_segment_fixed_size: 0
    .kernarg_segment_align: 8
    .kernarg_segment_size: 360
    .language:       OpenCL C
    .language_version:
      - 2
      - 0
    .max_flat_workgroup_size: 256
    .name:           _ZN9rocsparseL21csrmvn_general_kernelILj256ELj8Elld21rocsparse_complex_numIdES2_S2_EEvbT2_NS_24const_host_device_scalarIT6_EEPKT1_S9_PKS3_PKT3_PKT4_S6_PT5_21rocsparse_index_base_b
    .private_segment_fixed_size: 0
    .sgpr_count:     25
    .sgpr_spill_count: 0
    .symbol:         _ZN9rocsparseL21csrmvn_general_kernelILj256ELj8Elld21rocsparse_complex_numIdES2_S2_EEvbT2_NS_24const_host_device_scalarIT6_EEPKT1_S9_PKS3_PKT3_PKT4_S6_PT5_21rocsparse_index_base_b.kd
    .uniform_work_group_size: 1
    .uses_dynamic_stack: false
    .vgpr_count:     40
    .vgpr_spill_count: 0
    .wavefront_size: 32
  - .args:
      - .offset:         0
        .size:           1
        .value_kind:     by_value
      - .offset:         8
        .size:           8
        .value_kind:     by_value
      - .offset:         16
        .size:           16
        .value_kind:     by_value
      - .address_space:  global
        .offset:         32
        .size:           8
        .value_kind:     global_buffer
      - .address_space:  global
        .offset:         40
        .size:           8
        .value_kind:     global_buffer
      - .actual_access:  read_only
        .address_space:  global
        .offset:         48
        .size:           8
        .value_kind:     global_buffer
      - .actual_access:  read_only
        .address_space:  global
        .offset:         56
        .size:           8
        .value_kind:     global_buffer
      - .actual_access:  read_only
        .address_space:  global
        .offset:         64
        .size:           8
        .value_kind:     global_buffer
      - .offset:         72
        .size:           16
        .value_kind:     by_value
      - .address_space:  global
        .offset:         88
        .size:           8
        .value_kind:     global_buffer
      - .offset:         96
        .size:           4
        .value_kind:     by_value
      - .offset:         100
        .size:           1
        .value_kind:     by_value
      - .offset:         104
        .size:           4
        .value_kind:     hidden_block_count_x
      - .offset:         108
        .size:           4
        .value_kind:     hidden_block_count_y
      - .offset:         112
        .size:           4
        .value_kind:     hidden_block_count_z
      - .offset:         116
        .size:           2
        .value_kind:     hidden_group_size_x
      - .offset:         118
        .size:           2
        .value_kind:     hidden_group_size_y
      - .offset:         120
        .size:           2
        .value_kind:     hidden_group_size_z
      - .offset:         122
        .size:           2
        .value_kind:     hidden_remainder_x
      - .offset:         124
        .size:           2
        .value_kind:     hidden_remainder_y
      - .offset:         126
        .size:           2
        .value_kind:     hidden_remainder_z
      - .offset:         144
        .size:           8
        .value_kind:     hidden_global_offset_x
      - .offset:         152
        .size:           8
        .value_kind:     hidden_global_offset_y
      - .offset:         160
        .size:           8
        .value_kind:     hidden_global_offset_z
      - .offset:         168
        .size:           2
        .value_kind:     hidden_grid_dims
    .group_segment_fixed_size: 0
    .kernarg_segment_align: 8
    .kernarg_segment_size: 360
    .language:       OpenCL C
    .language_version:
      - 2
      - 0
    .max_flat_workgroup_size: 256
    .name:           _ZN9rocsparseL21csrmvn_general_kernelILj256ELj16Elld21rocsparse_complex_numIdES2_S2_EEvbT2_NS_24const_host_device_scalarIT6_EEPKT1_S9_PKS3_PKT3_PKT4_S6_PT5_21rocsparse_index_base_b
    .private_segment_fixed_size: 0
    .sgpr_count:     25
    .sgpr_spill_count: 0
    .symbol:         _ZN9rocsparseL21csrmvn_general_kernelILj256ELj16Elld21rocsparse_complex_numIdES2_S2_EEvbT2_NS_24const_host_device_scalarIT6_EEPKT1_S9_PKS3_PKT3_PKT4_S6_PT5_21rocsparse_index_base_b.kd
    .uniform_work_group_size: 1
    .uses_dynamic_stack: false
    .vgpr_count:     40
    .vgpr_spill_count: 0
    .wavefront_size: 32
  - .args:
      - .offset:         0
        .size:           1
        .value_kind:     by_value
      - .offset:         8
        .size:           8
        .value_kind:     by_value
      - .offset:         16
        .size:           16
        .value_kind:     by_value
      - .address_space:  global
        .offset:         32
        .size:           8
        .value_kind:     global_buffer
      - .address_space:  global
        .offset:         40
        .size:           8
        .value_kind:     global_buffer
      - .actual_access:  read_only
        .address_space:  global
        .offset:         48
        .size:           8
        .value_kind:     global_buffer
      - .actual_access:  read_only
        .address_space:  global
        .offset:         56
        .size:           8
        .value_kind:     global_buffer
      - .actual_access:  read_only
        .address_space:  global
        .offset:         64
        .size:           8
        .value_kind:     global_buffer
      - .offset:         72
        .size:           16
        .value_kind:     by_value
      - .address_space:  global
        .offset:         88
        .size:           8
        .value_kind:     global_buffer
      - .offset:         96
        .size:           4
        .value_kind:     by_value
      - .offset:         100
        .size:           1
        .value_kind:     by_value
      - .offset:         104
        .size:           4
        .value_kind:     hidden_block_count_x
      - .offset:         108
        .size:           4
        .value_kind:     hidden_block_count_y
      - .offset:         112
        .size:           4
        .value_kind:     hidden_block_count_z
      - .offset:         116
        .size:           2
        .value_kind:     hidden_group_size_x
      - .offset:         118
        .size:           2
        .value_kind:     hidden_group_size_y
      - .offset:         120
        .size:           2
        .value_kind:     hidden_group_size_z
      - .offset:         122
        .size:           2
        .value_kind:     hidden_remainder_x
      - .offset:         124
        .size:           2
        .value_kind:     hidden_remainder_y
      - .offset:         126
        .size:           2
        .value_kind:     hidden_remainder_z
      - .offset:         144
        .size:           8
        .value_kind:     hidden_global_offset_x
      - .offset:         152
        .size:           8
        .value_kind:     hidden_global_offset_y
      - .offset:         160
        .size:           8
        .value_kind:     hidden_global_offset_z
      - .offset:         168
        .size:           2
        .value_kind:     hidden_grid_dims
    .group_segment_fixed_size: 0
    .kernarg_segment_align: 8
    .kernarg_segment_size: 360
    .language:       OpenCL C
    .language_version:
      - 2
      - 0
    .max_flat_workgroup_size: 256
    .name:           _ZN9rocsparseL21csrmvn_general_kernelILj256ELj32Elld21rocsparse_complex_numIdES2_S2_EEvbT2_NS_24const_host_device_scalarIT6_EEPKT1_S9_PKS3_PKT3_PKT4_S6_PT5_21rocsparse_index_base_b
    .private_segment_fixed_size: 0
    .sgpr_count:     25
    .sgpr_spill_count: 0
    .symbol:         _ZN9rocsparseL21csrmvn_general_kernelILj256ELj32Elld21rocsparse_complex_numIdES2_S2_EEvbT2_NS_24const_host_device_scalarIT6_EEPKT1_S9_PKS3_PKT3_PKT4_S6_PT5_21rocsparse_index_base_b.kd
    .uniform_work_group_size: 1
    .uses_dynamic_stack: false
    .vgpr_count:     42
    .vgpr_spill_count: 0
    .wavefront_size: 32
  - .args:
      - .offset:         0
        .size:           1
        .value_kind:     by_value
      - .offset:         8
        .size:           8
        .value_kind:     by_value
      - .offset:         16
        .size:           16
        .value_kind:     by_value
      - .address_space:  global
        .offset:         32
        .size:           8
        .value_kind:     global_buffer
      - .address_space:  global
        .offset:         40
        .size:           8
        .value_kind:     global_buffer
      - .actual_access:  read_only
        .address_space:  global
        .offset:         48
        .size:           8
        .value_kind:     global_buffer
      - .actual_access:  read_only
        .address_space:  global
        .offset:         56
        .size:           8
        .value_kind:     global_buffer
      - .actual_access:  read_only
        .address_space:  global
        .offset:         64
        .size:           8
        .value_kind:     global_buffer
      - .offset:         72
        .size:           16
        .value_kind:     by_value
      - .address_space:  global
        .offset:         88
        .size:           8
        .value_kind:     global_buffer
      - .offset:         96
        .size:           4
        .value_kind:     by_value
      - .offset:         100
        .size:           1
        .value_kind:     by_value
      - .offset:         104
        .size:           4
        .value_kind:     hidden_block_count_x
      - .offset:         108
        .size:           4
        .value_kind:     hidden_block_count_y
      - .offset:         112
        .size:           4
        .value_kind:     hidden_block_count_z
      - .offset:         116
        .size:           2
        .value_kind:     hidden_group_size_x
      - .offset:         118
        .size:           2
        .value_kind:     hidden_group_size_y
      - .offset:         120
        .size:           2
        .value_kind:     hidden_group_size_z
      - .offset:         122
        .size:           2
        .value_kind:     hidden_remainder_x
      - .offset:         124
        .size:           2
        .value_kind:     hidden_remainder_y
      - .offset:         126
        .size:           2
        .value_kind:     hidden_remainder_z
      - .offset:         144
        .size:           8
        .value_kind:     hidden_global_offset_x
      - .offset:         152
        .size:           8
        .value_kind:     hidden_global_offset_y
      - .offset:         160
        .size:           8
        .value_kind:     hidden_global_offset_z
      - .offset:         168
        .size:           2
        .value_kind:     hidden_grid_dims
    .group_segment_fixed_size: 0
    .kernarg_segment_align: 8
    .kernarg_segment_size: 360
    .language:       OpenCL C
    .language_version:
      - 2
      - 0
    .max_flat_workgroup_size: 256
    .name:           _ZN9rocsparseL21csrmvn_general_kernelILj256ELj64Elld21rocsparse_complex_numIdES2_S2_EEvbT2_NS_24const_host_device_scalarIT6_EEPKT1_S9_PKS3_PKT3_PKT4_S6_PT5_21rocsparse_index_base_b
    .private_segment_fixed_size: 0
    .sgpr_count:     25
    .sgpr_spill_count: 0
    .symbol:         _ZN9rocsparseL21csrmvn_general_kernelILj256ELj64Elld21rocsparse_complex_numIdES2_S2_EEvbT2_NS_24const_host_device_scalarIT6_EEPKT1_S9_PKS3_PKT3_PKT4_S6_PT5_21rocsparse_index_base_b.kd
    .uniform_work_group_size: 1
    .uses_dynamic_stack: false
    .vgpr_count:     42
    .vgpr_spill_count: 0
    .wavefront_size: 32
  - .args:
      - .offset:         0
        .size:           1
        .value_kind:     by_value
      - .offset:         1
        .size:           1
        .value_kind:     by_value
      - .offset:         8
        .size:           8
        .value_kind:     by_value
      - .offset:         16
        .size:           16
        .value_kind:     by_value
      - .address_space:  global
        .offset:         32
        .size:           8
        .value_kind:     global_buffer
      - .address_space:  global
        .offset:         40
        .size:           8
        .value_kind:     global_buffer
      - .actual_access:  read_only
        .address_space:  global
        .offset:         48
        .size:           8
        .value_kind:     global_buffer
      - .actual_access:  read_only
        .address_space:  global
        .offset:         56
        .size:           8
        .value_kind:     global_buffer
      - .actual_access:  read_only
        .address_space:  global
        .offset:         64
        .size:           8
        .value_kind:     global_buffer
      - .address_space:  global
        .offset:         72
        .size:           8
        .value_kind:     global_buffer
      - .offset:         80
        .size:           4
        .value_kind:     by_value
      - .offset:         84
        .size:           1
        .value_kind:     by_value
      - .offset:         88
        .size:           4
        .value_kind:     hidden_block_count_x
      - .offset:         92
        .size:           4
        .value_kind:     hidden_block_count_y
      - .offset:         96
        .size:           4
        .value_kind:     hidden_block_count_z
      - .offset:         100
        .size:           2
        .value_kind:     hidden_group_size_x
      - .offset:         102
        .size:           2
        .value_kind:     hidden_group_size_y
      - .offset:         104
        .size:           2
        .value_kind:     hidden_group_size_z
      - .offset:         106
        .size:           2
        .value_kind:     hidden_remainder_x
      - .offset:         108
        .size:           2
        .value_kind:     hidden_remainder_y
      - .offset:         110
        .size:           2
        .value_kind:     hidden_remainder_z
      - .offset:         128
        .size:           8
        .value_kind:     hidden_global_offset_x
      - .offset:         136
        .size:           8
        .value_kind:     hidden_global_offset_y
      - .offset:         144
        .size:           8
        .value_kind:     hidden_global_offset_z
      - .offset:         152
        .size:           2
        .value_kind:     hidden_grid_dims
    .group_segment_fixed_size: 0
    .kernarg_segment_align: 8
    .kernarg_segment_size: 344
    .language:       OpenCL C
    .language_version:
      - 2
      - 0
    .max_flat_workgroup_size: 256
    .name:           _ZN9rocsparseL21csrmvt_general_kernelILj256ELj4Elld21rocsparse_complex_numIdES2_S2_EEvbbT2_NS_24const_host_device_scalarIT6_EEPKT1_S9_PKS3_PKT3_PKT4_PT5_21rocsparse_index_base_b
    .private_segment_fixed_size: 0
    .sgpr_count:     25
    .sgpr_spill_count: 0
    .symbol:         _ZN9rocsparseL21csrmvt_general_kernelILj256ELj4Elld21rocsparse_complex_numIdES2_S2_EEvbbT2_NS_24const_host_device_scalarIT6_EEPKT1_S9_PKS3_PKT3_PKT4_PT5_21rocsparse_index_base_b.kd
    .uniform_work_group_size: 1
    .uses_dynamic_stack: false
    .vgpr_count:     34
    .vgpr_spill_count: 0
    .wavefront_size: 32
  - .args:
      - .offset:         0
        .size:           1
        .value_kind:     by_value
      - .offset:         1
        .size:           1
        .value_kind:     by_value
      - .offset:         8
        .size:           8
        .value_kind:     by_value
      - .offset:         16
        .size:           16
        .value_kind:     by_value
      - .address_space:  global
        .offset:         32
        .size:           8
        .value_kind:     global_buffer
      - .address_space:  global
        .offset:         40
        .size:           8
        .value_kind:     global_buffer
      - .actual_access:  read_only
        .address_space:  global
        .offset:         48
        .size:           8
        .value_kind:     global_buffer
      - .actual_access:  read_only
        .address_space:  global
        .offset:         56
        .size:           8
        .value_kind:     global_buffer
      - .actual_access:  read_only
        .address_space:  global
        .offset:         64
        .size:           8
        .value_kind:     global_buffer
      - .address_space:  global
        .offset:         72
        .size:           8
        .value_kind:     global_buffer
      - .offset:         80
        .size:           4
        .value_kind:     by_value
      - .offset:         84
        .size:           1
        .value_kind:     by_value
      - .offset:         88
        .size:           4
        .value_kind:     hidden_block_count_x
      - .offset:         92
        .size:           4
        .value_kind:     hidden_block_count_y
      - .offset:         96
        .size:           4
        .value_kind:     hidden_block_count_z
      - .offset:         100
        .size:           2
        .value_kind:     hidden_group_size_x
      - .offset:         102
        .size:           2
        .value_kind:     hidden_group_size_y
      - .offset:         104
        .size:           2
        .value_kind:     hidden_group_size_z
      - .offset:         106
        .size:           2
        .value_kind:     hidden_remainder_x
      - .offset:         108
        .size:           2
        .value_kind:     hidden_remainder_y
      - .offset:         110
        .size:           2
        .value_kind:     hidden_remainder_z
      - .offset:         128
        .size:           8
        .value_kind:     hidden_global_offset_x
      - .offset:         136
        .size:           8
        .value_kind:     hidden_global_offset_y
      - .offset:         144
        .size:           8
        .value_kind:     hidden_global_offset_z
      - .offset:         152
        .size:           2
        .value_kind:     hidden_grid_dims
    .group_segment_fixed_size: 0
    .kernarg_segment_align: 8
    .kernarg_segment_size: 344
    .language:       OpenCL C
    .language_version:
      - 2
      - 0
    .max_flat_workgroup_size: 256
    .name:           _ZN9rocsparseL21csrmvt_general_kernelILj256ELj8Elld21rocsparse_complex_numIdES2_S2_EEvbbT2_NS_24const_host_device_scalarIT6_EEPKT1_S9_PKS3_PKT3_PKT4_PT5_21rocsparse_index_base_b
    .private_segment_fixed_size: 0
    .sgpr_count:     25
    .sgpr_spill_count: 0
    .symbol:         _ZN9rocsparseL21csrmvt_general_kernelILj256ELj8Elld21rocsparse_complex_numIdES2_S2_EEvbbT2_NS_24const_host_device_scalarIT6_EEPKT1_S9_PKS3_PKT3_PKT4_PT5_21rocsparse_index_base_b.kd
    .uniform_work_group_size: 1
    .uses_dynamic_stack: false
    .vgpr_count:     34
    .vgpr_spill_count: 0
    .wavefront_size: 32
  - .args:
      - .offset:         0
        .size:           1
        .value_kind:     by_value
      - .offset:         1
        .size:           1
        .value_kind:     by_value
      - .offset:         8
        .size:           8
        .value_kind:     by_value
      - .offset:         16
        .size:           16
        .value_kind:     by_value
      - .address_space:  global
        .offset:         32
        .size:           8
        .value_kind:     global_buffer
      - .address_space:  global
        .offset:         40
        .size:           8
        .value_kind:     global_buffer
      - .actual_access:  read_only
        .address_space:  global
        .offset:         48
        .size:           8
        .value_kind:     global_buffer
      - .actual_access:  read_only
        .address_space:  global
        .offset:         56
        .size:           8
        .value_kind:     global_buffer
      - .actual_access:  read_only
        .address_space:  global
        .offset:         64
        .size:           8
        .value_kind:     global_buffer
      - .address_space:  global
        .offset:         72
        .size:           8
        .value_kind:     global_buffer
      - .offset:         80
        .size:           4
        .value_kind:     by_value
      - .offset:         84
        .size:           1
        .value_kind:     by_value
      - .offset:         88
        .size:           4
        .value_kind:     hidden_block_count_x
      - .offset:         92
        .size:           4
        .value_kind:     hidden_block_count_y
      - .offset:         96
        .size:           4
        .value_kind:     hidden_block_count_z
      - .offset:         100
        .size:           2
        .value_kind:     hidden_group_size_x
      - .offset:         102
        .size:           2
        .value_kind:     hidden_group_size_y
      - .offset:         104
        .size:           2
        .value_kind:     hidden_group_size_z
      - .offset:         106
        .size:           2
        .value_kind:     hidden_remainder_x
      - .offset:         108
        .size:           2
        .value_kind:     hidden_remainder_y
      - .offset:         110
        .size:           2
        .value_kind:     hidden_remainder_z
      - .offset:         128
        .size:           8
        .value_kind:     hidden_global_offset_x
      - .offset:         136
        .size:           8
        .value_kind:     hidden_global_offset_y
      - .offset:         144
        .size:           8
        .value_kind:     hidden_global_offset_z
      - .offset:         152
        .size:           2
        .value_kind:     hidden_grid_dims
    .group_segment_fixed_size: 0
    .kernarg_segment_align: 8
    .kernarg_segment_size: 344
    .language:       OpenCL C
    .language_version:
      - 2
      - 0
    .max_flat_workgroup_size: 256
    .name:           _ZN9rocsparseL21csrmvt_general_kernelILj256ELj16Elld21rocsparse_complex_numIdES2_S2_EEvbbT2_NS_24const_host_device_scalarIT6_EEPKT1_S9_PKS3_PKT3_PKT4_PT5_21rocsparse_index_base_b
    .private_segment_fixed_size: 0
    .sgpr_count:     25
    .sgpr_spill_count: 0
    .symbol:         _ZN9rocsparseL21csrmvt_general_kernelILj256ELj16Elld21rocsparse_complex_numIdES2_S2_EEvbbT2_NS_24const_host_device_scalarIT6_EEPKT1_S9_PKS3_PKT3_PKT4_PT5_21rocsparse_index_base_b.kd
    .uniform_work_group_size: 1
    .uses_dynamic_stack: false
    .vgpr_count:     34
    .vgpr_spill_count: 0
    .wavefront_size: 32
  - .args:
      - .offset:         0
        .size:           1
        .value_kind:     by_value
      - .offset:         1
        .size:           1
        .value_kind:     by_value
      - .offset:         8
        .size:           8
        .value_kind:     by_value
      - .offset:         16
        .size:           16
        .value_kind:     by_value
      - .address_space:  global
        .offset:         32
        .size:           8
        .value_kind:     global_buffer
      - .address_space:  global
        .offset:         40
        .size:           8
        .value_kind:     global_buffer
      - .actual_access:  read_only
        .address_space:  global
        .offset:         48
        .size:           8
        .value_kind:     global_buffer
      - .actual_access:  read_only
        .address_space:  global
        .offset:         56
        .size:           8
        .value_kind:     global_buffer
      - .actual_access:  read_only
        .address_space:  global
        .offset:         64
        .size:           8
        .value_kind:     global_buffer
      - .address_space:  global
        .offset:         72
        .size:           8
        .value_kind:     global_buffer
      - .offset:         80
        .size:           4
        .value_kind:     by_value
      - .offset:         84
        .size:           1
        .value_kind:     by_value
      - .offset:         88
        .size:           4
        .value_kind:     hidden_block_count_x
      - .offset:         92
        .size:           4
        .value_kind:     hidden_block_count_y
      - .offset:         96
        .size:           4
        .value_kind:     hidden_block_count_z
      - .offset:         100
        .size:           2
        .value_kind:     hidden_group_size_x
      - .offset:         102
        .size:           2
        .value_kind:     hidden_group_size_y
      - .offset:         104
        .size:           2
        .value_kind:     hidden_group_size_z
      - .offset:         106
        .size:           2
        .value_kind:     hidden_remainder_x
      - .offset:         108
        .size:           2
        .value_kind:     hidden_remainder_y
      - .offset:         110
        .size:           2
        .value_kind:     hidden_remainder_z
      - .offset:         128
        .size:           8
        .value_kind:     hidden_global_offset_x
      - .offset:         136
        .size:           8
        .value_kind:     hidden_global_offset_y
      - .offset:         144
        .size:           8
        .value_kind:     hidden_global_offset_z
      - .offset:         152
        .size:           2
        .value_kind:     hidden_grid_dims
    .group_segment_fixed_size: 0
    .kernarg_segment_align: 8
    .kernarg_segment_size: 344
    .language:       OpenCL C
    .language_version:
      - 2
      - 0
    .max_flat_workgroup_size: 256
    .name:           _ZN9rocsparseL21csrmvt_general_kernelILj256ELj32Elld21rocsparse_complex_numIdES2_S2_EEvbbT2_NS_24const_host_device_scalarIT6_EEPKT1_S9_PKS3_PKT3_PKT4_PT5_21rocsparse_index_base_b
    .private_segment_fixed_size: 0
    .sgpr_count:     25
    .sgpr_spill_count: 0
    .symbol:         _ZN9rocsparseL21csrmvt_general_kernelILj256ELj32Elld21rocsparse_complex_numIdES2_S2_EEvbbT2_NS_24const_host_device_scalarIT6_EEPKT1_S9_PKS3_PKT3_PKT4_PT5_21rocsparse_index_base_b.kd
    .uniform_work_group_size: 1
    .uses_dynamic_stack: false
    .vgpr_count:     34
    .vgpr_spill_count: 0
    .wavefront_size: 32
  - .args:
      - .offset:         0
        .size:           1
        .value_kind:     by_value
      - .offset:         1
        .size:           1
        .value_kind:     by_value
      - .offset:         8
        .size:           8
        .value_kind:     by_value
      - .offset:         16
        .size:           16
        .value_kind:     by_value
      - .address_space:  global
        .offset:         32
        .size:           8
        .value_kind:     global_buffer
      - .address_space:  global
        .offset:         40
        .size:           8
        .value_kind:     global_buffer
      - .actual_access:  read_only
        .address_space:  global
        .offset:         48
        .size:           8
        .value_kind:     global_buffer
      - .actual_access:  read_only
        .address_space:  global
        .offset:         56
        .size:           8
        .value_kind:     global_buffer
      - .actual_access:  read_only
        .address_space:  global
        .offset:         64
        .size:           8
        .value_kind:     global_buffer
      - .address_space:  global
        .offset:         72
        .size:           8
        .value_kind:     global_buffer
      - .offset:         80
        .size:           4
        .value_kind:     by_value
      - .offset:         84
        .size:           1
        .value_kind:     by_value
      - .offset:         88
        .size:           4
        .value_kind:     hidden_block_count_x
      - .offset:         92
        .size:           4
        .value_kind:     hidden_block_count_y
      - .offset:         96
        .size:           4
        .value_kind:     hidden_block_count_z
      - .offset:         100
        .size:           2
        .value_kind:     hidden_group_size_x
      - .offset:         102
        .size:           2
        .value_kind:     hidden_group_size_y
      - .offset:         104
        .size:           2
        .value_kind:     hidden_group_size_z
      - .offset:         106
        .size:           2
        .value_kind:     hidden_remainder_x
      - .offset:         108
        .size:           2
        .value_kind:     hidden_remainder_y
      - .offset:         110
        .size:           2
        .value_kind:     hidden_remainder_z
      - .offset:         128
        .size:           8
        .value_kind:     hidden_global_offset_x
      - .offset:         136
        .size:           8
        .value_kind:     hidden_global_offset_y
      - .offset:         144
        .size:           8
        .value_kind:     hidden_global_offset_z
      - .offset:         152
        .size:           2
        .value_kind:     hidden_grid_dims
    .group_segment_fixed_size: 0
    .kernarg_segment_align: 8
    .kernarg_segment_size: 344
    .language:       OpenCL C
    .language_version:
      - 2
      - 0
    .max_flat_workgroup_size: 256
    .name:           _ZN9rocsparseL21csrmvt_general_kernelILj256ELj64Elld21rocsparse_complex_numIdES2_S2_EEvbbT2_NS_24const_host_device_scalarIT6_EEPKT1_S9_PKS3_PKT3_PKT4_PT5_21rocsparse_index_base_b
    .private_segment_fixed_size: 0
    .sgpr_count:     25
    .sgpr_spill_count: 0
    .symbol:         _ZN9rocsparseL21csrmvt_general_kernelILj256ELj64Elld21rocsparse_complex_numIdES2_S2_EEvbbT2_NS_24const_host_device_scalarIT6_EEPKT1_S9_PKS3_PKT3_PKT4_PT5_21rocsparse_index_base_b.kd
    .uniform_work_group_size: 1
    .uses_dynamic_stack: false
    .vgpr_count:     34
    .vgpr_spill_count: 0
    .wavefront_size: 32
  - .args:
      - .offset:         0
        .size:           1
        .value_kind:     by_value
      - .offset:         4
        .size:           4
        .value_kind:     by_value
      - .offset:         8
        .size:           16
        .value_kind:     by_value
      - .address_space:  global
        .offset:         24
        .size:           8
        .value_kind:     global_buffer
      - .address_space:  global
        .offset:         32
        .size:           8
        .value_kind:     global_buffer
      - .actual_access:  read_only
        .address_space:  global
        .offset:         40
        .size:           8
        .value_kind:     global_buffer
      - .actual_access:  read_only
        .address_space:  global
        .offset:         48
        .size:           8
        .value_kind:     global_buffer
      - .actual_access:  read_only
        .address_space:  global
        .offset:         56
        .size:           8
        .value_kind:     global_buffer
      - .offset:         64
        .size:           16
        .value_kind:     by_value
      - .address_space:  global
        .offset:         80
        .size:           8
        .value_kind:     global_buffer
      - .offset:         88
        .size:           4
        .value_kind:     by_value
      - .offset:         92
        .size:           1
        .value_kind:     by_value
      - .offset:         96
        .size:           4
        .value_kind:     hidden_block_count_x
      - .offset:         100
        .size:           4
        .value_kind:     hidden_block_count_y
      - .offset:         104
        .size:           4
        .value_kind:     hidden_block_count_z
      - .offset:         108
        .size:           2
        .value_kind:     hidden_group_size_x
      - .offset:         110
        .size:           2
        .value_kind:     hidden_group_size_y
      - .offset:         112
        .size:           2
        .value_kind:     hidden_group_size_z
      - .offset:         114
        .size:           2
        .value_kind:     hidden_remainder_x
      - .offset:         116
        .size:           2
        .value_kind:     hidden_remainder_y
      - .offset:         118
        .size:           2
        .value_kind:     hidden_remainder_z
      - .offset:         136
        .size:           8
        .value_kind:     hidden_global_offset_x
      - .offset:         144
        .size:           8
        .value_kind:     hidden_global_offset_y
      - .offset:         152
        .size:           8
        .value_kind:     hidden_global_offset_z
      - .offset:         160
        .size:           2
        .value_kind:     hidden_grid_dims
    .group_segment_fixed_size: 0
    .kernarg_segment_align: 8
    .kernarg_segment_size: 352
    .language:       OpenCL C
    .language_version:
      - 2
      - 0
    .max_flat_workgroup_size: 256
    .name:           _ZN9rocsparseL21csrmvn_general_kernelILj256ELj2Eii21rocsparse_complex_numIfES1_IdES3_S3_EEvbT2_NS_24const_host_device_scalarIT6_EEPKT1_SA_PKS4_PKT3_PKT4_S7_PT5_21rocsparse_index_base_b
    .private_segment_fixed_size: 0
    .sgpr_count:     26
    .sgpr_spill_count: 0
    .symbol:         _ZN9rocsparseL21csrmvn_general_kernelILj256ELj2Eii21rocsparse_complex_numIfES1_IdES3_S3_EEvbT2_NS_24const_host_device_scalarIT6_EEPKT1_SA_PKS4_PKT3_PKT4_S7_PT5_21rocsparse_index_base_b.kd
    .uniform_work_group_size: 1
    .uses_dynamic_stack: false
    .vgpr_count:     28
    .vgpr_spill_count: 0
    .wavefront_size: 32
  - .args:
      - .offset:         0
        .size:           1
        .value_kind:     by_value
      - .offset:         4
        .size:           4
        .value_kind:     by_value
      - .offset:         8
        .size:           16
        .value_kind:     by_value
      - .address_space:  global
        .offset:         24
        .size:           8
        .value_kind:     global_buffer
      - .address_space:  global
        .offset:         32
        .size:           8
        .value_kind:     global_buffer
      - .actual_access:  read_only
        .address_space:  global
        .offset:         40
        .size:           8
        .value_kind:     global_buffer
      - .actual_access:  read_only
        .address_space:  global
        .offset:         48
        .size:           8
        .value_kind:     global_buffer
      - .actual_access:  read_only
        .address_space:  global
        .offset:         56
        .size:           8
        .value_kind:     global_buffer
      - .offset:         64
        .size:           16
        .value_kind:     by_value
      - .address_space:  global
        .offset:         80
        .size:           8
        .value_kind:     global_buffer
      - .offset:         88
        .size:           4
        .value_kind:     by_value
      - .offset:         92
        .size:           1
        .value_kind:     by_value
      - .offset:         96
        .size:           4
        .value_kind:     hidden_block_count_x
      - .offset:         100
        .size:           4
        .value_kind:     hidden_block_count_y
      - .offset:         104
        .size:           4
        .value_kind:     hidden_block_count_z
      - .offset:         108
        .size:           2
        .value_kind:     hidden_group_size_x
      - .offset:         110
        .size:           2
        .value_kind:     hidden_group_size_y
      - .offset:         112
        .size:           2
        .value_kind:     hidden_group_size_z
      - .offset:         114
        .size:           2
        .value_kind:     hidden_remainder_x
      - .offset:         116
        .size:           2
        .value_kind:     hidden_remainder_y
      - .offset:         118
        .size:           2
        .value_kind:     hidden_remainder_z
      - .offset:         136
        .size:           8
        .value_kind:     hidden_global_offset_x
      - .offset:         144
        .size:           8
        .value_kind:     hidden_global_offset_y
      - .offset:         152
        .size:           8
        .value_kind:     hidden_global_offset_z
      - .offset:         160
        .size:           2
        .value_kind:     hidden_grid_dims
    .group_segment_fixed_size: 0
    .kernarg_segment_align: 8
    .kernarg_segment_size: 352
    .language:       OpenCL C
    .language_version:
      - 2
      - 0
    .max_flat_workgroup_size: 256
    .name:           _ZN9rocsparseL21csrmvn_general_kernelILj256ELj4Eii21rocsparse_complex_numIfES1_IdES3_S3_EEvbT2_NS_24const_host_device_scalarIT6_EEPKT1_SA_PKS4_PKT3_PKT4_S7_PT5_21rocsparse_index_base_b
    .private_segment_fixed_size: 0
    .sgpr_count:     26
    .sgpr_spill_count: 0
    .symbol:         _ZN9rocsparseL21csrmvn_general_kernelILj256ELj4Eii21rocsparse_complex_numIfES1_IdES3_S3_EEvbT2_NS_24const_host_device_scalarIT6_EEPKT1_SA_PKS4_PKT3_PKT4_S7_PT5_21rocsparse_index_base_b.kd
    .uniform_work_group_size: 1
    .uses_dynamic_stack: false
    .vgpr_count:     30
    .vgpr_spill_count: 0
    .wavefront_size: 32
  - .args:
      - .offset:         0
        .size:           1
        .value_kind:     by_value
      - .offset:         4
        .size:           4
        .value_kind:     by_value
      - .offset:         8
        .size:           16
        .value_kind:     by_value
      - .address_space:  global
        .offset:         24
        .size:           8
        .value_kind:     global_buffer
      - .address_space:  global
        .offset:         32
        .size:           8
        .value_kind:     global_buffer
      - .actual_access:  read_only
        .address_space:  global
        .offset:         40
        .size:           8
        .value_kind:     global_buffer
      - .actual_access:  read_only
        .address_space:  global
        .offset:         48
        .size:           8
        .value_kind:     global_buffer
      - .actual_access:  read_only
        .address_space:  global
        .offset:         56
        .size:           8
        .value_kind:     global_buffer
      - .offset:         64
        .size:           16
        .value_kind:     by_value
      - .address_space:  global
        .offset:         80
        .size:           8
        .value_kind:     global_buffer
      - .offset:         88
        .size:           4
        .value_kind:     by_value
      - .offset:         92
        .size:           1
        .value_kind:     by_value
      - .offset:         96
        .size:           4
        .value_kind:     hidden_block_count_x
      - .offset:         100
        .size:           4
        .value_kind:     hidden_block_count_y
      - .offset:         104
        .size:           4
        .value_kind:     hidden_block_count_z
      - .offset:         108
        .size:           2
        .value_kind:     hidden_group_size_x
      - .offset:         110
        .size:           2
        .value_kind:     hidden_group_size_y
      - .offset:         112
        .size:           2
        .value_kind:     hidden_group_size_z
      - .offset:         114
        .size:           2
        .value_kind:     hidden_remainder_x
      - .offset:         116
        .size:           2
        .value_kind:     hidden_remainder_y
      - .offset:         118
        .size:           2
        .value_kind:     hidden_remainder_z
      - .offset:         136
        .size:           8
        .value_kind:     hidden_global_offset_x
      - .offset:         144
        .size:           8
        .value_kind:     hidden_global_offset_y
      - .offset:         152
        .size:           8
        .value_kind:     hidden_global_offset_z
      - .offset:         160
        .size:           2
        .value_kind:     hidden_grid_dims
    .group_segment_fixed_size: 0
    .kernarg_segment_align: 8
    .kernarg_segment_size: 352
    .language:       OpenCL C
    .language_version:
      - 2
      - 0
    .max_flat_workgroup_size: 256
    .name:           _ZN9rocsparseL21csrmvn_general_kernelILj256ELj8Eii21rocsparse_complex_numIfES1_IdES3_S3_EEvbT2_NS_24const_host_device_scalarIT6_EEPKT1_SA_PKS4_PKT3_PKT4_S7_PT5_21rocsparse_index_base_b
    .private_segment_fixed_size: 0
    .sgpr_count:     26
    .sgpr_spill_count: 0
    .symbol:         _ZN9rocsparseL21csrmvn_general_kernelILj256ELj8Eii21rocsparse_complex_numIfES1_IdES3_S3_EEvbT2_NS_24const_host_device_scalarIT6_EEPKT1_SA_PKS4_PKT3_PKT4_S7_PT5_21rocsparse_index_base_b.kd
    .uniform_work_group_size: 1
    .uses_dynamic_stack: false
    .vgpr_count:     30
    .vgpr_spill_count: 0
    .wavefront_size: 32
  - .args:
      - .offset:         0
        .size:           1
        .value_kind:     by_value
      - .offset:         4
        .size:           4
        .value_kind:     by_value
      - .offset:         8
        .size:           16
        .value_kind:     by_value
      - .address_space:  global
        .offset:         24
        .size:           8
        .value_kind:     global_buffer
      - .address_space:  global
        .offset:         32
        .size:           8
        .value_kind:     global_buffer
      - .actual_access:  read_only
        .address_space:  global
        .offset:         40
        .size:           8
        .value_kind:     global_buffer
      - .actual_access:  read_only
        .address_space:  global
        .offset:         48
        .size:           8
        .value_kind:     global_buffer
      - .actual_access:  read_only
        .address_space:  global
        .offset:         56
        .size:           8
        .value_kind:     global_buffer
      - .offset:         64
        .size:           16
        .value_kind:     by_value
      - .address_space:  global
        .offset:         80
        .size:           8
        .value_kind:     global_buffer
      - .offset:         88
        .size:           4
        .value_kind:     by_value
      - .offset:         92
        .size:           1
        .value_kind:     by_value
      - .offset:         96
        .size:           4
        .value_kind:     hidden_block_count_x
      - .offset:         100
        .size:           4
        .value_kind:     hidden_block_count_y
      - .offset:         104
        .size:           4
        .value_kind:     hidden_block_count_z
      - .offset:         108
        .size:           2
        .value_kind:     hidden_group_size_x
      - .offset:         110
        .size:           2
        .value_kind:     hidden_group_size_y
      - .offset:         112
        .size:           2
        .value_kind:     hidden_group_size_z
      - .offset:         114
        .size:           2
        .value_kind:     hidden_remainder_x
      - .offset:         116
        .size:           2
        .value_kind:     hidden_remainder_y
      - .offset:         118
        .size:           2
        .value_kind:     hidden_remainder_z
      - .offset:         136
        .size:           8
        .value_kind:     hidden_global_offset_x
      - .offset:         144
        .size:           8
        .value_kind:     hidden_global_offset_y
      - .offset:         152
        .size:           8
        .value_kind:     hidden_global_offset_z
      - .offset:         160
        .size:           2
        .value_kind:     hidden_grid_dims
    .group_segment_fixed_size: 0
    .kernarg_segment_align: 8
    .kernarg_segment_size: 352
    .language:       OpenCL C
    .language_version:
      - 2
      - 0
    .max_flat_workgroup_size: 256
    .name:           _ZN9rocsparseL21csrmvn_general_kernelILj256ELj16Eii21rocsparse_complex_numIfES1_IdES3_S3_EEvbT2_NS_24const_host_device_scalarIT6_EEPKT1_SA_PKS4_PKT3_PKT4_S7_PT5_21rocsparse_index_base_b
    .private_segment_fixed_size: 0
    .sgpr_count:     26
    .sgpr_spill_count: 0
    .symbol:         _ZN9rocsparseL21csrmvn_general_kernelILj256ELj16Eii21rocsparse_complex_numIfES1_IdES3_S3_EEvbT2_NS_24const_host_device_scalarIT6_EEPKT1_SA_PKS4_PKT3_PKT4_S7_PT5_21rocsparse_index_base_b.kd
    .uniform_work_group_size: 1
    .uses_dynamic_stack: false
    .vgpr_count:     32
    .vgpr_spill_count: 0
    .wavefront_size: 32
  - .args:
      - .offset:         0
        .size:           1
        .value_kind:     by_value
      - .offset:         4
        .size:           4
        .value_kind:     by_value
      - .offset:         8
        .size:           16
        .value_kind:     by_value
      - .address_space:  global
        .offset:         24
        .size:           8
        .value_kind:     global_buffer
      - .address_space:  global
        .offset:         32
        .size:           8
        .value_kind:     global_buffer
      - .actual_access:  read_only
        .address_space:  global
        .offset:         40
        .size:           8
        .value_kind:     global_buffer
      - .actual_access:  read_only
        .address_space:  global
        .offset:         48
        .size:           8
        .value_kind:     global_buffer
      - .actual_access:  read_only
        .address_space:  global
        .offset:         56
        .size:           8
        .value_kind:     global_buffer
      - .offset:         64
        .size:           16
        .value_kind:     by_value
      - .address_space:  global
        .offset:         80
        .size:           8
        .value_kind:     global_buffer
      - .offset:         88
        .size:           4
        .value_kind:     by_value
      - .offset:         92
        .size:           1
        .value_kind:     by_value
      - .offset:         96
        .size:           4
        .value_kind:     hidden_block_count_x
      - .offset:         100
        .size:           4
        .value_kind:     hidden_block_count_y
      - .offset:         104
        .size:           4
        .value_kind:     hidden_block_count_z
      - .offset:         108
        .size:           2
        .value_kind:     hidden_group_size_x
      - .offset:         110
        .size:           2
        .value_kind:     hidden_group_size_y
      - .offset:         112
        .size:           2
        .value_kind:     hidden_group_size_z
      - .offset:         114
        .size:           2
        .value_kind:     hidden_remainder_x
      - .offset:         116
        .size:           2
        .value_kind:     hidden_remainder_y
      - .offset:         118
        .size:           2
        .value_kind:     hidden_remainder_z
      - .offset:         136
        .size:           8
        .value_kind:     hidden_global_offset_x
      - .offset:         144
        .size:           8
        .value_kind:     hidden_global_offset_y
      - .offset:         152
        .size:           8
        .value_kind:     hidden_global_offset_z
      - .offset:         160
        .size:           2
        .value_kind:     hidden_grid_dims
    .group_segment_fixed_size: 0
    .kernarg_segment_align: 8
    .kernarg_segment_size: 352
    .language:       OpenCL C
    .language_version:
      - 2
      - 0
    .max_flat_workgroup_size: 256
    .name:           _ZN9rocsparseL21csrmvn_general_kernelILj256ELj32Eii21rocsparse_complex_numIfES1_IdES3_S3_EEvbT2_NS_24const_host_device_scalarIT6_EEPKT1_SA_PKS4_PKT3_PKT4_S7_PT5_21rocsparse_index_base_b
    .private_segment_fixed_size: 0
    .sgpr_count:     26
    .sgpr_spill_count: 0
    .symbol:         _ZN9rocsparseL21csrmvn_general_kernelILj256ELj32Eii21rocsparse_complex_numIfES1_IdES3_S3_EEvbT2_NS_24const_host_device_scalarIT6_EEPKT1_SA_PKS4_PKT3_PKT4_S7_PT5_21rocsparse_index_base_b.kd
    .uniform_work_group_size: 1
    .uses_dynamic_stack: false
    .vgpr_count:     32
    .vgpr_spill_count: 0
    .wavefront_size: 32
  - .args:
      - .offset:         0
        .size:           1
        .value_kind:     by_value
      - .offset:         4
        .size:           4
        .value_kind:     by_value
      - .offset:         8
        .size:           16
        .value_kind:     by_value
      - .address_space:  global
        .offset:         24
        .size:           8
        .value_kind:     global_buffer
      - .address_space:  global
        .offset:         32
        .size:           8
        .value_kind:     global_buffer
      - .actual_access:  read_only
        .address_space:  global
        .offset:         40
        .size:           8
        .value_kind:     global_buffer
      - .actual_access:  read_only
        .address_space:  global
        .offset:         48
        .size:           8
        .value_kind:     global_buffer
      - .actual_access:  read_only
        .address_space:  global
        .offset:         56
        .size:           8
        .value_kind:     global_buffer
      - .offset:         64
        .size:           16
        .value_kind:     by_value
      - .address_space:  global
        .offset:         80
        .size:           8
        .value_kind:     global_buffer
      - .offset:         88
        .size:           4
        .value_kind:     by_value
      - .offset:         92
        .size:           1
        .value_kind:     by_value
      - .offset:         96
        .size:           4
        .value_kind:     hidden_block_count_x
      - .offset:         100
        .size:           4
        .value_kind:     hidden_block_count_y
      - .offset:         104
        .size:           4
        .value_kind:     hidden_block_count_z
      - .offset:         108
        .size:           2
        .value_kind:     hidden_group_size_x
      - .offset:         110
        .size:           2
        .value_kind:     hidden_group_size_y
      - .offset:         112
        .size:           2
        .value_kind:     hidden_group_size_z
      - .offset:         114
        .size:           2
        .value_kind:     hidden_remainder_x
      - .offset:         116
        .size:           2
        .value_kind:     hidden_remainder_y
      - .offset:         118
        .size:           2
        .value_kind:     hidden_remainder_z
      - .offset:         136
        .size:           8
        .value_kind:     hidden_global_offset_x
      - .offset:         144
        .size:           8
        .value_kind:     hidden_global_offset_y
      - .offset:         152
        .size:           8
        .value_kind:     hidden_global_offset_z
      - .offset:         160
        .size:           2
        .value_kind:     hidden_grid_dims
    .group_segment_fixed_size: 0
    .kernarg_segment_align: 8
    .kernarg_segment_size: 352
    .language:       OpenCL C
    .language_version:
      - 2
      - 0
    .max_flat_workgroup_size: 256
    .name:           _ZN9rocsparseL21csrmvn_general_kernelILj256ELj64Eii21rocsparse_complex_numIfES1_IdES3_S3_EEvbT2_NS_24const_host_device_scalarIT6_EEPKT1_SA_PKS4_PKT3_PKT4_S7_PT5_21rocsparse_index_base_b
    .private_segment_fixed_size: 0
    .sgpr_count:     24
    .sgpr_spill_count: 0
    .symbol:         _ZN9rocsparseL21csrmvn_general_kernelILj256ELj64Eii21rocsparse_complex_numIfES1_IdES3_S3_EEvbT2_NS_24const_host_device_scalarIT6_EEPKT1_SA_PKS4_PKT3_PKT4_S7_PT5_21rocsparse_index_base_b.kd
    .uniform_work_group_size: 1
    .uses_dynamic_stack: false
    .vgpr_count:     34
    .vgpr_spill_count: 0
    .wavefront_size: 32
  - .args:
      - .offset:         0
        .size:           1
        .value_kind:     by_value
      - .offset:         1
        .size:           1
        .value_kind:     by_value
      - .offset:         4
        .size:           4
        .value_kind:     by_value
      - .offset:         8
        .size:           16
        .value_kind:     by_value
      - .address_space:  global
        .offset:         24
        .size:           8
        .value_kind:     global_buffer
      - .address_space:  global
        .offset:         32
        .size:           8
        .value_kind:     global_buffer
      - .actual_access:  read_only
        .address_space:  global
        .offset:         40
        .size:           8
        .value_kind:     global_buffer
      - .actual_access:  read_only
        .address_space:  global
        .offset:         48
        .size:           8
        .value_kind:     global_buffer
      - .actual_access:  read_only
        .address_space:  global
        .offset:         56
        .size:           8
        .value_kind:     global_buffer
      - .address_space:  global
        .offset:         64
        .size:           8
        .value_kind:     global_buffer
      - .offset:         72
        .size:           4
        .value_kind:     by_value
      - .offset:         76
        .size:           1
        .value_kind:     by_value
      - .offset:         80
        .size:           4
        .value_kind:     hidden_block_count_x
      - .offset:         84
        .size:           4
        .value_kind:     hidden_block_count_y
      - .offset:         88
        .size:           4
        .value_kind:     hidden_block_count_z
      - .offset:         92
        .size:           2
        .value_kind:     hidden_group_size_x
      - .offset:         94
        .size:           2
        .value_kind:     hidden_group_size_y
      - .offset:         96
        .size:           2
        .value_kind:     hidden_group_size_z
      - .offset:         98
        .size:           2
        .value_kind:     hidden_remainder_x
      - .offset:         100
        .size:           2
        .value_kind:     hidden_remainder_y
      - .offset:         102
        .size:           2
        .value_kind:     hidden_remainder_z
      - .offset:         120
        .size:           8
        .value_kind:     hidden_global_offset_x
      - .offset:         128
        .size:           8
        .value_kind:     hidden_global_offset_y
      - .offset:         136
        .size:           8
        .value_kind:     hidden_global_offset_z
      - .offset:         144
        .size:           2
        .value_kind:     hidden_grid_dims
    .group_segment_fixed_size: 0
    .kernarg_segment_align: 8
    .kernarg_segment_size: 336
    .language:       OpenCL C
    .language_version:
      - 2
      - 0
    .max_flat_workgroup_size: 256
    .name:           _ZN9rocsparseL21csrmvt_general_kernelILj256ELj4Eii21rocsparse_complex_numIfES1_IdES3_S3_EEvbbT2_NS_24const_host_device_scalarIT6_EEPKT1_SA_PKS4_PKT3_PKT4_PT5_21rocsparse_index_base_b
    .private_segment_fixed_size: 0
    .sgpr_count:     23
    .sgpr_spill_count: 0
    .symbol:         _ZN9rocsparseL21csrmvt_general_kernelILj256ELj4Eii21rocsparse_complex_numIfES1_IdES3_S3_EEvbbT2_NS_24const_host_device_scalarIT6_EEPKT1_SA_PKS4_PKT3_PKT4_PT5_21rocsparse_index_base_b.kd
    .uniform_work_group_size: 1
    .uses_dynamic_stack: false
    .vgpr_count:     22
    .vgpr_spill_count: 0
    .wavefront_size: 32
  - .args:
      - .offset:         0
        .size:           1
        .value_kind:     by_value
      - .offset:         1
        .size:           1
        .value_kind:     by_value
      - .offset:         4
        .size:           4
        .value_kind:     by_value
      - .offset:         8
        .size:           16
        .value_kind:     by_value
      - .address_space:  global
        .offset:         24
        .size:           8
        .value_kind:     global_buffer
      - .address_space:  global
        .offset:         32
        .size:           8
        .value_kind:     global_buffer
      - .actual_access:  read_only
        .address_space:  global
        .offset:         40
        .size:           8
        .value_kind:     global_buffer
      - .actual_access:  read_only
        .address_space:  global
        .offset:         48
        .size:           8
        .value_kind:     global_buffer
      - .actual_access:  read_only
        .address_space:  global
        .offset:         56
        .size:           8
        .value_kind:     global_buffer
      - .address_space:  global
        .offset:         64
        .size:           8
        .value_kind:     global_buffer
      - .offset:         72
        .size:           4
        .value_kind:     by_value
      - .offset:         76
        .size:           1
        .value_kind:     by_value
      - .offset:         80
        .size:           4
        .value_kind:     hidden_block_count_x
      - .offset:         84
        .size:           4
        .value_kind:     hidden_block_count_y
      - .offset:         88
        .size:           4
        .value_kind:     hidden_block_count_z
      - .offset:         92
        .size:           2
        .value_kind:     hidden_group_size_x
      - .offset:         94
        .size:           2
        .value_kind:     hidden_group_size_y
      - .offset:         96
        .size:           2
        .value_kind:     hidden_group_size_z
      - .offset:         98
        .size:           2
        .value_kind:     hidden_remainder_x
      - .offset:         100
        .size:           2
        .value_kind:     hidden_remainder_y
      - .offset:         102
        .size:           2
        .value_kind:     hidden_remainder_z
      - .offset:         120
        .size:           8
        .value_kind:     hidden_global_offset_x
      - .offset:         128
        .size:           8
        .value_kind:     hidden_global_offset_y
      - .offset:         136
        .size:           8
        .value_kind:     hidden_global_offset_z
      - .offset:         144
        .size:           2
        .value_kind:     hidden_grid_dims
    .group_segment_fixed_size: 0
    .kernarg_segment_align: 8
    .kernarg_segment_size: 336
    .language:       OpenCL C
    .language_version:
      - 2
      - 0
    .max_flat_workgroup_size: 256
    .name:           _ZN9rocsparseL21csrmvt_general_kernelILj256ELj8Eii21rocsparse_complex_numIfES1_IdES3_S3_EEvbbT2_NS_24const_host_device_scalarIT6_EEPKT1_SA_PKS4_PKT3_PKT4_PT5_21rocsparse_index_base_b
    .private_segment_fixed_size: 0
    .sgpr_count:     23
    .sgpr_spill_count: 0
    .symbol:         _ZN9rocsparseL21csrmvt_general_kernelILj256ELj8Eii21rocsparse_complex_numIfES1_IdES3_S3_EEvbbT2_NS_24const_host_device_scalarIT6_EEPKT1_SA_PKS4_PKT3_PKT4_PT5_21rocsparse_index_base_b.kd
    .uniform_work_group_size: 1
    .uses_dynamic_stack: false
    .vgpr_count:     22
    .vgpr_spill_count: 0
    .wavefront_size: 32
  - .args:
      - .offset:         0
        .size:           1
        .value_kind:     by_value
      - .offset:         1
        .size:           1
        .value_kind:     by_value
      - .offset:         4
        .size:           4
        .value_kind:     by_value
      - .offset:         8
        .size:           16
        .value_kind:     by_value
      - .address_space:  global
        .offset:         24
        .size:           8
        .value_kind:     global_buffer
      - .address_space:  global
        .offset:         32
        .size:           8
        .value_kind:     global_buffer
      - .actual_access:  read_only
        .address_space:  global
        .offset:         40
        .size:           8
        .value_kind:     global_buffer
      - .actual_access:  read_only
        .address_space:  global
        .offset:         48
        .size:           8
        .value_kind:     global_buffer
      - .actual_access:  read_only
        .address_space:  global
        .offset:         56
        .size:           8
        .value_kind:     global_buffer
      - .address_space:  global
        .offset:         64
        .size:           8
        .value_kind:     global_buffer
      - .offset:         72
        .size:           4
        .value_kind:     by_value
      - .offset:         76
        .size:           1
        .value_kind:     by_value
      - .offset:         80
        .size:           4
        .value_kind:     hidden_block_count_x
      - .offset:         84
        .size:           4
        .value_kind:     hidden_block_count_y
      - .offset:         88
        .size:           4
        .value_kind:     hidden_block_count_z
      - .offset:         92
        .size:           2
        .value_kind:     hidden_group_size_x
      - .offset:         94
        .size:           2
        .value_kind:     hidden_group_size_y
      - .offset:         96
        .size:           2
        .value_kind:     hidden_group_size_z
      - .offset:         98
        .size:           2
        .value_kind:     hidden_remainder_x
      - .offset:         100
        .size:           2
        .value_kind:     hidden_remainder_y
      - .offset:         102
        .size:           2
        .value_kind:     hidden_remainder_z
      - .offset:         120
        .size:           8
        .value_kind:     hidden_global_offset_x
      - .offset:         128
        .size:           8
        .value_kind:     hidden_global_offset_y
      - .offset:         136
        .size:           8
        .value_kind:     hidden_global_offset_z
      - .offset:         144
        .size:           2
        .value_kind:     hidden_grid_dims
    .group_segment_fixed_size: 0
    .kernarg_segment_align: 8
    .kernarg_segment_size: 336
    .language:       OpenCL C
    .language_version:
      - 2
      - 0
    .max_flat_workgroup_size: 256
    .name:           _ZN9rocsparseL21csrmvt_general_kernelILj256ELj16Eii21rocsparse_complex_numIfES1_IdES3_S3_EEvbbT2_NS_24const_host_device_scalarIT6_EEPKT1_SA_PKS4_PKT3_PKT4_PT5_21rocsparse_index_base_b
    .private_segment_fixed_size: 0
    .sgpr_count:     23
    .sgpr_spill_count: 0
    .symbol:         _ZN9rocsparseL21csrmvt_general_kernelILj256ELj16Eii21rocsparse_complex_numIfES1_IdES3_S3_EEvbbT2_NS_24const_host_device_scalarIT6_EEPKT1_SA_PKS4_PKT3_PKT4_PT5_21rocsparse_index_base_b.kd
    .uniform_work_group_size: 1
    .uses_dynamic_stack: false
    .vgpr_count:     22
    .vgpr_spill_count: 0
    .wavefront_size: 32
  - .args:
      - .offset:         0
        .size:           1
        .value_kind:     by_value
      - .offset:         1
        .size:           1
        .value_kind:     by_value
      - .offset:         4
        .size:           4
        .value_kind:     by_value
      - .offset:         8
        .size:           16
        .value_kind:     by_value
      - .address_space:  global
        .offset:         24
        .size:           8
        .value_kind:     global_buffer
      - .address_space:  global
        .offset:         32
        .size:           8
        .value_kind:     global_buffer
      - .actual_access:  read_only
        .address_space:  global
        .offset:         40
        .size:           8
        .value_kind:     global_buffer
      - .actual_access:  read_only
        .address_space:  global
        .offset:         48
        .size:           8
        .value_kind:     global_buffer
      - .actual_access:  read_only
        .address_space:  global
        .offset:         56
        .size:           8
        .value_kind:     global_buffer
      - .address_space:  global
        .offset:         64
        .size:           8
        .value_kind:     global_buffer
      - .offset:         72
        .size:           4
        .value_kind:     by_value
      - .offset:         76
        .size:           1
        .value_kind:     by_value
      - .offset:         80
        .size:           4
        .value_kind:     hidden_block_count_x
      - .offset:         84
        .size:           4
        .value_kind:     hidden_block_count_y
      - .offset:         88
        .size:           4
        .value_kind:     hidden_block_count_z
      - .offset:         92
        .size:           2
        .value_kind:     hidden_group_size_x
      - .offset:         94
        .size:           2
        .value_kind:     hidden_group_size_y
      - .offset:         96
        .size:           2
        .value_kind:     hidden_group_size_z
      - .offset:         98
        .size:           2
        .value_kind:     hidden_remainder_x
      - .offset:         100
        .size:           2
        .value_kind:     hidden_remainder_y
      - .offset:         102
        .size:           2
        .value_kind:     hidden_remainder_z
      - .offset:         120
        .size:           8
        .value_kind:     hidden_global_offset_x
      - .offset:         128
        .size:           8
        .value_kind:     hidden_global_offset_y
      - .offset:         136
        .size:           8
        .value_kind:     hidden_global_offset_z
      - .offset:         144
        .size:           2
        .value_kind:     hidden_grid_dims
    .group_segment_fixed_size: 0
    .kernarg_segment_align: 8
    .kernarg_segment_size: 336
    .language:       OpenCL C
    .language_version:
      - 2
      - 0
    .max_flat_workgroup_size: 256
    .name:           _ZN9rocsparseL21csrmvt_general_kernelILj256ELj32Eii21rocsparse_complex_numIfES1_IdES3_S3_EEvbbT2_NS_24const_host_device_scalarIT6_EEPKT1_SA_PKS4_PKT3_PKT4_PT5_21rocsparse_index_base_b
    .private_segment_fixed_size: 0
    .sgpr_count:     23
    .sgpr_spill_count: 0
    .symbol:         _ZN9rocsparseL21csrmvt_general_kernelILj256ELj32Eii21rocsparse_complex_numIfES1_IdES3_S3_EEvbbT2_NS_24const_host_device_scalarIT6_EEPKT1_SA_PKS4_PKT3_PKT4_PT5_21rocsparse_index_base_b.kd
    .uniform_work_group_size: 1
    .uses_dynamic_stack: false
    .vgpr_count:     22
    .vgpr_spill_count: 0
    .wavefront_size: 32
  - .args:
      - .offset:         0
        .size:           1
        .value_kind:     by_value
      - .offset:         1
        .size:           1
        .value_kind:     by_value
      - .offset:         4
        .size:           4
        .value_kind:     by_value
      - .offset:         8
        .size:           16
        .value_kind:     by_value
      - .address_space:  global
        .offset:         24
        .size:           8
        .value_kind:     global_buffer
      - .address_space:  global
        .offset:         32
        .size:           8
        .value_kind:     global_buffer
      - .actual_access:  read_only
        .address_space:  global
        .offset:         40
        .size:           8
        .value_kind:     global_buffer
      - .actual_access:  read_only
        .address_space:  global
        .offset:         48
        .size:           8
        .value_kind:     global_buffer
      - .actual_access:  read_only
        .address_space:  global
        .offset:         56
        .size:           8
        .value_kind:     global_buffer
      - .address_space:  global
        .offset:         64
        .size:           8
        .value_kind:     global_buffer
      - .offset:         72
        .size:           4
        .value_kind:     by_value
      - .offset:         76
        .size:           1
        .value_kind:     by_value
      - .offset:         80
        .size:           4
        .value_kind:     hidden_block_count_x
      - .offset:         84
        .size:           4
        .value_kind:     hidden_block_count_y
      - .offset:         88
        .size:           4
        .value_kind:     hidden_block_count_z
      - .offset:         92
        .size:           2
        .value_kind:     hidden_group_size_x
      - .offset:         94
        .size:           2
        .value_kind:     hidden_group_size_y
      - .offset:         96
        .size:           2
        .value_kind:     hidden_group_size_z
      - .offset:         98
        .size:           2
        .value_kind:     hidden_remainder_x
      - .offset:         100
        .size:           2
        .value_kind:     hidden_remainder_y
      - .offset:         102
        .size:           2
        .value_kind:     hidden_remainder_z
      - .offset:         120
        .size:           8
        .value_kind:     hidden_global_offset_x
      - .offset:         128
        .size:           8
        .value_kind:     hidden_global_offset_y
      - .offset:         136
        .size:           8
        .value_kind:     hidden_global_offset_z
      - .offset:         144
        .size:           2
        .value_kind:     hidden_grid_dims
    .group_segment_fixed_size: 0
    .kernarg_segment_align: 8
    .kernarg_segment_size: 336
    .language:       OpenCL C
    .language_version:
      - 2
      - 0
    .max_flat_workgroup_size: 256
    .name:           _ZN9rocsparseL21csrmvt_general_kernelILj256ELj64Eii21rocsparse_complex_numIfES1_IdES3_S3_EEvbbT2_NS_24const_host_device_scalarIT6_EEPKT1_SA_PKS4_PKT3_PKT4_PT5_21rocsparse_index_base_b
    .private_segment_fixed_size: 0
    .sgpr_count:     23
    .sgpr_spill_count: 0
    .symbol:         _ZN9rocsparseL21csrmvt_general_kernelILj256ELj64Eii21rocsparse_complex_numIfES1_IdES3_S3_EEvbbT2_NS_24const_host_device_scalarIT6_EEPKT1_SA_PKS4_PKT3_PKT4_PT5_21rocsparse_index_base_b.kd
    .uniform_work_group_size: 1
    .uses_dynamic_stack: false
    .vgpr_count:     22
    .vgpr_spill_count: 0
    .wavefront_size: 32
  - .args:
      - .offset:         0
        .size:           1
        .value_kind:     by_value
      - .offset:         4
        .size:           4
        .value_kind:     by_value
      - .offset:         8
        .size:           16
        .value_kind:     by_value
      - .address_space:  global
        .offset:         24
        .size:           8
        .value_kind:     global_buffer
      - .address_space:  global
        .offset:         32
        .size:           8
        .value_kind:     global_buffer
      - .actual_access:  read_only
        .address_space:  global
        .offset:         40
        .size:           8
        .value_kind:     global_buffer
      - .actual_access:  read_only
        .address_space:  global
        .offset:         48
        .size:           8
        .value_kind:     global_buffer
      - .actual_access:  read_only
        .address_space:  global
        .offset:         56
        .size:           8
        .value_kind:     global_buffer
      - .offset:         64
        .size:           16
        .value_kind:     by_value
      - .address_space:  global
        .offset:         80
        .size:           8
        .value_kind:     global_buffer
      - .offset:         88
        .size:           4
        .value_kind:     by_value
      - .offset:         92
        .size:           1
        .value_kind:     by_value
      - .offset:         96
        .size:           4
        .value_kind:     hidden_block_count_x
      - .offset:         100
        .size:           4
        .value_kind:     hidden_block_count_y
      - .offset:         104
        .size:           4
        .value_kind:     hidden_block_count_z
      - .offset:         108
        .size:           2
        .value_kind:     hidden_group_size_x
      - .offset:         110
        .size:           2
        .value_kind:     hidden_group_size_y
      - .offset:         112
        .size:           2
        .value_kind:     hidden_group_size_z
      - .offset:         114
        .size:           2
        .value_kind:     hidden_remainder_x
      - .offset:         116
        .size:           2
        .value_kind:     hidden_remainder_y
      - .offset:         118
        .size:           2
        .value_kind:     hidden_remainder_z
      - .offset:         136
        .size:           8
        .value_kind:     hidden_global_offset_x
      - .offset:         144
        .size:           8
        .value_kind:     hidden_global_offset_y
      - .offset:         152
        .size:           8
        .value_kind:     hidden_global_offset_z
      - .offset:         160
        .size:           2
        .value_kind:     hidden_grid_dims
    .group_segment_fixed_size: 0
    .kernarg_segment_align: 8
    .kernarg_segment_size: 352
    .language:       OpenCL C
    .language_version:
      - 2
      - 0
    .max_flat_workgroup_size: 256
    .name:           _ZN9rocsparseL21csrmvn_general_kernelILj256ELj2Eli21rocsparse_complex_numIfES1_IdES3_S3_EEvbT2_NS_24const_host_device_scalarIT6_EEPKT1_SA_PKS4_PKT3_PKT4_S7_PT5_21rocsparse_index_base_b
    .private_segment_fixed_size: 0
    .sgpr_count:     24
    .sgpr_spill_count: 0
    .symbol:         _ZN9rocsparseL21csrmvn_general_kernelILj256ELj2Eli21rocsparse_complex_numIfES1_IdES3_S3_EEvbT2_NS_24const_host_device_scalarIT6_EEPKT1_SA_PKS4_PKT3_PKT4_S7_PT5_21rocsparse_index_base_b.kd
    .uniform_work_group_size: 1
    .uses_dynamic_stack: false
    .vgpr_count:     36
    .vgpr_spill_count: 0
    .wavefront_size: 32
  - .args:
      - .offset:         0
        .size:           1
        .value_kind:     by_value
      - .offset:         4
        .size:           4
        .value_kind:     by_value
      - .offset:         8
        .size:           16
        .value_kind:     by_value
      - .address_space:  global
        .offset:         24
        .size:           8
        .value_kind:     global_buffer
      - .address_space:  global
        .offset:         32
        .size:           8
        .value_kind:     global_buffer
      - .actual_access:  read_only
        .address_space:  global
        .offset:         40
        .size:           8
        .value_kind:     global_buffer
      - .actual_access:  read_only
        .address_space:  global
        .offset:         48
        .size:           8
        .value_kind:     global_buffer
      - .actual_access:  read_only
        .address_space:  global
        .offset:         56
        .size:           8
        .value_kind:     global_buffer
      - .offset:         64
        .size:           16
        .value_kind:     by_value
      - .address_space:  global
        .offset:         80
        .size:           8
        .value_kind:     global_buffer
      - .offset:         88
        .size:           4
        .value_kind:     by_value
      - .offset:         92
        .size:           1
        .value_kind:     by_value
      - .offset:         96
        .size:           4
        .value_kind:     hidden_block_count_x
      - .offset:         100
        .size:           4
        .value_kind:     hidden_block_count_y
      - .offset:         104
        .size:           4
        .value_kind:     hidden_block_count_z
      - .offset:         108
        .size:           2
        .value_kind:     hidden_group_size_x
      - .offset:         110
        .size:           2
        .value_kind:     hidden_group_size_y
      - .offset:         112
        .size:           2
        .value_kind:     hidden_group_size_z
      - .offset:         114
        .size:           2
        .value_kind:     hidden_remainder_x
      - .offset:         116
        .size:           2
        .value_kind:     hidden_remainder_y
      - .offset:         118
        .size:           2
        .value_kind:     hidden_remainder_z
      - .offset:         136
        .size:           8
        .value_kind:     hidden_global_offset_x
      - .offset:         144
        .size:           8
        .value_kind:     hidden_global_offset_y
      - .offset:         152
        .size:           8
        .value_kind:     hidden_global_offset_z
      - .offset:         160
        .size:           2
        .value_kind:     hidden_grid_dims
    .group_segment_fixed_size: 0
    .kernarg_segment_align: 8
    .kernarg_segment_size: 352
    .language:       OpenCL C
    .language_version:
      - 2
      - 0
    .max_flat_workgroup_size: 256
    .name:           _ZN9rocsparseL21csrmvn_general_kernelILj256ELj4Eli21rocsparse_complex_numIfES1_IdES3_S3_EEvbT2_NS_24const_host_device_scalarIT6_EEPKT1_SA_PKS4_PKT3_PKT4_S7_PT5_21rocsparse_index_base_b
    .private_segment_fixed_size: 0
    .sgpr_count:     24
    .sgpr_spill_count: 0
    .symbol:         _ZN9rocsparseL21csrmvn_general_kernelILj256ELj4Eli21rocsparse_complex_numIfES1_IdES3_S3_EEvbT2_NS_24const_host_device_scalarIT6_EEPKT1_SA_PKS4_PKT3_PKT4_S7_PT5_21rocsparse_index_base_b.kd
    .uniform_work_group_size: 1
    .uses_dynamic_stack: false
    .vgpr_count:     36
    .vgpr_spill_count: 0
    .wavefront_size: 32
  - .args:
      - .offset:         0
        .size:           1
        .value_kind:     by_value
      - .offset:         4
        .size:           4
        .value_kind:     by_value
      - .offset:         8
        .size:           16
        .value_kind:     by_value
      - .address_space:  global
        .offset:         24
        .size:           8
        .value_kind:     global_buffer
      - .address_space:  global
        .offset:         32
        .size:           8
        .value_kind:     global_buffer
      - .actual_access:  read_only
        .address_space:  global
        .offset:         40
        .size:           8
        .value_kind:     global_buffer
      - .actual_access:  read_only
        .address_space:  global
        .offset:         48
        .size:           8
        .value_kind:     global_buffer
      - .actual_access:  read_only
        .address_space:  global
        .offset:         56
        .size:           8
        .value_kind:     global_buffer
      - .offset:         64
        .size:           16
        .value_kind:     by_value
      - .address_space:  global
        .offset:         80
        .size:           8
        .value_kind:     global_buffer
      - .offset:         88
        .size:           4
        .value_kind:     by_value
      - .offset:         92
        .size:           1
        .value_kind:     by_value
      - .offset:         96
        .size:           4
        .value_kind:     hidden_block_count_x
      - .offset:         100
        .size:           4
        .value_kind:     hidden_block_count_y
      - .offset:         104
        .size:           4
        .value_kind:     hidden_block_count_z
      - .offset:         108
        .size:           2
        .value_kind:     hidden_group_size_x
      - .offset:         110
        .size:           2
        .value_kind:     hidden_group_size_y
      - .offset:         112
        .size:           2
        .value_kind:     hidden_group_size_z
      - .offset:         114
        .size:           2
        .value_kind:     hidden_remainder_x
      - .offset:         116
        .size:           2
        .value_kind:     hidden_remainder_y
      - .offset:         118
        .size:           2
        .value_kind:     hidden_remainder_z
      - .offset:         136
        .size:           8
        .value_kind:     hidden_global_offset_x
      - .offset:         144
        .size:           8
        .value_kind:     hidden_global_offset_y
      - .offset:         152
        .size:           8
        .value_kind:     hidden_global_offset_z
      - .offset:         160
        .size:           2
        .value_kind:     hidden_grid_dims
    .group_segment_fixed_size: 0
    .kernarg_segment_align: 8
    .kernarg_segment_size: 352
    .language:       OpenCL C
    .language_version:
      - 2
      - 0
    .max_flat_workgroup_size: 256
    .name:           _ZN9rocsparseL21csrmvn_general_kernelILj256ELj8Eli21rocsparse_complex_numIfES1_IdES3_S3_EEvbT2_NS_24const_host_device_scalarIT6_EEPKT1_SA_PKS4_PKT3_PKT4_S7_PT5_21rocsparse_index_base_b
    .private_segment_fixed_size: 0
    .sgpr_count:     24
    .sgpr_spill_count: 0
    .symbol:         _ZN9rocsparseL21csrmvn_general_kernelILj256ELj8Eli21rocsparse_complex_numIfES1_IdES3_S3_EEvbT2_NS_24const_host_device_scalarIT6_EEPKT1_SA_PKS4_PKT3_PKT4_S7_PT5_21rocsparse_index_base_b.kd
    .uniform_work_group_size: 1
    .uses_dynamic_stack: false
    .vgpr_count:     38
    .vgpr_spill_count: 0
    .wavefront_size: 32
  - .args:
      - .offset:         0
        .size:           1
        .value_kind:     by_value
      - .offset:         4
        .size:           4
        .value_kind:     by_value
      - .offset:         8
        .size:           16
        .value_kind:     by_value
      - .address_space:  global
        .offset:         24
        .size:           8
        .value_kind:     global_buffer
      - .address_space:  global
        .offset:         32
        .size:           8
        .value_kind:     global_buffer
      - .actual_access:  read_only
        .address_space:  global
        .offset:         40
        .size:           8
        .value_kind:     global_buffer
      - .actual_access:  read_only
        .address_space:  global
        .offset:         48
        .size:           8
        .value_kind:     global_buffer
      - .actual_access:  read_only
        .address_space:  global
        .offset:         56
        .size:           8
        .value_kind:     global_buffer
      - .offset:         64
        .size:           16
        .value_kind:     by_value
      - .address_space:  global
        .offset:         80
        .size:           8
        .value_kind:     global_buffer
      - .offset:         88
        .size:           4
        .value_kind:     by_value
      - .offset:         92
        .size:           1
        .value_kind:     by_value
      - .offset:         96
        .size:           4
        .value_kind:     hidden_block_count_x
      - .offset:         100
        .size:           4
        .value_kind:     hidden_block_count_y
      - .offset:         104
        .size:           4
        .value_kind:     hidden_block_count_z
      - .offset:         108
        .size:           2
        .value_kind:     hidden_group_size_x
      - .offset:         110
        .size:           2
        .value_kind:     hidden_group_size_y
      - .offset:         112
        .size:           2
        .value_kind:     hidden_group_size_z
      - .offset:         114
        .size:           2
        .value_kind:     hidden_remainder_x
      - .offset:         116
        .size:           2
        .value_kind:     hidden_remainder_y
      - .offset:         118
        .size:           2
        .value_kind:     hidden_remainder_z
      - .offset:         136
        .size:           8
        .value_kind:     hidden_global_offset_x
      - .offset:         144
        .size:           8
        .value_kind:     hidden_global_offset_y
      - .offset:         152
        .size:           8
        .value_kind:     hidden_global_offset_z
      - .offset:         160
        .size:           2
        .value_kind:     hidden_grid_dims
    .group_segment_fixed_size: 0
    .kernarg_segment_align: 8
    .kernarg_segment_size: 352
    .language:       OpenCL C
    .language_version:
      - 2
      - 0
    .max_flat_workgroup_size: 256
    .name:           _ZN9rocsparseL21csrmvn_general_kernelILj256ELj16Eli21rocsparse_complex_numIfES1_IdES3_S3_EEvbT2_NS_24const_host_device_scalarIT6_EEPKT1_SA_PKS4_PKT3_PKT4_S7_PT5_21rocsparse_index_base_b
    .private_segment_fixed_size: 0
    .sgpr_count:     24
    .sgpr_spill_count: 0
    .symbol:         _ZN9rocsparseL21csrmvn_general_kernelILj256ELj16Eli21rocsparse_complex_numIfES1_IdES3_S3_EEvbT2_NS_24const_host_device_scalarIT6_EEPKT1_SA_PKS4_PKT3_PKT4_S7_PT5_21rocsparse_index_base_b.kd
    .uniform_work_group_size: 1
    .uses_dynamic_stack: false
    .vgpr_count:     38
    .vgpr_spill_count: 0
    .wavefront_size: 32
  - .args:
      - .offset:         0
        .size:           1
        .value_kind:     by_value
      - .offset:         4
        .size:           4
        .value_kind:     by_value
      - .offset:         8
        .size:           16
        .value_kind:     by_value
      - .address_space:  global
        .offset:         24
        .size:           8
        .value_kind:     global_buffer
      - .address_space:  global
        .offset:         32
        .size:           8
        .value_kind:     global_buffer
      - .actual_access:  read_only
        .address_space:  global
        .offset:         40
        .size:           8
        .value_kind:     global_buffer
      - .actual_access:  read_only
        .address_space:  global
        .offset:         48
        .size:           8
        .value_kind:     global_buffer
      - .actual_access:  read_only
        .address_space:  global
        .offset:         56
        .size:           8
        .value_kind:     global_buffer
      - .offset:         64
        .size:           16
        .value_kind:     by_value
      - .address_space:  global
        .offset:         80
        .size:           8
        .value_kind:     global_buffer
      - .offset:         88
        .size:           4
        .value_kind:     by_value
      - .offset:         92
        .size:           1
        .value_kind:     by_value
      - .offset:         96
        .size:           4
        .value_kind:     hidden_block_count_x
      - .offset:         100
        .size:           4
        .value_kind:     hidden_block_count_y
      - .offset:         104
        .size:           4
        .value_kind:     hidden_block_count_z
      - .offset:         108
        .size:           2
        .value_kind:     hidden_group_size_x
      - .offset:         110
        .size:           2
        .value_kind:     hidden_group_size_y
      - .offset:         112
        .size:           2
        .value_kind:     hidden_group_size_z
      - .offset:         114
        .size:           2
        .value_kind:     hidden_remainder_x
      - .offset:         116
        .size:           2
        .value_kind:     hidden_remainder_y
      - .offset:         118
        .size:           2
        .value_kind:     hidden_remainder_z
      - .offset:         136
        .size:           8
        .value_kind:     hidden_global_offset_x
      - .offset:         144
        .size:           8
        .value_kind:     hidden_global_offset_y
      - .offset:         152
        .size:           8
        .value_kind:     hidden_global_offset_z
      - .offset:         160
        .size:           2
        .value_kind:     hidden_grid_dims
    .group_segment_fixed_size: 0
    .kernarg_segment_align: 8
    .kernarg_segment_size: 352
    .language:       OpenCL C
    .language_version:
      - 2
      - 0
    .max_flat_workgroup_size: 256
    .name:           _ZN9rocsparseL21csrmvn_general_kernelILj256ELj32Eli21rocsparse_complex_numIfES1_IdES3_S3_EEvbT2_NS_24const_host_device_scalarIT6_EEPKT1_SA_PKS4_PKT3_PKT4_S7_PT5_21rocsparse_index_base_b
    .private_segment_fixed_size: 0
    .sgpr_count:     24
    .sgpr_spill_count: 0
    .symbol:         _ZN9rocsparseL21csrmvn_general_kernelILj256ELj32Eli21rocsparse_complex_numIfES1_IdES3_S3_EEvbT2_NS_24const_host_device_scalarIT6_EEPKT1_SA_PKS4_PKT3_PKT4_S7_PT5_21rocsparse_index_base_b.kd
    .uniform_work_group_size: 1
    .uses_dynamic_stack: false
    .vgpr_count:     40
    .vgpr_spill_count: 0
    .wavefront_size: 32
  - .args:
      - .offset:         0
        .size:           1
        .value_kind:     by_value
      - .offset:         4
        .size:           4
        .value_kind:     by_value
      - .offset:         8
        .size:           16
        .value_kind:     by_value
      - .address_space:  global
        .offset:         24
        .size:           8
        .value_kind:     global_buffer
      - .address_space:  global
        .offset:         32
        .size:           8
        .value_kind:     global_buffer
      - .actual_access:  read_only
        .address_space:  global
        .offset:         40
        .size:           8
        .value_kind:     global_buffer
      - .actual_access:  read_only
        .address_space:  global
        .offset:         48
        .size:           8
        .value_kind:     global_buffer
      - .actual_access:  read_only
        .address_space:  global
        .offset:         56
        .size:           8
        .value_kind:     global_buffer
      - .offset:         64
        .size:           16
        .value_kind:     by_value
      - .address_space:  global
        .offset:         80
        .size:           8
        .value_kind:     global_buffer
      - .offset:         88
        .size:           4
        .value_kind:     by_value
      - .offset:         92
        .size:           1
        .value_kind:     by_value
      - .offset:         96
        .size:           4
        .value_kind:     hidden_block_count_x
      - .offset:         100
        .size:           4
        .value_kind:     hidden_block_count_y
      - .offset:         104
        .size:           4
        .value_kind:     hidden_block_count_z
      - .offset:         108
        .size:           2
        .value_kind:     hidden_group_size_x
      - .offset:         110
        .size:           2
        .value_kind:     hidden_group_size_y
      - .offset:         112
        .size:           2
        .value_kind:     hidden_group_size_z
      - .offset:         114
        .size:           2
        .value_kind:     hidden_remainder_x
      - .offset:         116
        .size:           2
        .value_kind:     hidden_remainder_y
      - .offset:         118
        .size:           2
        .value_kind:     hidden_remainder_z
      - .offset:         136
        .size:           8
        .value_kind:     hidden_global_offset_x
      - .offset:         144
        .size:           8
        .value_kind:     hidden_global_offset_y
      - .offset:         152
        .size:           8
        .value_kind:     hidden_global_offset_z
      - .offset:         160
        .size:           2
        .value_kind:     hidden_grid_dims
    .group_segment_fixed_size: 0
    .kernarg_segment_align: 8
    .kernarg_segment_size: 352
    .language:       OpenCL C
    .language_version:
      - 2
      - 0
    .max_flat_workgroup_size: 256
    .name:           _ZN9rocsparseL21csrmvn_general_kernelILj256ELj64Eli21rocsparse_complex_numIfES1_IdES3_S3_EEvbT2_NS_24const_host_device_scalarIT6_EEPKT1_SA_PKS4_PKT3_PKT4_S7_PT5_21rocsparse_index_base_b
    .private_segment_fixed_size: 0
    .sgpr_count:     24
    .sgpr_spill_count: 0
    .symbol:         _ZN9rocsparseL21csrmvn_general_kernelILj256ELj64Eli21rocsparse_complex_numIfES1_IdES3_S3_EEvbT2_NS_24const_host_device_scalarIT6_EEPKT1_SA_PKS4_PKT3_PKT4_S7_PT5_21rocsparse_index_base_b.kd
    .uniform_work_group_size: 1
    .uses_dynamic_stack: false
    .vgpr_count:     40
    .vgpr_spill_count: 0
    .wavefront_size: 32
  - .args:
      - .offset:         0
        .size:           1
        .value_kind:     by_value
      - .offset:         1
        .size:           1
        .value_kind:     by_value
      - .offset:         4
        .size:           4
        .value_kind:     by_value
      - .offset:         8
        .size:           16
        .value_kind:     by_value
      - .address_space:  global
        .offset:         24
        .size:           8
        .value_kind:     global_buffer
      - .address_space:  global
        .offset:         32
        .size:           8
        .value_kind:     global_buffer
      - .actual_access:  read_only
        .address_space:  global
        .offset:         40
        .size:           8
        .value_kind:     global_buffer
      - .actual_access:  read_only
        .address_space:  global
        .offset:         48
        .size:           8
        .value_kind:     global_buffer
      - .actual_access:  read_only
        .address_space:  global
        .offset:         56
        .size:           8
        .value_kind:     global_buffer
      - .address_space:  global
        .offset:         64
        .size:           8
        .value_kind:     global_buffer
      - .offset:         72
        .size:           4
        .value_kind:     by_value
      - .offset:         76
        .size:           1
        .value_kind:     by_value
      - .offset:         80
        .size:           4
        .value_kind:     hidden_block_count_x
      - .offset:         84
        .size:           4
        .value_kind:     hidden_block_count_y
      - .offset:         88
        .size:           4
        .value_kind:     hidden_block_count_z
      - .offset:         92
        .size:           2
        .value_kind:     hidden_group_size_x
      - .offset:         94
        .size:           2
        .value_kind:     hidden_group_size_y
      - .offset:         96
        .size:           2
        .value_kind:     hidden_group_size_z
      - .offset:         98
        .size:           2
        .value_kind:     hidden_remainder_x
      - .offset:         100
        .size:           2
        .value_kind:     hidden_remainder_y
      - .offset:         102
        .size:           2
        .value_kind:     hidden_remainder_z
      - .offset:         120
        .size:           8
        .value_kind:     hidden_global_offset_x
      - .offset:         128
        .size:           8
        .value_kind:     hidden_global_offset_y
      - .offset:         136
        .size:           8
        .value_kind:     hidden_global_offset_z
      - .offset:         144
        .size:           2
        .value_kind:     hidden_grid_dims
    .group_segment_fixed_size: 0
    .kernarg_segment_align: 8
    .kernarg_segment_size: 336
    .language:       OpenCL C
    .language_version:
      - 2
      - 0
    .max_flat_workgroup_size: 256
    .name:           _ZN9rocsparseL21csrmvt_general_kernelILj256ELj4Eli21rocsparse_complex_numIfES1_IdES3_S3_EEvbbT2_NS_24const_host_device_scalarIT6_EEPKT1_SA_PKS4_PKT3_PKT4_PT5_21rocsparse_index_base_b
    .private_segment_fixed_size: 0
    .sgpr_count:     26
    .sgpr_spill_count: 0
    .symbol:         _ZN9rocsparseL21csrmvt_general_kernelILj256ELj4Eli21rocsparse_complex_numIfES1_IdES3_S3_EEvbbT2_NS_24const_host_device_scalarIT6_EEPKT1_SA_PKS4_PKT3_PKT4_PT5_21rocsparse_index_base_b.kd
    .uniform_work_group_size: 1
    .uses_dynamic_stack: false
    .vgpr_count:     30
    .vgpr_spill_count: 0
    .wavefront_size: 32
  - .args:
      - .offset:         0
        .size:           1
        .value_kind:     by_value
      - .offset:         1
        .size:           1
        .value_kind:     by_value
      - .offset:         4
        .size:           4
        .value_kind:     by_value
      - .offset:         8
        .size:           16
        .value_kind:     by_value
      - .address_space:  global
        .offset:         24
        .size:           8
        .value_kind:     global_buffer
      - .address_space:  global
        .offset:         32
        .size:           8
        .value_kind:     global_buffer
      - .actual_access:  read_only
        .address_space:  global
        .offset:         40
        .size:           8
        .value_kind:     global_buffer
      - .actual_access:  read_only
        .address_space:  global
        .offset:         48
        .size:           8
        .value_kind:     global_buffer
      - .actual_access:  read_only
        .address_space:  global
        .offset:         56
        .size:           8
        .value_kind:     global_buffer
      - .address_space:  global
        .offset:         64
        .size:           8
        .value_kind:     global_buffer
      - .offset:         72
        .size:           4
        .value_kind:     by_value
      - .offset:         76
        .size:           1
        .value_kind:     by_value
      - .offset:         80
        .size:           4
        .value_kind:     hidden_block_count_x
      - .offset:         84
        .size:           4
        .value_kind:     hidden_block_count_y
      - .offset:         88
        .size:           4
        .value_kind:     hidden_block_count_z
      - .offset:         92
        .size:           2
        .value_kind:     hidden_group_size_x
      - .offset:         94
        .size:           2
        .value_kind:     hidden_group_size_y
      - .offset:         96
        .size:           2
        .value_kind:     hidden_group_size_z
      - .offset:         98
        .size:           2
        .value_kind:     hidden_remainder_x
      - .offset:         100
        .size:           2
        .value_kind:     hidden_remainder_y
      - .offset:         102
        .size:           2
        .value_kind:     hidden_remainder_z
      - .offset:         120
        .size:           8
        .value_kind:     hidden_global_offset_x
      - .offset:         128
        .size:           8
        .value_kind:     hidden_global_offset_y
      - .offset:         136
        .size:           8
        .value_kind:     hidden_global_offset_z
      - .offset:         144
        .size:           2
        .value_kind:     hidden_grid_dims
    .group_segment_fixed_size: 0
    .kernarg_segment_align: 8
    .kernarg_segment_size: 336
    .language:       OpenCL C
    .language_version:
      - 2
      - 0
    .max_flat_workgroup_size: 256
    .name:           _ZN9rocsparseL21csrmvt_general_kernelILj256ELj8Eli21rocsparse_complex_numIfES1_IdES3_S3_EEvbbT2_NS_24const_host_device_scalarIT6_EEPKT1_SA_PKS4_PKT3_PKT4_PT5_21rocsparse_index_base_b
    .private_segment_fixed_size: 0
    .sgpr_count:     26
    .sgpr_spill_count: 0
    .symbol:         _ZN9rocsparseL21csrmvt_general_kernelILj256ELj8Eli21rocsparse_complex_numIfES1_IdES3_S3_EEvbbT2_NS_24const_host_device_scalarIT6_EEPKT1_SA_PKS4_PKT3_PKT4_PT5_21rocsparse_index_base_b.kd
    .uniform_work_group_size: 1
    .uses_dynamic_stack: false
    .vgpr_count:     30
    .vgpr_spill_count: 0
    .wavefront_size: 32
  - .args:
      - .offset:         0
        .size:           1
        .value_kind:     by_value
      - .offset:         1
        .size:           1
        .value_kind:     by_value
      - .offset:         4
        .size:           4
        .value_kind:     by_value
      - .offset:         8
        .size:           16
        .value_kind:     by_value
      - .address_space:  global
        .offset:         24
        .size:           8
        .value_kind:     global_buffer
      - .address_space:  global
        .offset:         32
        .size:           8
        .value_kind:     global_buffer
      - .actual_access:  read_only
        .address_space:  global
        .offset:         40
        .size:           8
        .value_kind:     global_buffer
      - .actual_access:  read_only
        .address_space:  global
        .offset:         48
        .size:           8
        .value_kind:     global_buffer
      - .actual_access:  read_only
        .address_space:  global
        .offset:         56
        .size:           8
        .value_kind:     global_buffer
      - .address_space:  global
        .offset:         64
        .size:           8
        .value_kind:     global_buffer
      - .offset:         72
        .size:           4
        .value_kind:     by_value
      - .offset:         76
        .size:           1
        .value_kind:     by_value
      - .offset:         80
        .size:           4
        .value_kind:     hidden_block_count_x
      - .offset:         84
        .size:           4
        .value_kind:     hidden_block_count_y
      - .offset:         88
        .size:           4
        .value_kind:     hidden_block_count_z
      - .offset:         92
        .size:           2
        .value_kind:     hidden_group_size_x
      - .offset:         94
        .size:           2
        .value_kind:     hidden_group_size_y
      - .offset:         96
        .size:           2
        .value_kind:     hidden_group_size_z
      - .offset:         98
        .size:           2
        .value_kind:     hidden_remainder_x
      - .offset:         100
        .size:           2
        .value_kind:     hidden_remainder_y
      - .offset:         102
        .size:           2
        .value_kind:     hidden_remainder_z
      - .offset:         120
        .size:           8
        .value_kind:     hidden_global_offset_x
      - .offset:         128
        .size:           8
        .value_kind:     hidden_global_offset_y
      - .offset:         136
        .size:           8
        .value_kind:     hidden_global_offset_z
      - .offset:         144
        .size:           2
        .value_kind:     hidden_grid_dims
    .group_segment_fixed_size: 0
    .kernarg_segment_align: 8
    .kernarg_segment_size: 336
    .language:       OpenCL C
    .language_version:
      - 2
      - 0
    .max_flat_workgroup_size: 256
    .name:           _ZN9rocsparseL21csrmvt_general_kernelILj256ELj16Eli21rocsparse_complex_numIfES1_IdES3_S3_EEvbbT2_NS_24const_host_device_scalarIT6_EEPKT1_SA_PKS4_PKT3_PKT4_PT5_21rocsparse_index_base_b
    .private_segment_fixed_size: 0
    .sgpr_count:     26
    .sgpr_spill_count: 0
    .symbol:         _ZN9rocsparseL21csrmvt_general_kernelILj256ELj16Eli21rocsparse_complex_numIfES1_IdES3_S3_EEvbbT2_NS_24const_host_device_scalarIT6_EEPKT1_SA_PKS4_PKT3_PKT4_PT5_21rocsparse_index_base_b.kd
    .uniform_work_group_size: 1
    .uses_dynamic_stack: false
    .vgpr_count:     30
    .vgpr_spill_count: 0
    .wavefront_size: 32
  - .args:
      - .offset:         0
        .size:           1
        .value_kind:     by_value
      - .offset:         1
        .size:           1
        .value_kind:     by_value
      - .offset:         4
        .size:           4
        .value_kind:     by_value
      - .offset:         8
        .size:           16
        .value_kind:     by_value
      - .address_space:  global
        .offset:         24
        .size:           8
        .value_kind:     global_buffer
      - .address_space:  global
        .offset:         32
        .size:           8
        .value_kind:     global_buffer
      - .actual_access:  read_only
        .address_space:  global
        .offset:         40
        .size:           8
        .value_kind:     global_buffer
      - .actual_access:  read_only
        .address_space:  global
        .offset:         48
        .size:           8
        .value_kind:     global_buffer
      - .actual_access:  read_only
        .address_space:  global
        .offset:         56
        .size:           8
        .value_kind:     global_buffer
      - .address_space:  global
        .offset:         64
        .size:           8
        .value_kind:     global_buffer
      - .offset:         72
        .size:           4
        .value_kind:     by_value
      - .offset:         76
        .size:           1
        .value_kind:     by_value
      - .offset:         80
        .size:           4
        .value_kind:     hidden_block_count_x
      - .offset:         84
        .size:           4
        .value_kind:     hidden_block_count_y
      - .offset:         88
        .size:           4
        .value_kind:     hidden_block_count_z
      - .offset:         92
        .size:           2
        .value_kind:     hidden_group_size_x
      - .offset:         94
        .size:           2
        .value_kind:     hidden_group_size_y
      - .offset:         96
        .size:           2
        .value_kind:     hidden_group_size_z
      - .offset:         98
        .size:           2
        .value_kind:     hidden_remainder_x
      - .offset:         100
        .size:           2
        .value_kind:     hidden_remainder_y
      - .offset:         102
        .size:           2
        .value_kind:     hidden_remainder_z
      - .offset:         120
        .size:           8
        .value_kind:     hidden_global_offset_x
      - .offset:         128
        .size:           8
        .value_kind:     hidden_global_offset_y
      - .offset:         136
        .size:           8
        .value_kind:     hidden_global_offset_z
      - .offset:         144
        .size:           2
        .value_kind:     hidden_grid_dims
    .group_segment_fixed_size: 0
    .kernarg_segment_align: 8
    .kernarg_segment_size: 336
    .language:       OpenCL C
    .language_version:
      - 2
      - 0
    .max_flat_workgroup_size: 256
    .name:           _ZN9rocsparseL21csrmvt_general_kernelILj256ELj32Eli21rocsparse_complex_numIfES1_IdES3_S3_EEvbbT2_NS_24const_host_device_scalarIT6_EEPKT1_SA_PKS4_PKT3_PKT4_PT5_21rocsparse_index_base_b
    .private_segment_fixed_size: 0
    .sgpr_count:     26
    .sgpr_spill_count: 0
    .symbol:         _ZN9rocsparseL21csrmvt_general_kernelILj256ELj32Eli21rocsparse_complex_numIfES1_IdES3_S3_EEvbbT2_NS_24const_host_device_scalarIT6_EEPKT1_SA_PKS4_PKT3_PKT4_PT5_21rocsparse_index_base_b.kd
    .uniform_work_group_size: 1
    .uses_dynamic_stack: false
    .vgpr_count:     30
    .vgpr_spill_count: 0
    .wavefront_size: 32
  - .args:
      - .offset:         0
        .size:           1
        .value_kind:     by_value
      - .offset:         1
        .size:           1
        .value_kind:     by_value
      - .offset:         4
        .size:           4
        .value_kind:     by_value
      - .offset:         8
        .size:           16
        .value_kind:     by_value
      - .address_space:  global
        .offset:         24
        .size:           8
        .value_kind:     global_buffer
      - .address_space:  global
        .offset:         32
        .size:           8
        .value_kind:     global_buffer
      - .actual_access:  read_only
        .address_space:  global
        .offset:         40
        .size:           8
        .value_kind:     global_buffer
      - .actual_access:  read_only
        .address_space:  global
        .offset:         48
        .size:           8
        .value_kind:     global_buffer
      - .actual_access:  read_only
        .address_space:  global
        .offset:         56
        .size:           8
        .value_kind:     global_buffer
      - .address_space:  global
        .offset:         64
        .size:           8
        .value_kind:     global_buffer
      - .offset:         72
        .size:           4
        .value_kind:     by_value
      - .offset:         76
        .size:           1
        .value_kind:     by_value
      - .offset:         80
        .size:           4
        .value_kind:     hidden_block_count_x
      - .offset:         84
        .size:           4
        .value_kind:     hidden_block_count_y
      - .offset:         88
        .size:           4
        .value_kind:     hidden_block_count_z
      - .offset:         92
        .size:           2
        .value_kind:     hidden_group_size_x
      - .offset:         94
        .size:           2
        .value_kind:     hidden_group_size_y
      - .offset:         96
        .size:           2
        .value_kind:     hidden_group_size_z
      - .offset:         98
        .size:           2
        .value_kind:     hidden_remainder_x
      - .offset:         100
        .size:           2
        .value_kind:     hidden_remainder_y
      - .offset:         102
        .size:           2
        .value_kind:     hidden_remainder_z
      - .offset:         120
        .size:           8
        .value_kind:     hidden_global_offset_x
      - .offset:         128
        .size:           8
        .value_kind:     hidden_global_offset_y
      - .offset:         136
        .size:           8
        .value_kind:     hidden_global_offset_z
      - .offset:         144
        .size:           2
        .value_kind:     hidden_grid_dims
    .group_segment_fixed_size: 0
    .kernarg_segment_align: 8
    .kernarg_segment_size: 336
    .language:       OpenCL C
    .language_version:
      - 2
      - 0
    .max_flat_workgroup_size: 256
    .name:           _ZN9rocsparseL21csrmvt_general_kernelILj256ELj64Eli21rocsparse_complex_numIfES1_IdES3_S3_EEvbbT2_NS_24const_host_device_scalarIT6_EEPKT1_SA_PKS4_PKT3_PKT4_PT5_21rocsparse_index_base_b
    .private_segment_fixed_size: 0
    .sgpr_count:     26
    .sgpr_spill_count: 0
    .symbol:         _ZN9rocsparseL21csrmvt_general_kernelILj256ELj64Eli21rocsparse_complex_numIfES1_IdES3_S3_EEvbbT2_NS_24const_host_device_scalarIT6_EEPKT1_SA_PKS4_PKT3_PKT4_PT5_21rocsparse_index_base_b.kd
    .uniform_work_group_size: 1
    .uses_dynamic_stack: false
    .vgpr_count:     30
    .vgpr_spill_count: 0
    .wavefront_size: 32
  - .args:
      - .offset:         0
        .size:           1
        .value_kind:     by_value
      - .offset:         8
        .size:           8
        .value_kind:     by_value
      - .offset:         16
        .size:           16
        .value_kind:     by_value
      - .address_space:  global
        .offset:         32
        .size:           8
        .value_kind:     global_buffer
      - .address_space:  global
        .offset:         40
        .size:           8
        .value_kind:     global_buffer
      - .actual_access:  read_only
        .address_space:  global
        .offset:         48
        .size:           8
        .value_kind:     global_buffer
      - .actual_access:  read_only
        .address_space:  global
        .offset:         56
        .size:           8
        .value_kind:     global_buffer
      - .actual_access:  read_only
        .address_space:  global
        .offset:         64
        .size:           8
        .value_kind:     global_buffer
      - .offset:         72
        .size:           16
        .value_kind:     by_value
      - .address_space:  global
        .offset:         88
        .size:           8
        .value_kind:     global_buffer
      - .offset:         96
        .size:           4
        .value_kind:     by_value
      - .offset:         100
        .size:           1
        .value_kind:     by_value
      - .offset:         104
        .size:           4
        .value_kind:     hidden_block_count_x
      - .offset:         108
        .size:           4
        .value_kind:     hidden_block_count_y
      - .offset:         112
        .size:           4
        .value_kind:     hidden_block_count_z
      - .offset:         116
        .size:           2
        .value_kind:     hidden_group_size_x
      - .offset:         118
        .size:           2
        .value_kind:     hidden_group_size_y
      - .offset:         120
        .size:           2
        .value_kind:     hidden_group_size_z
      - .offset:         122
        .size:           2
        .value_kind:     hidden_remainder_x
      - .offset:         124
        .size:           2
        .value_kind:     hidden_remainder_y
      - .offset:         126
        .size:           2
        .value_kind:     hidden_remainder_z
      - .offset:         144
        .size:           8
        .value_kind:     hidden_global_offset_x
      - .offset:         152
        .size:           8
        .value_kind:     hidden_global_offset_y
      - .offset:         160
        .size:           8
        .value_kind:     hidden_global_offset_z
      - .offset:         168
        .size:           2
        .value_kind:     hidden_grid_dims
    .group_segment_fixed_size: 0
    .kernarg_segment_align: 8
    .kernarg_segment_size: 360
    .language:       OpenCL C
    .language_version:
      - 2
      - 0
    .max_flat_workgroup_size: 256
    .name:           _ZN9rocsparseL21csrmvn_general_kernelILj256ELj2Ell21rocsparse_complex_numIfES1_IdES3_S3_EEvbT2_NS_24const_host_device_scalarIT6_EEPKT1_SA_PKS4_PKT3_PKT4_S7_PT5_21rocsparse_index_base_b
    .private_segment_fixed_size: 0
    .sgpr_count:     26
    .sgpr_spill_count: 0
    .symbol:         _ZN9rocsparseL21csrmvn_general_kernelILj256ELj2Ell21rocsparse_complex_numIfES1_IdES3_S3_EEvbT2_NS_24const_host_device_scalarIT6_EEPKT1_SA_PKS4_PKT3_PKT4_S7_PT5_21rocsparse_index_base_b.kd
    .uniform_work_group_size: 1
    .uses_dynamic_stack: false
    .vgpr_count:     36
    .vgpr_spill_count: 0
    .wavefront_size: 32
  - .args:
      - .offset:         0
        .size:           1
        .value_kind:     by_value
      - .offset:         8
        .size:           8
        .value_kind:     by_value
      - .offset:         16
        .size:           16
        .value_kind:     by_value
      - .address_space:  global
        .offset:         32
        .size:           8
        .value_kind:     global_buffer
      - .address_space:  global
        .offset:         40
        .size:           8
        .value_kind:     global_buffer
      - .actual_access:  read_only
        .address_space:  global
        .offset:         48
        .size:           8
        .value_kind:     global_buffer
      - .actual_access:  read_only
        .address_space:  global
        .offset:         56
        .size:           8
        .value_kind:     global_buffer
      - .actual_access:  read_only
        .address_space:  global
        .offset:         64
        .size:           8
        .value_kind:     global_buffer
      - .offset:         72
        .size:           16
        .value_kind:     by_value
      - .address_space:  global
        .offset:         88
        .size:           8
        .value_kind:     global_buffer
      - .offset:         96
        .size:           4
        .value_kind:     by_value
      - .offset:         100
        .size:           1
        .value_kind:     by_value
      - .offset:         104
        .size:           4
        .value_kind:     hidden_block_count_x
      - .offset:         108
        .size:           4
        .value_kind:     hidden_block_count_y
      - .offset:         112
        .size:           4
        .value_kind:     hidden_block_count_z
      - .offset:         116
        .size:           2
        .value_kind:     hidden_group_size_x
      - .offset:         118
        .size:           2
        .value_kind:     hidden_group_size_y
      - .offset:         120
        .size:           2
        .value_kind:     hidden_group_size_z
      - .offset:         122
        .size:           2
        .value_kind:     hidden_remainder_x
      - .offset:         124
        .size:           2
        .value_kind:     hidden_remainder_y
      - .offset:         126
        .size:           2
        .value_kind:     hidden_remainder_z
      - .offset:         144
        .size:           8
        .value_kind:     hidden_global_offset_x
      - .offset:         152
        .size:           8
        .value_kind:     hidden_global_offset_y
      - .offset:         160
        .size:           8
        .value_kind:     hidden_global_offset_z
      - .offset:         168
        .size:           2
        .value_kind:     hidden_grid_dims
    .group_segment_fixed_size: 0
    .kernarg_segment_align: 8
    .kernarg_segment_size: 360
    .language:       OpenCL C
    .language_version:
      - 2
      - 0
    .max_flat_workgroup_size: 256
    .name:           _ZN9rocsparseL21csrmvn_general_kernelILj256ELj4Ell21rocsparse_complex_numIfES1_IdES3_S3_EEvbT2_NS_24const_host_device_scalarIT6_EEPKT1_SA_PKS4_PKT3_PKT4_S7_PT5_21rocsparse_index_base_b
    .private_segment_fixed_size: 0
    .sgpr_count:     26
    .sgpr_spill_count: 0
    .symbol:         _ZN9rocsparseL21csrmvn_general_kernelILj256ELj4Ell21rocsparse_complex_numIfES1_IdES3_S3_EEvbT2_NS_24const_host_device_scalarIT6_EEPKT1_SA_PKS4_PKT3_PKT4_S7_PT5_21rocsparse_index_base_b.kd
    .uniform_work_group_size: 1
    .uses_dynamic_stack: false
    .vgpr_count:     36
    .vgpr_spill_count: 0
    .wavefront_size: 32
  - .args:
      - .offset:         0
        .size:           1
        .value_kind:     by_value
      - .offset:         8
        .size:           8
        .value_kind:     by_value
      - .offset:         16
        .size:           16
        .value_kind:     by_value
      - .address_space:  global
        .offset:         32
        .size:           8
        .value_kind:     global_buffer
      - .address_space:  global
        .offset:         40
        .size:           8
        .value_kind:     global_buffer
      - .actual_access:  read_only
        .address_space:  global
        .offset:         48
        .size:           8
        .value_kind:     global_buffer
      - .actual_access:  read_only
        .address_space:  global
        .offset:         56
        .size:           8
        .value_kind:     global_buffer
      - .actual_access:  read_only
        .address_space:  global
        .offset:         64
        .size:           8
        .value_kind:     global_buffer
      - .offset:         72
        .size:           16
        .value_kind:     by_value
      - .address_space:  global
        .offset:         88
        .size:           8
        .value_kind:     global_buffer
      - .offset:         96
        .size:           4
        .value_kind:     by_value
      - .offset:         100
        .size:           1
        .value_kind:     by_value
      - .offset:         104
        .size:           4
        .value_kind:     hidden_block_count_x
      - .offset:         108
        .size:           4
        .value_kind:     hidden_block_count_y
      - .offset:         112
        .size:           4
        .value_kind:     hidden_block_count_z
      - .offset:         116
        .size:           2
        .value_kind:     hidden_group_size_x
      - .offset:         118
        .size:           2
        .value_kind:     hidden_group_size_y
      - .offset:         120
        .size:           2
        .value_kind:     hidden_group_size_z
      - .offset:         122
        .size:           2
        .value_kind:     hidden_remainder_x
      - .offset:         124
        .size:           2
        .value_kind:     hidden_remainder_y
      - .offset:         126
        .size:           2
        .value_kind:     hidden_remainder_z
      - .offset:         144
        .size:           8
        .value_kind:     hidden_global_offset_x
      - .offset:         152
        .size:           8
        .value_kind:     hidden_global_offset_y
      - .offset:         160
        .size:           8
        .value_kind:     hidden_global_offset_z
      - .offset:         168
        .size:           2
        .value_kind:     hidden_grid_dims
    .group_segment_fixed_size: 0
    .kernarg_segment_align: 8
    .kernarg_segment_size: 360
    .language:       OpenCL C
    .language_version:
      - 2
      - 0
    .max_flat_workgroup_size: 256
    .name:           _ZN9rocsparseL21csrmvn_general_kernelILj256ELj8Ell21rocsparse_complex_numIfES1_IdES3_S3_EEvbT2_NS_24const_host_device_scalarIT6_EEPKT1_SA_PKS4_PKT3_PKT4_S7_PT5_21rocsparse_index_base_b
    .private_segment_fixed_size: 0
    .sgpr_count:     26
    .sgpr_spill_count: 0
    .symbol:         _ZN9rocsparseL21csrmvn_general_kernelILj256ELj8Ell21rocsparse_complex_numIfES1_IdES3_S3_EEvbT2_NS_24const_host_device_scalarIT6_EEPKT1_SA_PKS4_PKT3_PKT4_S7_PT5_21rocsparse_index_base_b.kd
    .uniform_work_group_size: 1
    .uses_dynamic_stack: false
    .vgpr_count:     38
    .vgpr_spill_count: 0
    .wavefront_size: 32
  - .args:
      - .offset:         0
        .size:           1
        .value_kind:     by_value
      - .offset:         8
        .size:           8
        .value_kind:     by_value
      - .offset:         16
        .size:           16
        .value_kind:     by_value
      - .address_space:  global
        .offset:         32
        .size:           8
        .value_kind:     global_buffer
      - .address_space:  global
        .offset:         40
        .size:           8
        .value_kind:     global_buffer
      - .actual_access:  read_only
        .address_space:  global
        .offset:         48
        .size:           8
        .value_kind:     global_buffer
      - .actual_access:  read_only
        .address_space:  global
        .offset:         56
        .size:           8
        .value_kind:     global_buffer
      - .actual_access:  read_only
        .address_space:  global
        .offset:         64
        .size:           8
        .value_kind:     global_buffer
      - .offset:         72
        .size:           16
        .value_kind:     by_value
      - .address_space:  global
        .offset:         88
        .size:           8
        .value_kind:     global_buffer
      - .offset:         96
        .size:           4
        .value_kind:     by_value
      - .offset:         100
        .size:           1
        .value_kind:     by_value
      - .offset:         104
        .size:           4
        .value_kind:     hidden_block_count_x
      - .offset:         108
        .size:           4
        .value_kind:     hidden_block_count_y
      - .offset:         112
        .size:           4
        .value_kind:     hidden_block_count_z
      - .offset:         116
        .size:           2
        .value_kind:     hidden_group_size_x
      - .offset:         118
        .size:           2
        .value_kind:     hidden_group_size_y
      - .offset:         120
        .size:           2
        .value_kind:     hidden_group_size_z
      - .offset:         122
        .size:           2
        .value_kind:     hidden_remainder_x
      - .offset:         124
        .size:           2
        .value_kind:     hidden_remainder_y
      - .offset:         126
        .size:           2
        .value_kind:     hidden_remainder_z
      - .offset:         144
        .size:           8
        .value_kind:     hidden_global_offset_x
      - .offset:         152
        .size:           8
        .value_kind:     hidden_global_offset_y
      - .offset:         160
        .size:           8
        .value_kind:     hidden_global_offset_z
      - .offset:         168
        .size:           2
        .value_kind:     hidden_grid_dims
    .group_segment_fixed_size: 0
    .kernarg_segment_align: 8
    .kernarg_segment_size: 360
    .language:       OpenCL C
    .language_version:
      - 2
      - 0
    .max_flat_workgroup_size: 256
    .name:           _ZN9rocsparseL21csrmvn_general_kernelILj256ELj16Ell21rocsparse_complex_numIfES1_IdES3_S3_EEvbT2_NS_24const_host_device_scalarIT6_EEPKT1_SA_PKS4_PKT3_PKT4_S7_PT5_21rocsparse_index_base_b
    .private_segment_fixed_size: 0
    .sgpr_count:     26
    .sgpr_spill_count: 0
    .symbol:         _ZN9rocsparseL21csrmvn_general_kernelILj256ELj16Ell21rocsparse_complex_numIfES1_IdES3_S3_EEvbT2_NS_24const_host_device_scalarIT6_EEPKT1_SA_PKS4_PKT3_PKT4_S7_PT5_21rocsparse_index_base_b.kd
    .uniform_work_group_size: 1
    .uses_dynamic_stack: false
    .vgpr_count:     38
    .vgpr_spill_count: 0
    .wavefront_size: 32
  - .args:
      - .offset:         0
        .size:           1
        .value_kind:     by_value
      - .offset:         8
        .size:           8
        .value_kind:     by_value
      - .offset:         16
        .size:           16
        .value_kind:     by_value
      - .address_space:  global
        .offset:         32
        .size:           8
        .value_kind:     global_buffer
      - .address_space:  global
        .offset:         40
        .size:           8
        .value_kind:     global_buffer
      - .actual_access:  read_only
        .address_space:  global
        .offset:         48
        .size:           8
        .value_kind:     global_buffer
      - .actual_access:  read_only
        .address_space:  global
        .offset:         56
        .size:           8
        .value_kind:     global_buffer
      - .actual_access:  read_only
        .address_space:  global
        .offset:         64
        .size:           8
        .value_kind:     global_buffer
      - .offset:         72
        .size:           16
        .value_kind:     by_value
      - .address_space:  global
        .offset:         88
        .size:           8
        .value_kind:     global_buffer
      - .offset:         96
        .size:           4
        .value_kind:     by_value
      - .offset:         100
        .size:           1
        .value_kind:     by_value
      - .offset:         104
        .size:           4
        .value_kind:     hidden_block_count_x
      - .offset:         108
        .size:           4
        .value_kind:     hidden_block_count_y
      - .offset:         112
        .size:           4
        .value_kind:     hidden_block_count_z
      - .offset:         116
        .size:           2
        .value_kind:     hidden_group_size_x
      - .offset:         118
        .size:           2
        .value_kind:     hidden_group_size_y
      - .offset:         120
        .size:           2
        .value_kind:     hidden_group_size_z
      - .offset:         122
        .size:           2
        .value_kind:     hidden_remainder_x
      - .offset:         124
        .size:           2
        .value_kind:     hidden_remainder_y
      - .offset:         126
        .size:           2
        .value_kind:     hidden_remainder_z
      - .offset:         144
        .size:           8
        .value_kind:     hidden_global_offset_x
      - .offset:         152
        .size:           8
        .value_kind:     hidden_global_offset_y
      - .offset:         160
        .size:           8
        .value_kind:     hidden_global_offset_z
      - .offset:         168
        .size:           2
        .value_kind:     hidden_grid_dims
    .group_segment_fixed_size: 0
    .kernarg_segment_align: 8
    .kernarg_segment_size: 360
    .language:       OpenCL C
    .language_version:
      - 2
      - 0
    .max_flat_workgroup_size: 256
    .name:           _ZN9rocsparseL21csrmvn_general_kernelILj256ELj32Ell21rocsparse_complex_numIfES1_IdES3_S3_EEvbT2_NS_24const_host_device_scalarIT6_EEPKT1_SA_PKS4_PKT3_PKT4_S7_PT5_21rocsparse_index_base_b
    .private_segment_fixed_size: 0
    .sgpr_count:     26
    .sgpr_spill_count: 0
    .symbol:         _ZN9rocsparseL21csrmvn_general_kernelILj256ELj32Ell21rocsparse_complex_numIfES1_IdES3_S3_EEvbT2_NS_24const_host_device_scalarIT6_EEPKT1_SA_PKS4_PKT3_PKT4_S7_PT5_21rocsparse_index_base_b.kd
    .uniform_work_group_size: 1
    .uses_dynamic_stack: false
    .vgpr_count:     40
    .vgpr_spill_count: 0
    .wavefront_size: 32
  - .args:
      - .offset:         0
        .size:           1
        .value_kind:     by_value
      - .offset:         8
        .size:           8
        .value_kind:     by_value
      - .offset:         16
        .size:           16
        .value_kind:     by_value
      - .address_space:  global
        .offset:         32
        .size:           8
        .value_kind:     global_buffer
      - .address_space:  global
        .offset:         40
        .size:           8
        .value_kind:     global_buffer
      - .actual_access:  read_only
        .address_space:  global
        .offset:         48
        .size:           8
        .value_kind:     global_buffer
      - .actual_access:  read_only
        .address_space:  global
        .offset:         56
        .size:           8
        .value_kind:     global_buffer
      - .actual_access:  read_only
        .address_space:  global
        .offset:         64
        .size:           8
        .value_kind:     global_buffer
      - .offset:         72
        .size:           16
        .value_kind:     by_value
      - .address_space:  global
        .offset:         88
        .size:           8
        .value_kind:     global_buffer
      - .offset:         96
        .size:           4
        .value_kind:     by_value
      - .offset:         100
        .size:           1
        .value_kind:     by_value
      - .offset:         104
        .size:           4
        .value_kind:     hidden_block_count_x
      - .offset:         108
        .size:           4
        .value_kind:     hidden_block_count_y
      - .offset:         112
        .size:           4
        .value_kind:     hidden_block_count_z
      - .offset:         116
        .size:           2
        .value_kind:     hidden_group_size_x
      - .offset:         118
        .size:           2
        .value_kind:     hidden_group_size_y
      - .offset:         120
        .size:           2
        .value_kind:     hidden_group_size_z
      - .offset:         122
        .size:           2
        .value_kind:     hidden_remainder_x
      - .offset:         124
        .size:           2
        .value_kind:     hidden_remainder_y
      - .offset:         126
        .size:           2
        .value_kind:     hidden_remainder_z
      - .offset:         144
        .size:           8
        .value_kind:     hidden_global_offset_x
      - .offset:         152
        .size:           8
        .value_kind:     hidden_global_offset_y
      - .offset:         160
        .size:           8
        .value_kind:     hidden_global_offset_z
      - .offset:         168
        .size:           2
        .value_kind:     hidden_grid_dims
    .group_segment_fixed_size: 0
    .kernarg_segment_align: 8
    .kernarg_segment_size: 360
    .language:       OpenCL C
    .language_version:
      - 2
      - 0
    .max_flat_workgroup_size: 256
    .name:           _ZN9rocsparseL21csrmvn_general_kernelILj256ELj64Ell21rocsparse_complex_numIfES1_IdES3_S3_EEvbT2_NS_24const_host_device_scalarIT6_EEPKT1_SA_PKS4_PKT3_PKT4_S7_PT5_21rocsparse_index_base_b
    .private_segment_fixed_size: 0
    .sgpr_count:     26
    .sgpr_spill_count: 0
    .symbol:         _ZN9rocsparseL21csrmvn_general_kernelILj256ELj64Ell21rocsparse_complex_numIfES1_IdES3_S3_EEvbT2_NS_24const_host_device_scalarIT6_EEPKT1_SA_PKS4_PKT3_PKT4_S7_PT5_21rocsparse_index_base_b.kd
    .uniform_work_group_size: 1
    .uses_dynamic_stack: false
    .vgpr_count:     40
    .vgpr_spill_count: 0
    .wavefront_size: 32
  - .args:
      - .offset:         0
        .size:           1
        .value_kind:     by_value
      - .offset:         1
        .size:           1
        .value_kind:     by_value
      - .offset:         8
        .size:           8
        .value_kind:     by_value
      - .offset:         16
        .size:           16
        .value_kind:     by_value
      - .address_space:  global
        .offset:         32
        .size:           8
        .value_kind:     global_buffer
      - .address_space:  global
        .offset:         40
        .size:           8
        .value_kind:     global_buffer
      - .actual_access:  read_only
        .address_space:  global
        .offset:         48
        .size:           8
        .value_kind:     global_buffer
      - .actual_access:  read_only
        .address_space:  global
        .offset:         56
        .size:           8
        .value_kind:     global_buffer
      - .actual_access:  read_only
        .address_space:  global
        .offset:         64
        .size:           8
        .value_kind:     global_buffer
      - .address_space:  global
        .offset:         72
        .size:           8
        .value_kind:     global_buffer
      - .offset:         80
        .size:           4
        .value_kind:     by_value
      - .offset:         84
        .size:           1
        .value_kind:     by_value
      - .offset:         88
        .size:           4
        .value_kind:     hidden_block_count_x
      - .offset:         92
        .size:           4
        .value_kind:     hidden_block_count_y
      - .offset:         96
        .size:           4
        .value_kind:     hidden_block_count_z
      - .offset:         100
        .size:           2
        .value_kind:     hidden_group_size_x
      - .offset:         102
        .size:           2
        .value_kind:     hidden_group_size_y
      - .offset:         104
        .size:           2
        .value_kind:     hidden_group_size_z
      - .offset:         106
        .size:           2
        .value_kind:     hidden_remainder_x
      - .offset:         108
        .size:           2
        .value_kind:     hidden_remainder_y
      - .offset:         110
        .size:           2
        .value_kind:     hidden_remainder_z
      - .offset:         128
        .size:           8
        .value_kind:     hidden_global_offset_x
      - .offset:         136
        .size:           8
        .value_kind:     hidden_global_offset_y
      - .offset:         144
        .size:           8
        .value_kind:     hidden_global_offset_z
      - .offset:         152
        .size:           2
        .value_kind:     hidden_grid_dims
    .group_segment_fixed_size: 0
    .kernarg_segment_align: 8
    .kernarg_segment_size: 344
    .language:       OpenCL C
    .language_version:
      - 2
      - 0
    .max_flat_workgroup_size: 256
    .name:           _ZN9rocsparseL21csrmvt_general_kernelILj256ELj4Ell21rocsparse_complex_numIfES1_IdES3_S3_EEvbbT2_NS_24const_host_device_scalarIT6_EEPKT1_SA_PKS4_PKT3_PKT4_PT5_21rocsparse_index_base_b
    .private_segment_fixed_size: 0
    .sgpr_count:     28
    .sgpr_spill_count: 0
    .symbol:         _ZN9rocsparseL21csrmvt_general_kernelILj256ELj4Ell21rocsparse_complex_numIfES1_IdES3_S3_EEvbbT2_NS_24const_host_device_scalarIT6_EEPKT1_SA_PKS4_PKT3_PKT4_PT5_21rocsparse_index_base_b.kd
    .uniform_work_group_size: 1
    .uses_dynamic_stack: false
    .vgpr_count:     32
    .vgpr_spill_count: 0
    .wavefront_size: 32
  - .args:
      - .offset:         0
        .size:           1
        .value_kind:     by_value
      - .offset:         1
        .size:           1
        .value_kind:     by_value
      - .offset:         8
        .size:           8
        .value_kind:     by_value
      - .offset:         16
        .size:           16
        .value_kind:     by_value
      - .address_space:  global
        .offset:         32
        .size:           8
        .value_kind:     global_buffer
      - .address_space:  global
        .offset:         40
        .size:           8
        .value_kind:     global_buffer
      - .actual_access:  read_only
        .address_space:  global
        .offset:         48
        .size:           8
        .value_kind:     global_buffer
      - .actual_access:  read_only
        .address_space:  global
        .offset:         56
        .size:           8
        .value_kind:     global_buffer
      - .actual_access:  read_only
        .address_space:  global
        .offset:         64
        .size:           8
        .value_kind:     global_buffer
      - .address_space:  global
        .offset:         72
        .size:           8
        .value_kind:     global_buffer
      - .offset:         80
        .size:           4
        .value_kind:     by_value
      - .offset:         84
        .size:           1
        .value_kind:     by_value
      - .offset:         88
        .size:           4
        .value_kind:     hidden_block_count_x
      - .offset:         92
        .size:           4
        .value_kind:     hidden_block_count_y
      - .offset:         96
        .size:           4
        .value_kind:     hidden_block_count_z
      - .offset:         100
        .size:           2
        .value_kind:     hidden_group_size_x
      - .offset:         102
        .size:           2
        .value_kind:     hidden_group_size_y
      - .offset:         104
        .size:           2
        .value_kind:     hidden_group_size_z
      - .offset:         106
        .size:           2
        .value_kind:     hidden_remainder_x
      - .offset:         108
        .size:           2
        .value_kind:     hidden_remainder_y
      - .offset:         110
        .size:           2
        .value_kind:     hidden_remainder_z
      - .offset:         128
        .size:           8
        .value_kind:     hidden_global_offset_x
      - .offset:         136
        .size:           8
        .value_kind:     hidden_global_offset_y
      - .offset:         144
        .size:           8
        .value_kind:     hidden_global_offset_z
      - .offset:         152
        .size:           2
        .value_kind:     hidden_grid_dims
    .group_segment_fixed_size: 0
    .kernarg_segment_align: 8
    .kernarg_segment_size: 344
    .language:       OpenCL C
    .language_version:
      - 2
      - 0
    .max_flat_workgroup_size: 256
    .name:           _ZN9rocsparseL21csrmvt_general_kernelILj256ELj8Ell21rocsparse_complex_numIfES1_IdES3_S3_EEvbbT2_NS_24const_host_device_scalarIT6_EEPKT1_SA_PKS4_PKT3_PKT4_PT5_21rocsparse_index_base_b
    .private_segment_fixed_size: 0
    .sgpr_count:     28
    .sgpr_spill_count: 0
    .symbol:         _ZN9rocsparseL21csrmvt_general_kernelILj256ELj8Ell21rocsparse_complex_numIfES1_IdES3_S3_EEvbbT2_NS_24const_host_device_scalarIT6_EEPKT1_SA_PKS4_PKT3_PKT4_PT5_21rocsparse_index_base_b.kd
    .uniform_work_group_size: 1
    .uses_dynamic_stack: false
    .vgpr_count:     32
    .vgpr_spill_count: 0
    .wavefront_size: 32
  - .args:
      - .offset:         0
        .size:           1
        .value_kind:     by_value
      - .offset:         1
        .size:           1
        .value_kind:     by_value
      - .offset:         8
        .size:           8
        .value_kind:     by_value
      - .offset:         16
        .size:           16
        .value_kind:     by_value
      - .address_space:  global
        .offset:         32
        .size:           8
        .value_kind:     global_buffer
      - .address_space:  global
        .offset:         40
        .size:           8
        .value_kind:     global_buffer
      - .actual_access:  read_only
        .address_space:  global
        .offset:         48
        .size:           8
        .value_kind:     global_buffer
      - .actual_access:  read_only
        .address_space:  global
        .offset:         56
        .size:           8
        .value_kind:     global_buffer
      - .actual_access:  read_only
        .address_space:  global
        .offset:         64
        .size:           8
        .value_kind:     global_buffer
      - .address_space:  global
        .offset:         72
        .size:           8
        .value_kind:     global_buffer
      - .offset:         80
        .size:           4
        .value_kind:     by_value
      - .offset:         84
        .size:           1
        .value_kind:     by_value
      - .offset:         88
        .size:           4
        .value_kind:     hidden_block_count_x
      - .offset:         92
        .size:           4
        .value_kind:     hidden_block_count_y
      - .offset:         96
        .size:           4
        .value_kind:     hidden_block_count_z
      - .offset:         100
        .size:           2
        .value_kind:     hidden_group_size_x
      - .offset:         102
        .size:           2
        .value_kind:     hidden_group_size_y
      - .offset:         104
        .size:           2
        .value_kind:     hidden_group_size_z
      - .offset:         106
        .size:           2
        .value_kind:     hidden_remainder_x
      - .offset:         108
        .size:           2
        .value_kind:     hidden_remainder_y
      - .offset:         110
        .size:           2
        .value_kind:     hidden_remainder_z
      - .offset:         128
        .size:           8
        .value_kind:     hidden_global_offset_x
      - .offset:         136
        .size:           8
        .value_kind:     hidden_global_offset_y
      - .offset:         144
        .size:           8
        .value_kind:     hidden_global_offset_z
      - .offset:         152
        .size:           2
        .value_kind:     hidden_grid_dims
    .group_segment_fixed_size: 0
    .kernarg_segment_align: 8
    .kernarg_segment_size: 344
    .language:       OpenCL C
    .language_version:
      - 2
      - 0
    .max_flat_workgroup_size: 256
    .name:           _ZN9rocsparseL21csrmvt_general_kernelILj256ELj16Ell21rocsparse_complex_numIfES1_IdES3_S3_EEvbbT2_NS_24const_host_device_scalarIT6_EEPKT1_SA_PKS4_PKT3_PKT4_PT5_21rocsparse_index_base_b
    .private_segment_fixed_size: 0
    .sgpr_count:     28
    .sgpr_spill_count: 0
    .symbol:         _ZN9rocsparseL21csrmvt_general_kernelILj256ELj16Ell21rocsparse_complex_numIfES1_IdES3_S3_EEvbbT2_NS_24const_host_device_scalarIT6_EEPKT1_SA_PKS4_PKT3_PKT4_PT5_21rocsparse_index_base_b.kd
    .uniform_work_group_size: 1
    .uses_dynamic_stack: false
    .vgpr_count:     32
    .vgpr_spill_count: 0
    .wavefront_size: 32
  - .args:
      - .offset:         0
        .size:           1
        .value_kind:     by_value
      - .offset:         1
        .size:           1
        .value_kind:     by_value
      - .offset:         8
        .size:           8
        .value_kind:     by_value
      - .offset:         16
        .size:           16
        .value_kind:     by_value
      - .address_space:  global
        .offset:         32
        .size:           8
        .value_kind:     global_buffer
      - .address_space:  global
        .offset:         40
        .size:           8
        .value_kind:     global_buffer
      - .actual_access:  read_only
        .address_space:  global
        .offset:         48
        .size:           8
        .value_kind:     global_buffer
      - .actual_access:  read_only
        .address_space:  global
        .offset:         56
        .size:           8
        .value_kind:     global_buffer
      - .actual_access:  read_only
        .address_space:  global
        .offset:         64
        .size:           8
        .value_kind:     global_buffer
      - .address_space:  global
        .offset:         72
        .size:           8
        .value_kind:     global_buffer
      - .offset:         80
        .size:           4
        .value_kind:     by_value
      - .offset:         84
        .size:           1
        .value_kind:     by_value
      - .offset:         88
        .size:           4
        .value_kind:     hidden_block_count_x
      - .offset:         92
        .size:           4
        .value_kind:     hidden_block_count_y
      - .offset:         96
        .size:           4
        .value_kind:     hidden_block_count_z
      - .offset:         100
        .size:           2
        .value_kind:     hidden_group_size_x
      - .offset:         102
        .size:           2
        .value_kind:     hidden_group_size_y
      - .offset:         104
        .size:           2
        .value_kind:     hidden_group_size_z
      - .offset:         106
        .size:           2
        .value_kind:     hidden_remainder_x
      - .offset:         108
        .size:           2
        .value_kind:     hidden_remainder_y
      - .offset:         110
        .size:           2
        .value_kind:     hidden_remainder_z
      - .offset:         128
        .size:           8
        .value_kind:     hidden_global_offset_x
      - .offset:         136
        .size:           8
        .value_kind:     hidden_global_offset_y
      - .offset:         144
        .size:           8
        .value_kind:     hidden_global_offset_z
      - .offset:         152
        .size:           2
        .value_kind:     hidden_grid_dims
    .group_segment_fixed_size: 0
    .kernarg_segment_align: 8
    .kernarg_segment_size: 344
    .language:       OpenCL C
    .language_version:
      - 2
      - 0
    .max_flat_workgroup_size: 256
    .name:           _ZN9rocsparseL21csrmvt_general_kernelILj256ELj32Ell21rocsparse_complex_numIfES1_IdES3_S3_EEvbbT2_NS_24const_host_device_scalarIT6_EEPKT1_SA_PKS4_PKT3_PKT4_PT5_21rocsparse_index_base_b
    .private_segment_fixed_size: 0
    .sgpr_count:     28
    .sgpr_spill_count: 0
    .symbol:         _ZN9rocsparseL21csrmvt_general_kernelILj256ELj32Ell21rocsparse_complex_numIfES1_IdES3_S3_EEvbbT2_NS_24const_host_device_scalarIT6_EEPKT1_SA_PKS4_PKT3_PKT4_PT5_21rocsparse_index_base_b.kd
    .uniform_work_group_size: 1
    .uses_dynamic_stack: false
    .vgpr_count:     32
    .vgpr_spill_count: 0
    .wavefront_size: 32
  - .args:
      - .offset:         0
        .size:           1
        .value_kind:     by_value
      - .offset:         1
        .size:           1
        .value_kind:     by_value
      - .offset:         8
        .size:           8
        .value_kind:     by_value
      - .offset:         16
        .size:           16
        .value_kind:     by_value
      - .address_space:  global
        .offset:         32
        .size:           8
        .value_kind:     global_buffer
      - .address_space:  global
        .offset:         40
        .size:           8
        .value_kind:     global_buffer
      - .actual_access:  read_only
        .address_space:  global
        .offset:         48
        .size:           8
        .value_kind:     global_buffer
      - .actual_access:  read_only
        .address_space:  global
        .offset:         56
        .size:           8
        .value_kind:     global_buffer
      - .actual_access:  read_only
        .address_space:  global
        .offset:         64
        .size:           8
        .value_kind:     global_buffer
      - .address_space:  global
        .offset:         72
        .size:           8
        .value_kind:     global_buffer
      - .offset:         80
        .size:           4
        .value_kind:     by_value
      - .offset:         84
        .size:           1
        .value_kind:     by_value
      - .offset:         88
        .size:           4
        .value_kind:     hidden_block_count_x
      - .offset:         92
        .size:           4
        .value_kind:     hidden_block_count_y
      - .offset:         96
        .size:           4
        .value_kind:     hidden_block_count_z
      - .offset:         100
        .size:           2
        .value_kind:     hidden_group_size_x
      - .offset:         102
        .size:           2
        .value_kind:     hidden_group_size_y
      - .offset:         104
        .size:           2
        .value_kind:     hidden_group_size_z
      - .offset:         106
        .size:           2
        .value_kind:     hidden_remainder_x
      - .offset:         108
        .size:           2
        .value_kind:     hidden_remainder_y
      - .offset:         110
        .size:           2
        .value_kind:     hidden_remainder_z
      - .offset:         128
        .size:           8
        .value_kind:     hidden_global_offset_x
      - .offset:         136
        .size:           8
        .value_kind:     hidden_global_offset_y
      - .offset:         144
        .size:           8
        .value_kind:     hidden_global_offset_z
      - .offset:         152
        .size:           2
        .value_kind:     hidden_grid_dims
    .group_segment_fixed_size: 0
    .kernarg_segment_align: 8
    .kernarg_segment_size: 344
    .language:       OpenCL C
    .language_version:
      - 2
      - 0
    .max_flat_workgroup_size: 256
    .name:           _ZN9rocsparseL21csrmvt_general_kernelILj256ELj64Ell21rocsparse_complex_numIfES1_IdES3_S3_EEvbbT2_NS_24const_host_device_scalarIT6_EEPKT1_SA_PKS4_PKT3_PKT4_PT5_21rocsparse_index_base_b
    .private_segment_fixed_size: 0
    .sgpr_count:     28
    .sgpr_spill_count: 0
    .symbol:         _ZN9rocsparseL21csrmvt_general_kernelILj256ELj64Ell21rocsparse_complex_numIfES1_IdES3_S3_EEvbbT2_NS_24const_host_device_scalarIT6_EEPKT1_SA_PKS4_PKT3_PKT4_PT5_21rocsparse_index_base_b.kd
    .uniform_work_group_size: 1
    .uses_dynamic_stack: false
    .vgpr_count:     32
    .vgpr_spill_count: 0
    .wavefront_size: 32
amdhsa.target:   amdgcn-amd-amdhsa--gfx1250
amdhsa.version:
  - 1
  - 2
...

	.end_amdgpu_metadata
